;; amdgpu-corpus repo=pytorch/pytorch kind=compiled arch=gfx1100 opt=O3
	.text
	.amdgcn_target "amdgcn-amd-amdhsa--gfx1100"
	.amdhsa_code_object_version 6
	.section	.text._ZN2at6native12_GLOBAL__N_125multi_tensor_apply_kernelINS1_18TensorListMetadataILi2EEENS1_24BinaryOpListAlphaFunctorIhLi2ELi2ELi0EEEJSt4plusIhEhEEEvT_T0_DpT1_,"axG",@progbits,_ZN2at6native12_GLOBAL__N_125multi_tensor_apply_kernelINS1_18TensorListMetadataILi2EEENS1_24BinaryOpListAlphaFunctorIhLi2ELi2ELi0EEEJSt4plusIhEhEEEvT_T0_DpT1_,comdat
	.globl	_ZN2at6native12_GLOBAL__N_125multi_tensor_apply_kernelINS1_18TensorListMetadataILi2EEENS1_24BinaryOpListAlphaFunctorIhLi2ELi2ELi0EEEJSt4plusIhEhEEEvT_T0_DpT1_ ; -- Begin function _ZN2at6native12_GLOBAL__N_125multi_tensor_apply_kernelINS1_18TensorListMetadataILi2EEENS1_24BinaryOpListAlphaFunctorIhLi2ELi2ELi0EEEJSt4plusIhEhEEEvT_T0_DpT1_
	.p2align	8
	.type	_ZN2at6native12_GLOBAL__N_125multi_tensor_apply_kernelINS1_18TensorListMetadataILi2EEENS1_24BinaryOpListAlphaFunctorIhLi2ELi2ELi0EEEJSt4plusIhEhEEEvT_T0_DpT1_,@function
_ZN2at6native12_GLOBAL__N_125multi_tensor_apply_kernelINS1_18TensorListMetadataILi2EEENS1_24BinaryOpListAlphaFunctorIhLi2ELi2ELi0EEEJSt4plusIhEhEEEvT_T0_DpT1_: ; @_ZN2at6native12_GLOBAL__N_125multi_tensor_apply_kernelINS1_18TensorListMetadataILi2EEENS1_24BinaryOpListAlphaFunctorIhLi2ELi2ELi0EEEJSt4plusIhEhEEEvT_T0_DpT1_
; %bb.0:
	v_mov_b32_e32 v1, s15
	s_add_u32 s2, s0, s15
	s_mul_hi_u32 s3, s15, 3
	s_mul_i32 s15, s15, 3
	s_addc_u32 s4, s1, 0
	global_load_u8 v1, v1, s[0:1] offset:1536
	s_add_u32 s2, s2, s15
	s_addc_u32 s3, s4, s3
	s_load_b32 s4, s[2:3], 0x740
	s_waitcnt lgkmcnt(0)
	s_ashr_i32 s5, s4, 31
	s_delay_alu instid0(SALU_CYCLE_1) | instskip(SKIP_2) | instid1(VALU_DEP_1)
	s_lshl_b64 s[12:13], s[4:5], 16
	s_waitcnt vmcnt(0)
	v_readfirstlane_b32 s2, v1
	s_lshl_b32 s2, s2, 3
	s_clause 0x3
	s_load_b64 s[8:9], s[0:1], s2 offset:0x0
	s_load_b64 s[10:11], s[0:1], s2 offset:0x200
	;; [unrolled: 1-line block ×3, first 2 shown]
	s_load_b32 s3, s[0:1], 0xc48
	s_waitcnt lgkmcnt(0)
	s_add_u32 s6, s8, s12
	s_addc_u32 s7, s9, s13
	s_add_u32 s14, s10, s12
	s_addc_u32 s15, s11, s13
	s_or_b64 s[4:5], s[16:17], s[6:7]
	s_delay_alu instid0(SALU_CYCLE_1) | instskip(NEXT) | instid1(SALU_CYCLE_1)
	s_or_b32 s2, s14, s4
	s_and_b32 s2, s2, 3
	s_sub_u32 s4, s16, s12
	s_subb_u32 s5, s17, s13
	s_cmp_eq_u32 s2, 0
	s_mov_b32 s2, -1
	s_cbranch_scc0 .LBB0_5
; %bb.1:
	v_dual_mov_b32 v2, 0 :: v_dual_lshlrev_b32 v1, 2, v0
	s_mov_b32 s16, exec_lo
	s_delay_alu instid0(VALU_DEP_1)
	v_cmpx_gt_i64_e64 s[4:5], v[1:2]
	s_cbranch_execz .LBB0_4
; %bb.2:
	s_load_b32 s2, s[0:1], 0xc5c
	s_mov_b32 s17, 0
	s_lshr_b32 s19, s3, 16
	s_waitcnt lgkmcnt(0)
	s_and_b32 s2, s2, 0xffff
	s_delay_alu instid0(SALU_CYCLE_1)
	s_lshl_b32 s18, s2, 2
.LBB0_3:                                ; =>This Inner Loop Header: Depth=1
	v_add_co_u32 v3, vcc_lo, s6, v1
	v_add_co_ci_u32_e32 v4, vcc_lo, s7, v2, vcc_lo
	v_add_co_u32 v5, vcc_lo, s14, v1
	v_add_co_ci_u32_e32 v6, vcc_lo, s15, v2, vcc_lo
	v_add_co_u32 v1, vcc_lo, s18, v1
	global_load_b32 v7, v[3:4], off
	global_load_b32 v5, v[5:6], off
	v_add_co_ci_u32_e32 v2, vcc_lo, 0, v2, vcc_lo
	s_delay_alu instid0(VALU_DEP_1) | instskip(SKIP_1) | instid1(VALU_DEP_1)
	v_cmp_le_i64_e32 vcc_lo, s[4:5], v[1:2]
	v_cmp_lt_u64_e64 s2, 0xffff, v[1:2]
	s_or_b32 s2, vcc_lo, s2
	s_delay_alu instid0(SALU_CYCLE_1) | instskip(NEXT) | instid1(SALU_CYCLE_1)
	s_and_b32 s2, exec_lo, s2
	s_or_b32 s17, s2, s17
	s_waitcnt vmcnt(1)
	v_lshrrev_b32_e32 v6, 8, v7
	s_waitcnt vmcnt(0)
	v_lshrrev_b32_e32 v8, 8, v5
	v_lshrrev_b32_e32 v9, 16, v7
	;; [unrolled: 1-line block ×5, first 2 shown]
	v_mad_u16 v6, v8, s19, v6
	v_mad_u16 v5, v5, s19, v7
	;; [unrolled: 1-line block ×3, first 2 shown]
	s_delay_alu instid0(VALU_DEP_4) | instskip(NEXT) | instid1(VALU_DEP_4)
	v_mad_u16 v7, v12, s19, v11
	v_and_b32_e32 v6, 0xff, v6
	s_delay_alu instid0(VALU_DEP_3) | instskip(NEXT) | instid1(VALU_DEP_3)
	v_and_b32_e32 v8, 0xff, v8
	v_lshlrev_b32_e32 v7, 24, v7
	s_delay_alu instid0(VALU_DEP_3) | instskip(NEXT) | instid1(VALU_DEP_3)
	v_perm_b32 v5, v6, v5, 0x6050400
	v_lshlrev_b32_e32 v6, 16, v8
	s_delay_alu instid0(VALU_DEP_1)
	v_or3_b32 v5, v5, v6, v7
	global_store_b32 v[3:4], v5, off
	s_and_not1_b32 exec_lo, exec_lo, s17
	s_cbranch_execnz .LBB0_3
.LBB0_4:
	s_or_b32 exec_lo, exec_lo, s16
	s_mov_b32 s2, 0
.LBB0_5:
	s_delay_alu instid0(SALU_CYCLE_1)
	s_and_not1_b32 vcc_lo, exec_lo, s2
	s_cbranch_vccnz .LBB0_25
; %bb.6:
	v_cmp_lt_i64_e64 s2, s[4:5], 1
	s_delay_alu instid0(VALU_DEP_1)
	s_and_b32 vcc_lo, exec_lo, s2
	s_cbranch_vccnz .LBB0_25
; %bb.7:
	s_load_b32 s0, s[0:1], 0xc5c
	v_add_co_u32 v15, s1, s12, v0
	s_delay_alu instid0(VALU_DEP_1) | instskip(SKIP_1) | instid1(VALU_DEP_3)
	v_add_co_ci_u32_e64 v16, null, s13, 0, s1
	v_cmp_gt_u64_e64 s1, 0x10000, s[4:5]
	v_add_co_u32 v1, vcc_lo, s8, v15
	s_delay_alu instid0(VALU_DEP_3)
	v_add_co_ci_u32_e32 v2, vcc_lo, s9, v16, vcc_lo
	v_add_co_u32 v3, vcc_lo, s10, v15
	v_add_co_ci_u32_e32 v4, vcc_lo, s11, v16, vcc_lo
	s_waitcnt lgkmcnt(0)
	s_and_b32 s0, s0, 0xffff
	s_and_b32 s1, s1, exec_lo
	s_mul_i32 s2, s0, 3
	s_cselect_b32 s7, s5, 0
	s_cselect_b32 s6, s4, 0x10000
	s_lshl_b32 s1, s0, 1
	s_lshl_b32 s14, s0, 2
	s_add_u32 s15, s12, s2
	s_addc_u32 s16, s13, 0
	v_add_co_u32 v7, s15, s15, v0
	s_delay_alu instid0(VALU_DEP_1) | instskip(SKIP_1) | instid1(VALU_DEP_2)
	v_add_co_ci_u32_e64 v8, null, s16, 0, s15
	s_add_u32 s12, s12, s1
	v_add_co_u32 v5, vcc_lo, s8, v7
	s_addc_u32 s13, s13, 0
	v_add_co_u32 v13, s12, s12, v0
	v_add_co_ci_u32_e32 v6, vcc_lo, s9, v8, vcc_lo
	v_add_co_u32 v7, vcc_lo, s10, v7
	v_add_co_ci_u32_e64 v14, null, s13, 0, s12
	v_add_co_ci_u32_e32 v8, vcc_lo, s11, v8, vcc_lo
	v_add_co_u32 v11, vcc_lo, s8, v13
	s_delay_alu instid0(VALU_DEP_3)
	v_add_co_ci_u32_e32 v12, vcc_lo, s9, v14, vcc_lo
	v_add_co_u32 v13, vcc_lo, s10, v13
	v_add_co_ci_u32_e32 v14, vcc_lo, s11, v14, vcc_lo
	v_add_co_u32 v19, vcc_lo, v15, s0
	v_add_co_ci_u32_e32 v20, vcc_lo, 0, v16, vcc_lo
	v_add_co_u32 v9, s2, s2, v0
	s_delay_alu instid0(VALU_DEP_3) | instskip(NEXT) | instid1(VALU_DEP_3)
	v_add_co_u32 v17, vcc_lo, s8, v19
	v_add_co_ci_u32_e32 v18, vcc_lo, s9, v20, vcc_lo
	v_add_co_u32 v15, s1, s1, v0
	v_add_co_u32 v19, vcc_lo, s10, v19
	v_add_co_u32 v21, s0, v0, s0
	v_add_co_ci_u32_e64 v10, null, 0, 0, s2
	v_add_co_ci_u32_e64 v16, null, 0, 0, s1
	v_add_co_ci_u32_e32 v20, vcc_lo, s11, v20, vcc_lo
	v_add_co_ci_u32_e64 v22, null, 0, 0, s0
	s_mov_b64 s[8:9], 0
	s_lshr_b32 s10, s3, 16
	s_branch .LBB0_9
.LBB0_8:                                ;   in Loop: Header=BB0_9 Depth=1
	s_or_b32 exec_lo, exec_lo, s0
	s_add_u32 s8, s8, s14
	s_addc_u32 s9, s9, 0
	s_delay_alu instid0(SALU_CYCLE_1) | instskip(SKIP_1) | instid1(VALU_DEP_1)
	v_cmp_ge_i64_e64 s0, s[8:9], s[4:5]
	v_cmp_lt_u64_e64 s1, 0xffff, s[8:9]
	s_or_b32 s0, s0, s1
	s_delay_alu instid0(SALU_CYCLE_1)
	s_and_b32 vcc_lo, exec_lo, s0
	s_cbranch_vccnz .LBB0_25
.LBB0_9:                                ; =>This Inner Loop Header: Depth=1
	s_waitcnt vmcnt(0)
	v_add_co_u32 v25, s0, v0, s8
	s_delay_alu instid0(VALU_DEP_1) | instskip(SKIP_1) | instid1(VALU_DEP_2)
	v_add_co_ci_u32_e64 v26, null, 0, s9, s0
	v_dual_mov_b32 v24, 0 :: v_dual_mov_b32 v23, 0
	v_cmp_gt_u64_e32 vcc_lo, s[6:7], v[25:26]
	v_mov_b32_e32 v25, 0
	s_and_saveexec_b32 s1, vcc_lo
	s_cbranch_execz .LBB0_11
; %bb.10:                               ;   in Loop: Header=BB0_9 Depth=1
	v_add_co_u32 v25, s0, v1, s8
	s_delay_alu instid0(VALU_DEP_1) | instskip(SKIP_1) | instid1(VALU_DEP_1)
	v_add_co_ci_u32_e64 v26, s0, s9, v2, s0
	v_add_co_u32 v27, s0, v3, s8
	v_add_co_ci_u32_e64 v28, s0, s9, v4, s0
	global_load_u8 v23, v[25:26], off
	global_load_u8 v25, v[27:28], off
.LBB0_11:                               ;   in Loop: Header=BB0_9 Depth=1
	s_or_b32 exec_lo, exec_lo, s1
	v_add_co_u32 v26, s0, v21, s8
	s_delay_alu instid0(VALU_DEP_1) | instskip(NEXT) | instid1(VALU_DEP_1)
	v_add_co_ci_u32_e64 v27, s0, s9, v22, s0
	v_cmp_gt_u64_e64 s0, s[6:7], v[26:27]
	s_delay_alu instid0(VALU_DEP_1)
	s_and_saveexec_b32 s2, s0
	s_cbranch_execz .LBB0_13
; %bb.12:                               ;   in Loop: Header=BB0_9 Depth=1
	v_add_co_u32 v26, s1, v17, s8
	s_delay_alu instid0(VALU_DEP_1) | instskip(SKIP_2) | instid1(VALU_DEP_1)
	v_add_co_ci_u32_e64 v27, s1, s9, v18, s1
	global_load_u8 v28, v[26:27], off
	v_add_co_u32 v26, s1, v19, s8
	v_add_co_ci_u32_e64 v27, s1, s9, v20, s1
	global_load_u8 v24, v[26:27], off
	s_waitcnt vmcnt(1)
	v_lshl_or_b32 v23, v28, 8, v23
.LBB0_13:                               ;   in Loop: Header=BB0_9 Depth=1
	s_or_b32 exec_lo, exec_lo, s2
	v_add_co_u32 v26, s1, v15, s8
	s_delay_alu instid0(VALU_DEP_1) | instskip(NEXT) | instid1(VALU_DEP_1)
	v_add_co_ci_u32_e64 v27, s1, s9, v16, s1
	v_cmp_gt_u64_e64 s1, s[6:7], v[26:27]
	v_dual_mov_b32 v26, 0 :: v_dual_mov_b32 v27, 0
	s_delay_alu instid0(VALU_DEP_2)
	s_and_saveexec_b32 s3, s1
	s_cbranch_execz .LBB0_15
; %bb.14:                               ;   in Loop: Header=BB0_9 Depth=1
	v_add_co_u32 v27, s2, v11, s8
	s_delay_alu instid0(VALU_DEP_1) | instskip(SKIP_2) | instid1(VALU_DEP_1)
	v_add_co_ci_u32_e64 v28, s2, s9, v12, s2
	global_load_u8 v29, v[27:28], off
	v_add_co_u32 v27, s2, v13, s8
	v_add_co_ci_u32_e64 v28, s2, s9, v14, s2
	global_load_u8 v27, v[27:28], off
	s_waitcnt vmcnt(1)
	v_lshl_or_b32 v23, v29, 16, v23
.LBB0_15:                               ;   in Loop: Header=BB0_9 Depth=1
	s_or_b32 exec_lo, exec_lo, s3
	v_add_co_u32 v28, s2, v9, s8
	s_delay_alu instid0(VALU_DEP_1) | instskip(NEXT) | instid1(VALU_DEP_1)
	v_add_co_ci_u32_e64 v29, s2, s9, v10, s2
	v_cmp_gt_u64_e64 s2, s[6:7], v[28:29]
	s_delay_alu instid0(VALU_DEP_1)
	s_and_saveexec_b32 s11, s2
	s_cbranch_execnz .LBB0_20
; %bb.16:                               ;   in Loop: Header=BB0_9 Depth=1
	s_or_b32 exec_lo, exec_lo, s11
	s_and_saveexec_b32 s3, vcc_lo
	s_cbranch_execnz .LBB0_21
.LBB0_17:                               ;   in Loop: Header=BB0_9 Depth=1
	s_or_b32 exec_lo, exec_lo, s3
	s_and_saveexec_b32 s3, s0
	s_cbranch_execnz .LBB0_22
.LBB0_18:                               ;   in Loop: Header=BB0_9 Depth=1
	s_or_b32 exec_lo, exec_lo, s3
	s_and_saveexec_b32 s0, s1
	s_cbranch_execnz .LBB0_23
.LBB0_19:                               ;   in Loop: Header=BB0_9 Depth=1
	s_or_b32 exec_lo, exec_lo, s0
	s_and_saveexec_b32 s0, s2
	s_cbranch_execz .LBB0_8
	s_branch .LBB0_24
.LBB0_20:                               ;   in Loop: Header=BB0_9 Depth=1
	v_add_co_u32 v28, s3, v5, s8
	s_delay_alu instid0(VALU_DEP_1) | instskip(SKIP_2) | instid1(VALU_DEP_1)
	v_add_co_ci_u32_e64 v29, s3, s9, v6, s3
	global_load_u8 v30, v[28:29], off
	v_add_co_u32 v28, s3, v7, s8
	v_add_co_ci_u32_e64 v29, s3, s9, v8, s3
	global_load_u8 v26, v[28:29], off
	s_waitcnt vmcnt(1)
	v_lshl_or_b32 v23, v30, 24, v23
	s_or_b32 exec_lo, exec_lo, s11
	s_and_saveexec_b32 s3, vcc_lo
	s_cbranch_execz .LBB0_17
.LBB0_21:                               ;   in Loop: Header=BB0_9 Depth=1
	v_add_co_u32 v28, vcc_lo, v1, s8
	v_add_co_ci_u32_e32 v29, vcc_lo, s9, v2, vcc_lo
	s_waitcnt vmcnt(0)
	v_mad_u16 v25, v25, s10, v23
	global_store_b8 v[28:29], v25, off
	s_or_b32 exec_lo, exec_lo, s3
	s_and_saveexec_b32 s3, s0
	s_cbranch_execz .LBB0_18
.LBB0_22:                               ;   in Loop: Header=BB0_9 Depth=1
	s_waitcnt vmcnt(0)
	v_lshrrev_b32_e32 v25, 8, v23
	s_delay_alu instid0(VALU_DEP_1)
	v_mad_u16 v28, v24, s10, v25
	v_add_co_u32 v24, vcc_lo, v17, s8
	v_add_co_ci_u32_e32 v25, vcc_lo, s9, v18, vcc_lo
	global_store_b8 v[24:25], v28, off
	s_or_b32 exec_lo, exec_lo, s3
	s_and_saveexec_b32 s0, s1
	s_cbranch_execz .LBB0_19
.LBB0_23:                               ;   in Loop: Header=BB0_9 Depth=1
	s_waitcnt vmcnt(0)
	v_lshrrev_b32_e32 v24, 16, v23
	s_delay_alu instid0(VALU_DEP_1)
	v_mad_u16 v27, v27, s10, v24
	v_add_co_u32 v24, vcc_lo, v11, s8
	v_add_co_ci_u32_e32 v25, vcc_lo, s9, v12, vcc_lo
	global_store_b8 v[24:25], v27, off
	s_or_b32 exec_lo, exec_lo, s0
	s_and_saveexec_b32 s0, s2
	s_cbranch_execz .LBB0_8
.LBB0_24:                               ;   in Loop: Header=BB0_9 Depth=1
	s_waitcnt vmcnt(1)
	v_lshrrev_b32_e32 v23, 24, v23
	s_waitcnt vmcnt(0)
	s_delay_alu instid0(VALU_DEP_1)
	v_mad_u16 v25, v26, s10, v23
	v_add_co_u32 v23, vcc_lo, v5, s8
	v_add_co_ci_u32_e32 v24, vcc_lo, s9, v6, vcc_lo
	global_store_b8 v[23:24], v25, off
	s_branch .LBB0_8
.LBB0_25:
	s_nop 0
	s_sendmsg sendmsg(MSG_DEALLOC_VGPRS)
	s_endpgm
	.section	.rodata,"a",@progbits
	.p2align	6, 0x0
	.amdhsa_kernel _ZN2at6native12_GLOBAL__N_125multi_tensor_apply_kernelINS1_18TensorListMetadataILi2EEENS1_24BinaryOpListAlphaFunctorIhLi2ELi2ELi0EEEJSt4plusIhEhEEEvT_T0_DpT1_
		.amdhsa_group_segment_fixed_size 0
		.amdhsa_private_segment_fixed_size 0
		.amdhsa_kernarg_size 3408
		.amdhsa_user_sgpr_count 15
		.amdhsa_user_sgpr_dispatch_ptr 0
		.amdhsa_user_sgpr_queue_ptr 0
		.amdhsa_user_sgpr_kernarg_segment_ptr 1
		.amdhsa_user_sgpr_dispatch_id 0
		.amdhsa_user_sgpr_private_segment_size 0
		.amdhsa_wavefront_size32 1
		.amdhsa_uses_dynamic_stack 0
		.amdhsa_enable_private_segment 0
		.amdhsa_system_sgpr_workgroup_id_x 1
		.amdhsa_system_sgpr_workgroup_id_y 0
		.amdhsa_system_sgpr_workgroup_id_z 0
		.amdhsa_system_sgpr_workgroup_info 0
		.amdhsa_system_vgpr_workitem_id 0
		.amdhsa_next_free_vgpr 31
		.amdhsa_next_free_sgpr 20
		.amdhsa_reserve_vcc 1
		.amdhsa_float_round_mode_32 0
		.amdhsa_float_round_mode_16_64 0
		.amdhsa_float_denorm_mode_32 3
		.amdhsa_float_denorm_mode_16_64 3
		.amdhsa_dx10_clamp 1
		.amdhsa_ieee_mode 1
		.amdhsa_fp16_overflow 0
		.amdhsa_workgroup_processor_mode 1
		.amdhsa_memory_ordered 1
		.amdhsa_forward_progress 0
		.amdhsa_shared_vgpr_count 0
		.amdhsa_exception_fp_ieee_invalid_op 0
		.amdhsa_exception_fp_denorm_src 0
		.amdhsa_exception_fp_ieee_div_zero 0
		.amdhsa_exception_fp_ieee_overflow 0
		.amdhsa_exception_fp_ieee_underflow 0
		.amdhsa_exception_fp_ieee_inexact 0
		.amdhsa_exception_int_div_zero 0
	.end_amdhsa_kernel
	.section	.text._ZN2at6native12_GLOBAL__N_125multi_tensor_apply_kernelINS1_18TensorListMetadataILi2EEENS1_24BinaryOpListAlphaFunctorIhLi2ELi2ELi0EEEJSt4plusIhEhEEEvT_T0_DpT1_,"axG",@progbits,_ZN2at6native12_GLOBAL__N_125multi_tensor_apply_kernelINS1_18TensorListMetadataILi2EEENS1_24BinaryOpListAlphaFunctorIhLi2ELi2ELi0EEEJSt4plusIhEhEEEvT_T0_DpT1_,comdat
.Lfunc_end0:
	.size	_ZN2at6native12_GLOBAL__N_125multi_tensor_apply_kernelINS1_18TensorListMetadataILi2EEENS1_24BinaryOpListAlphaFunctorIhLi2ELi2ELi0EEEJSt4plusIhEhEEEvT_T0_DpT1_, .Lfunc_end0-_ZN2at6native12_GLOBAL__N_125multi_tensor_apply_kernelINS1_18TensorListMetadataILi2EEENS1_24BinaryOpListAlphaFunctorIhLi2ELi2ELi0EEEJSt4plusIhEhEEEvT_T0_DpT1_
                                        ; -- End function
	.section	.AMDGPU.csdata,"",@progbits
; Kernel info:
; codeLenInByte = 1564
; NumSgprs: 22
; NumVgprs: 31
; ScratchSize: 0
; MemoryBound: 0
; FloatMode: 240
; IeeeMode: 1
; LDSByteSize: 0 bytes/workgroup (compile time only)
; SGPRBlocks: 2
; VGPRBlocks: 3
; NumSGPRsForWavesPerEU: 22
; NumVGPRsForWavesPerEU: 31
; Occupancy: 16
; WaveLimiterHint : 0
; COMPUTE_PGM_RSRC2:SCRATCH_EN: 0
; COMPUTE_PGM_RSRC2:USER_SGPR: 15
; COMPUTE_PGM_RSRC2:TRAP_HANDLER: 0
; COMPUTE_PGM_RSRC2:TGID_X_EN: 1
; COMPUTE_PGM_RSRC2:TGID_Y_EN: 0
; COMPUTE_PGM_RSRC2:TGID_Z_EN: 0
; COMPUTE_PGM_RSRC2:TIDIG_COMP_CNT: 0
	.section	.text._ZN2at6native12_GLOBAL__N_125multi_tensor_apply_kernelINS1_18TensorListMetadataILi2EEENS1_24BinaryOpListAlphaFunctorIaLi2ELi2ELi0EEEJSt4plusIaEaEEEvT_T0_DpT1_,"axG",@progbits,_ZN2at6native12_GLOBAL__N_125multi_tensor_apply_kernelINS1_18TensorListMetadataILi2EEENS1_24BinaryOpListAlphaFunctorIaLi2ELi2ELi0EEEJSt4plusIaEaEEEvT_T0_DpT1_,comdat
	.globl	_ZN2at6native12_GLOBAL__N_125multi_tensor_apply_kernelINS1_18TensorListMetadataILi2EEENS1_24BinaryOpListAlphaFunctorIaLi2ELi2ELi0EEEJSt4plusIaEaEEEvT_T0_DpT1_ ; -- Begin function _ZN2at6native12_GLOBAL__N_125multi_tensor_apply_kernelINS1_18TensorListMetadataILi2EEENS1_24BinaryOpListAlphaFunctorIaLi2ELi2ELi0EEEJSt4plusIaEaEEEvT_T0_DpT1_
	.p2align	8
	.type	_ZN2at6native12_GLOBAL__N_125multi_tensor_apply_kernelINS1_18TensorListMetadataILi2EEENS1_24BinaryOpListAlphaFunctorIaLi2ELi2ELi0EEEJSt4plusIaEaEEEvT_T0_DpT1_,@function
_ZN2at6native12_GLOBAL__N_125multi_tensor_apply_kernelINS1_18TensorListMetadataILi2EEENS1_24BinaryOpListAlphaFunctorIaLi2ELi2ELi0EEEJSt4plusIaEaEEEvT_T0_DpT1_: ; @_ZN2at6native12_GLOBAL__N_125multi_tensor_apply_kernelINS1_18TensorListMetadataILi2EEENS1_24BinaryOpListAlphaFunctorIaLi2ELi2ELi0EEEJSt4plusIaEaEEEvT_T0_DpT1_
; %bb.0:
	v_mov_b32_e32 v1, s15
	s_add_u32 s2, s0, s15
	s_mul_hi_u32 s3, s15, 3
	s_mul_i32 s15, s15, 3
	s_addc_u32 s4, s1, 0
	global_load_u8 v1, v1, s[0:1] offset:1536
	s_add_u32 s2, s2, s15
	s_addc_u32 s3, s4, s3
	s_load_b32 s4, s[2:3], 0x740
	s_waitcnt lgkmcnt(0)
	s_ashr_i32 s5, s4, 31
	s_delay_alu instid0(SALU_CYCLE_1) | instskip(SKIP_2) | instid1(VALU_DEP_1)
	s_lshl_b64 s[12:13], s[4:5], 16
	s_waitcnt vmcnt(0)
	v_readfirstlane_b32 s2, v1
	s_lshl_b32 s2, s2, 3
	s_clause 0x3
	s_load_b64 s[8:9], s[0:1], s2 offset:0x0
	s_load_b64 s[10:11], s[0:1], s2 offset:0x200
	;; [unrolled: 1-line block ×3, first 2 shown]
	s_load_b32 s3, s[0:1], 0xc48
	s_waitcnt lgkmcnt(0)
	s_add_u32 s6, s8, s12
	s_addc_u32 s7, s9, s13
	s_add_u32 s14, s10, s12
	s_addc_u32 s15, s11, s13
	s_or_b64 s[4:5], s[16:17], s[6:7]
	s_delay_alu instid0(SALU_CYCLE_1) | instskip(NEXT) | instid1(SALU_CYCLE_1)
	s_or_b32 s2, s14, s4
	s_and_b32 s2, s2, 3
	s_sub_u32 s4, s16, s12
	s_subb_u32 s5, s17, s13
	s_cmp_eq_u32 s2, 0
	s_mov_b32 s2, -1
	s_cbranch_scc0 .LBB1_5
; %bb.1:
	v_dual_mov_b32 v2, 0 :: v_dual_lshlrev_b32 v1, 2, v0
	s_mov_b32 s16, exec_lo
	s_delay_alu instid0(VALU_DEP_1)
	v_cmpx_gt_i64_e64 s[4:5], v[1:2]
	s_cbranch_execz .LBB1_4
; %bb.2:
	s_load_b32 s2, s[0:1], 0xc5c
	s_mov_b32 s17, 0
	s_lshr_b32 s19, s3, 16
	s_waitcnt lgkmcnt(0)
	s_and_b32 s2, s2, 0xffff
	s_delay_alu instid0(SALU_CYCLE_1)
	s_lshl_b32 s18, s2, 2
.LBB1_3:                                ; =>This Inner Loop Header: Depth=1
	v_add_co_u32 v3, vcc_lo, s6, v1
	v_add_co_ci_u32_e32 v4, vcc_lo, s7, v2, vcc_lo
	v_add_co_u32 v5, vcc_lo, s14, v1
	v_add_co_ci_u32_e32 v6, vcc_lo, s15, v2, vcc_lo
	v_add_co_u32 v1, vcc_lo, s18, v1
	global_load_b32 v7, v[3:4], off
	global_load_b32 v5, v[5:6], off
	v_add_co_ci_u32_e32 v2, vcc_lo, 0, v2, vcc_lo
	s_delay_alu instid0(VALU_DEP_1) | instskip(SKIP_1) | instid1(VALU_DEP_1)
	v_cmp_le_i64_e32 vcc_lo, s[4:5], v[1:2]
	v_cmp_lt_u64_e64 s2, 0xffff, v[1:2]
	s_or_b32 s2, vcc_lo, s2
	s_delay_alu instid0(SALU_CYCLE_1) | instskip(NEXT) | instid1(SALU_CYCLE_1)
	s_and_b32 s2, exec_lo, s2
	s_or_b32 s17, s2, s17
	s_waitcnt vmcnt(1)
	v_lshrrev_b32_e32 v6, 8, v7
	s_waitcnt vmcnt(0)
	v_lshrrev_b32_e32 v8, 8, v5
	v_lshrrev_b32_e32 v9, 16, v7
	;; [unrolled: 1-line block ×5, first 2 shown]
	v_mad_u16 v6, v8, s19, v6
	v_mad_u16 v5, v5, s19, v7
	;; [unrolled: 1-line block ×3, first 2 shown]
	s_delay_alu instid0(VALU_DEP_4) | instskip(NEXT) | instid1(VALU_DEP_4)
	v_mad_u16 v7, v12, s19, v11
	v_and_b32_e32 v6, 0xff, v6
	s_delay_alu instid0(VALU_DEP_3) | instskip(NEXT) | instid1(VALU_DEP_3)
	v_and_b32_e32 v8, 0xff, v8
	v_lshlrev_b32_e32 v7, 24, v7
	s_delay_alu instid0(VALU_DEP_3) | instskip(NEXT) | instid1(VALU_DEP_3)
	v_perm_b32 v5, v6, v5, 0x6050400
	v_lshlrev_b32_e32 v6, 16, v8
	s_delay_alu instid0(VALU_DEP_1)
	v_or3_b32 v5, v5, v6, v7
	global_store_b32 v[3:4], v5, off
	s_and_not1_b32 exec_lo, exec_lo, s17
	s_cbranch_execnz .LBB1_3
.LBB1_4:
	s_or_b32 exec_lo, exec_lo, s16
	s_mov_b32 s2, 0
.LBB1_5:
	s_delay_alu instid0(SALU_CYCLE_1)
	s_and_not1_b32 vcc_lo, exec_lo, s2
	s_cbranch_vccnz .LBB1_25
; %bb.6:
	v_cmp_lt_i64_e64 s2, s[4:5], 1
	s_delay_alu instid0(VALU_DEP_1)
	s_and_b32 vcc_lo, exec_lo, s2
	s_cbranch_vccnz .LBB1_25
; %bb.7:
	s_load_b32 s0, s[0:1], 0xc5c
	v_add_co_u32 v15, s1, s12, v0
	s_delay_alu instid0(VALU_DEP_1) | instskip(SKIP_1) | instid1(VALU_DEP_3)
	v_add_co_ci_u32_e64 v16, null, s13, 0, s1
	v_cmp_gt_u64_e64 s1, 0x10000, s[4:5]
	v_add_co_u32 v1, vcc_lo, s8, v15
	s_delay_alu instid0(VALU_DEP_3)
	v_add_co_ci_u32_e32 v2, vcc_lo, s9, v16, vcc_lo
	v_add_co_u32 v3, vcc_lo, s10, v15
	v_add_co_ci_u32_e32 v4, vcc_lo, s11, v16, vcc_lo
	s_waitcnt lgkmcnt(0)
	s_and_b32 s0, s0, 0xffff
	s_and_b32 s1, s1, exec_lo
	s_mul_i32 s2, s0, 3
	s_cselect_b32 s7, s5, 0
	s_cselect_b32 s6, s4, 0x10000
	s_lshl_b32 s1, s0, 1
	s_lshl_b32 s14, s0, 2
	s_add_u32 s15, s12, s2
	s_addc_u32 s16, s13, 0
	v_add_co_u32 v7, s15, s15, v0
	s_delay_alu instid0(VALU_DEP_1) | instskip(SKIP_1) | instid1(VALU_DEP_2)
	v_add_co_ci_u32_e64 v8, null, s16, 0, s15
	s_add_u32 s12, s12, s1
	v_add_co_u32 v5, vcc_lo, s8, v7
	s_addc_u32 s13, s13, 0
	v_add_co_u32 v13, s12, s12, v0
	v_add_co_ci_u32_e32 v6, vcc_lo, s9, v8, vcc_lo
	v_add_co_u32 v7, vcc_lo, s10, v7
	v_add_co_ci_u32_e64 v14, null, s13, 0, s12
	v_add_co_ci_u32_e32 v8, vcc_lo, s11, v8, vcc_lo
	v_add_co_u32 v11, vcc_lo, s8, v13
	s_delay_alu instid0(VALU_DEP_3)
	v_add_co_ci_u32_e32 v12, vcc_lo, s9, v14, vcc_lo
	v_add_co_u32 v13, vcc_lo, s10, v13
	v_add_co_ci_u32_e32 v14, vcc_lo, s11, v14, vcc_lo
	v_add_co_u32 v19, vcc_lo, v15, s0
	v_add_co_ci_u32_e32 v20, vcc_lo, 0, v16, vcc_lo
	v_add_co_u32 v9, s2, s2, v0
	s_delay_alu instid0(VALU_DEP_3) | instskip(NEXT) | instid1(VALU_DEP_3)
	v_add_co_u32 v17, vcc_lo, s8, v19
	v_add_co_ci_u32_e32 v18, vcc_lo, s9, v20, vcc_lo
	v_add_co_u32 v15, s1, s1, v0
	v_add_co_u32 v19, vcc_lo, s10, v19
	v_add_co_u32 v21, s0, v0, s0
	v_add_co_ci_u32_e64 v10, null, 0, 0, s2
	v_add_co_ci_u32_e64 v16, null, 0, 0, s1
	v_add_co_ci_u32_e32 v20, vcc_lo, s11, v20, vcc_lo
	v_add_co_ci_u32_e64 v22, null, 0, 0, s0
	s_mov_b64 s[8:9], 0
	s_lshr_b32 s10, s3, 16
	s_branch .LBB1_9
.LBB1_8:                                ;   in Loop: Header=BB1_9 Depth=1
	s_or_b32 exec_lo, exec_lo, s0
	s_add_u32 s8, s8, s14
	s_addc_u32 s9, s9, 0
	s_delay_alu instid0(SALU_CYCLE_1) | instskip(SKIP_1) | instid1(VALU_DEP_1)
	v_cmp_ge_i64_e64 s0, s[8:9], s[4:5]
	v_cmp_lt_u64_e64 s1, 0xffff, s[8:9]
	s_or_b32 s0, s0, s1
	s_delay_alu instid0(SALU_CYCLE_1)
	s_and_b32 vcc_lo, exec_lo, s0
	s_cbranch_vccnz .LBB1_25
.LBB1_9:                                ; =>This Inner Loop Header: Depth=1
	s_waitcnt vmcnt(0)
	v_add_co_u32 v25, s0, v0, s8
	s_delay_alu instid0(VALU_DEP_1) | instskip(SKIP_1) | instid1(VALU_DEP_2)
	v_add_co_ci_u32_e64 v26, null, 0, s9, s0
	v_dual_mov_b32 v24, 0 :: v_dual_mov_b32 v23, 0
	v_cmp_gt_u64_e32 vcc_lo, s[6:7], v[25:26]
	v_mov_b32_e32 v25, 0
	s_and_saveexec_b32 s1, vcc_lo
	s_cbranch_execz .LBB1_11
; %bb.10:                               ;   in Loop: Header=BB1_9 Depth=1
	v_add_co_u32 v25, s0, v1, s8
	s_delay_alu instid0(VALU_DEP_1) | instskip(SKIP_1) | instid1(VALU_DEP_1)
	v_add_co_ci_u32_e64 v26, s0, s9, v2, s0
	v_add_co_u32 v27, s0, v3, s8
	v_add_co_ci_u32_e64 v28, s0, s9, v4, s0
	global_load_u8 v23, v[25:26], off
	global_load_u8 v25, v[27:28], off
.LBB1_11:                               ;   in Loop: Header=BB1_9 Depth=1
	s_or_b32 exec_lo, exec_lo, s1
	v_add_co_u32 v26, s0, v21, s8
	s_delay_alu instid0(VALU_DEP_1) | instskip(NEXT) | instid1(VALU_DEP_1)
	v_add_co_ci_u32_e64 v27, s0, s9, v22, s0
	v_cmp_gt_u64_e64 s0, s[6:7], v[26:27]
	s_delay_alu instid0(VALU_DEP_1)
	s_and_saveexec_b32 s2, s0
	s_cbranch_execz .LBB1_13
; %bb.12:                               ;   in Loop: Header=BB1_9 Depth=1
	v_add_co_u32 v26, s1, v17, s8
	s_delay_alu instid0(VALU_DEP_1) | instskip(SKIP_2) | instid1(VALU_DEP_1)
	v_add_co_ci_u32_e64 v27, s1, s9, v18, s1
	global_load_u8 v28, v[26:27], off
	v_add_co_u32 v26, s1, v19, s8
	v_add_co_ci_u32_e64 v27, s1, s9, v20, s1
	global_load_u8 v24, v[26:27], off
	s_waitcnt vmcnt(1)
	v_lshl_or_b32 v23, v28, 8, v23
.LBB1_13:                               ;   in Loop: Header=BB1_9 Depth=1
	s_or_b32 exec_lo, exec_lo, s2
	v_add_co_u32 v26, s1, v15, s8
	s_delay_alu instid0(VALU_DEP_1) | instskip(NEXT) | instid1(VALU_DEP_1)
	v_add_co_ci_u32_e64 v27, s1, s9, v16, s1
	v_cmp_gt_u64_e64 s1, s[6:7], v[26:27]
	v_dual_mov_b32 v26, 0 :: v_dual_mov_b32 v27, 0
	s_delay_alu instid0(VALU_DEP_2)
	s_and_saveexec_b32 s3, s1
	s_cbranch_execz .LBB1_15
; %bb.14:                               ;   in Loop: Header=BB1_9 Depth=1
	v_add_co_u32 v27, s2, v11, s8
	s_delay_alu instid0(VALU_DEP_1) | instskip(SKIP_2) | instid1(VALU_DEP_1)
	v_add_co_ci_u32_e64 v28, s2, s9, v12, s2
	global_load_u8 v29, v[27:28], off
	v_add_co_u32 v27, s2, v13, s8
	v_add_co_ci_u32_e64 v28, s2, s9, v14, s2
	global_load_u8 v27, v[27:28], off
	s_waitcnt vmcnt(1)
	v_lshl_or_b32 v23, v29, 16, v23
.LBB1_15:                               ;   in Loop: Header=BB1_9 Depth=1
	s_or_b32 exec_lo, exec_lo, s3
	v_add_co_u32 v28, s2, v9, s8
	s_delay_alu instid0(VALU_DEP_1) | instskip(NEXT) | instid1(VALU_DEP_1)
	v_add_co_ci_u32_e64 v29, s2, s9, v10, s2
	v_cmp_gt_u64_e64 s2, s[6:7], v[28:29]
	s_delay_alu instid0(VALU_DEP_1)
	s_and_saveexec_b32 s11, s2
	s_cbranch_execnz .LBB1_20
; %bb.16:                               ;   in Loop: Header=BB1_9 Depth=1
	s_or_b32 exec_lo, exec_lo, s11
	s_and_saveexec_b32 s3, vcc_lo
	s_cbranch_execnz .LBB1_21
.LBB1_17:                               ;   in Loop: Header=BB1_9 Depth=1
	s_or_b32 exec_lo, exec_lo, s3
	s_and_saveexec_b32 s3, s0
	s_cbranch_execnz .LBB1_22
.LBB1_18:                               ;   in Loop: Header=BB1_9 Depth=1
	s_or_b32 exec_lo, exec_lo, s3
	s_and_saveexec_b32 s0, s1
	s_cbranch_execnz .LBB1_23
.LBB1_19:                               ;   in Loop: Header=BB1_9 Depth=1
	s_or_b32 exec_lo, exec_lo, s0
	s_and_saveexec_b32 s0, s2
	s_cbranch_execz .LBB1_8
	s_branch .LBB1_24
.LBB1_20:                               ;   in Loop: Header=BB1_9 Depth=1
	v_add_co_u32 v28, s3, v5, s8
	s_delay_alu instid0(VALU_DEP_1) | instskip(SKIP_2) | instid1(VALU_DEP_1)
	v_add_co_ci_u32_e64 v29, s3, s9, v6, s3
	global_load_u8 v30, v[28:29], off
	v_add_co_u32 v28, s3, v7, s8
	v_add_co_ci_u32_e64 v29, s3, s9, v8, s3
	global_load_u8 v26, v[28:29], off
	s_waitcnt vmcnt(1)
	v_lshl_or_b32 v23, v30, 24, v23
	s_or_b32 exec_lo, exec_lo, s11
	s_and_saveexec_b32 s3, vcc_lo
	s_cbranch_execz .LBB1_17
.LBB1_21:                               ;   in Loop: Header=BB1_9 Depth=1
	v_add_co_u32 v28, vcc_lo, v1, s8
	v_add_co_ci_u32_e32 v29, vcc_lo, s9, v2, vcc_lo
	s_waitcnt vmcnt(0)
	v_mad_u16 v25, v25, s10, v23
	global_store_b8 v[28:29], v25, off
	s_or_b32 exec_lo, exec_lo, s3
	s_and_saveexec_b32 s3, s0
	s_cbranch_execz .LBB1_18
.LBB1_22:                               ;   in Loop: Header=BB1_9 Depth=1
	s_waitcnt vmcnt(0)
	v_lshrrev_b32_e32 v25, 8, v23
	s_delay_alu instid0(VALU_DEP_1)
	v_mad_u16 v28, v24, s10, v25
	v_add_co_u32 v24, vcc_lo, v17, s8
	v_add_co_ci_u32_e32 v25, vcc_lo, s9, v18, vcc_lo
	global_store_b8 v[24:25], v28, off
	s_or_b32 exec_lo, exec_lo, s3
	s_and_saveexec_b32 s0, s1
	s_cbranch_execz .LBB1_19
.LBB1_23:                               ;   in Loop: Header=BB1_9 Depth=1
	s_waitcnt vmcnt(0)
	v_lshrrev_b32_e32 v24, 16, v23
	s_delay_alu instid0(VALU_DEP_1)
	v_mad_u16 v27, v27, s10, v24
	v_add_co_u32 v24, vcc_lo, v11, s8
	v_add_co_ci_u32_e32 v25, vcc_lo, s9, v12, vcc_lo
	global_store_b8 v[24:25], v27, off
	s_or_b32 exec_lo, exec_lo, s0
	s_and_saveexec_b32 s0, s2
	s_cbranch_execz .LBB1_8
.LBB1_24:                               ;   in Loop: Header=BB1_9 Depth=1
	s_waitcnt vmcnt(1)
	v_lshrrev_b32_e32 v23, 24, v23
	s_waitcnt vmcnt(0)
	s_delay_alu instid0(VALU_DEP_1)
	v_mad_u16 v25, v26, s10, v23
	v_add_co_u32 v23, vcc_lo, v5, s8
	v_add_co_ci_u32_e32 v24, vcc_lo, s9, v6, vcc_lo
	global_store_b8 v[23:24], v25, off
	s_branch .LBB1_8
.LBB1_25:
	s_nop 0
	s_sendmsg sendmsg(MSG_DEALLOC_VGPRS)
	s_endpgm
	.section	.rodata,"a",@progbits
	.p2align	6, 0x0
	.amdhsa_kernel _ZN2at6native12_GLOBAL__N_125multi_tensor_apply_kernelINS1_18TensorListMetadataILi2EEENS1_24BinaryOpListAlphaFunctorIaLi2ELi2ELi0EEEJSt4plusIaEaEEEvT_T0_DpT1_
		.amdhsa_group_segment_fixed_size 0
		.amdhsa_private_segment_fixed_size 0
		.amdhsa_kernarg_size 3408
		.amdhsa_user_sgpr_count 15
		.amdhsa_user_sgpr_dispatch_ptr 0
		.amdhsa_user_sgpr_queue_ptr 0
		.amdhsa_user_sgpr_kernarg_segment_ptr 1
		.amdhsa_user_sgpr_dispatch_id 0
		.amdhsa_user_sgpr_private_segment_size 0
		.amdhsa_wavefront_size32 1
		.amdhsa_uses_dynamic_stack 0
		.amdhsa_enable_private_segment 0
		.amdhsa_system_sgpr_workgroup_id_x 1
		.amdhsa_system_sgpr_workgroup_id_y 0
		.amdhsa_system_sgpr_workgroup_id_z 0
		.amdhsa_system_sgpr_workgroup_info 0
		.amdhsa_system_vgpr_workitem_id 0
		.amdhsa_next_free_vgpr 31
		.amdhsa_next_free_sgpr 20
		.amdhsa_reserve_vcc 1
		.amdhsa_float_round_mode_32 0
		.amdhsa_float_round_mode_16_64 0
		.amdhsa_float_denorm_mode_32 3
		.amdhsa_float_denorm_mode_16_64 3
		.amdhsa_dx10_clamp 1
		.amdhsa_ieee_mode 1
		.amdhsa_fp16_overflow 0
		.amdhsa_workgroup_processor_mode 1
		.amdhsa_memory_ordered 1
		.amdhsa_forward_progress 0
		.amdhsa_shared_vgpr_count 0
		.amdhsa_exception_fp_ieee_invalid_op 0
		.amdhsa_exception_fp_denorm_src 0
		.amdhsa_exception_fp_ieee_div_zero 0
		.amdhsa_exception_fp_ieee_overflow 0
		.amdhsa_exception_fp_ieee_underflow 0
		.amdhsa_exception_fp_ieee_inexact 0
		.amdhsa_exception_int_div_zero 0
	.end_amdhsa_kernel
	.section	.text._ZN2at6native12_GLOBAL__N_125multi_tensor_apply_kernelINS1_18TensorListMetadataILi2EEENS1_24BinaryOpListAlphaFunctorIaLi2ELi2ELi0EEEJSt4plusIaEaEEEvT_T0_DpT1_,"axG",@progbits,_ZN2at6native12_GLOBAL__N_125multi_tensor_apply_kernelINS1_18TensorListMetadataILi2EEENS1_24BinaryOpListAlphaFunctorIaLi2ELi2ELi0EEEJSt4plusIaEaEEEvT_T0_DpT1_,comdat
.Lfunc_end1:
	.size	_ZN2at6native12_GLOBAL__N_125multi_tensor_apply_kernelINS1_18TensorListMetadataILi2EEENS1_24BinaryOpListAlphaFunctorIaLi2ELi2ELi0EEEJSt4plusIaEaEEEvT_T0_DpT1_, .Lfunc_end1-_ZN2at6native12_GLOBAL__N_125multi_tensor_apply_kernelINS1_18TensorListMetadataILi2EEENS1_24BinaryOpListAlphaFunctorIaLi2ELi2ELi0EEEJSt4plusIaEaEEEvT_T0_DpT1_
                                        ; -- End function
	.section	.AMDGPU.csdata,"",@progbits
; Kernel info:
; codeLenInByte = 1564
; NumSgprs: 22
; NumVgprs: 31
; ScratchSize: 0
; MemoryBound: 0
; FloatMode: 240
; IeeeMode: 1
; LDSByteSize: 0 bytes/workgroup (compile time only)
; SGPRBlocks: 2
; VGPRBlocks: 3
; NumSGPRsForWavesPerEU: 22
; NumVGPRsForWavesPerEU: 31
; Occupancy: 16
; WaveLimiterHint : 0
; COMPUTE_PGM_RSRC2:SCRATCH_EN: 0
; COMPUTE_PGM_RSRC2:USER_SGPR: 15
; COMPUTE_PGM_RSRC2:TRAP_HANDLER: 0
; COMPUTE_PGM_RSRC2:TGID_X_EN: 1
; COMPUTE_PGM_RSRC2:TGID_Y_EN: 0
; COMPUTE_PGM_RSRC2:TGID_Z_EN: 0
; COMPUTE_PGM_RSRC2:TIDIG_COMP_CNT: 0
	.section	.text._ZN2at6native12_GLOBAL__N_125multi_tensor_apply_kernelINS1_18TensorListMetadataILi2EEENS1_24BinaryOpListAlphaFunctorIiLi2ELi2ELi0EEEJSt4plusIiEiEEEvT_T0_DpT1_,"axG",@progbits,_ZN2at6native12_GLOBAL__N_125multi_tensor_apply_kernelINS1_18TensorListMetadataILi2EEENS1_24BinaryOpListAlphaFunctorIiLi2ELi2ELi0EEEJSt4plusIiEiEEEvT_T0_DpT1_,comdat
	.globl	_ZN2at6native12_GLOBAL__N_125multi_tensor_apply_kernelINS1_18TensorListMetadataILi2EEENS1_24BinaryOpListAlphaFunctorIiLi2ELi2ELi0EEEJSt4plusIiEiEEEvT_T0_DpT1_ ; -- Begin function _ZN2at6native12_GLOBAL__N_125multi_tensor_apply_kernelINS1_18TensorListMetadataILi2EEENS1_24BinaryOpListAlphaFunctorIiLi2ELi2ELi0EEEJSt4plusIiEiEEEvT_T0_DpT1_
	.p2align	8
	.type	_ZN2at6native12_GLOBAL__N_125multi_tensor_apply_kernelINS1_18TensorListMetadataILi2EEENS1_24BinaryOpListAlphaFunctorIiLi2ELi2ELi0EEEJSt4plusIiEiEEEvT_T0_DpT1_,@function
_ZN2at6native12_GLOBAL__N_125multi_tensor_apply_kernelINS1_18TensorListMetadataILi2EEENS1_24BinaryOpListAlphaFunctorIiLi2ELi2ELi0EEEJSt4plusIiEiEEEvT_T0_DpT1_: ; @_ZN2at6native12_GLOBAL__N_125multi_tensor_apply_kernelINS1_18TensorListMetadataILi2EEENS1_24BinaryOpListAlphaFunctorIiLi2ELi2ELi0EEEJSt4plusIiEiEEEvT_T0_DpT1_
; %bb.0:
	v_mov_b32_e32 v1, s15
	s_add_u32 s2, s0, s15
	s_mul_hi_u32 s3, s15, 3
	s_mul_i32 s15, s15, 3
	s_addc_u32 s4, s1, 0
	global_load_u8 v1, v1, s[0:1] offset:1536
	s_add_u32 s2, s2, s15
	s_addc_u32 s3, s4, s3
	s_mov_b32 s19, 0
	s_load_b32 s2, s[2:3], 0x740
	s_mov_b32 s21, s19
	s_mov_b32 s23, s19
	s_waitcnt vmcnt(0)
	v_readfirstlane_b32 s3, v1
	s_delay_alu instid0(VALU_DEP_1)
	s_lshl_b32 s3, s3, 3
	s_clause 0x3
	s_load_b64 s[10:11], s[0:1], s3 offset:0x0
	s_load_b64 s[12:13], s[0:1], s3 offset:0x200
	;; [unrolled: 1-line block ×3, first 2 shown]
	s_load_b32 s14, s[0:1], 0xc4c
	s_waitcnt lgkmcnt(0)
	s_ashr_i32 s3, s2, 31
	s_delay_alu instid0(SALU_CYCLE_1) | instskip(NEXT) | instid1(SALU_CYCLE_1)
	s_lshl_b64 s[4:5], s[2:3], 18
	s_add_u32 s8, s10, s4
	s_addc_u32 s9, s11, s5
	s_and_b32 s18, s8, 15
	s_add_u32 s15, s12, s4
	s_addc_u32 s16, s13, s5
	s_and_b32 s20, s6, 3
	s_and_b32 s22, s15, 15
	s_or_b64 s[18:19], s[18:19], s[20:21]
	s_lshl_b64 s[2:3], s[2:3], 16
	s_or_b64 s[18:19], s[22:23], s[18:19]
	s_sub_u32 s6, s6, s2
	s_subb_u32 s7, s7, s3
	s_cmp_eq_u64 s[18:19], 0
	s_mov_b32 s2, -1
	s_cbranch_scc0 .LBB2_5
; %bb.1:
	v_dual_mov_b32 v2, 0 :: v_dual_lshlrev_b32 v1, 2, v0
	s_mov_b32 s17, exec_lo
	s_delay_alu instid0(VALU_DEP_1)
	v_cmpx_gt_i64_e64 s[6:7], v[1:2]
	s_cbranch_execz .LBB2_4
; %bb.2:
	s_load_b32 s2, s[0:1], 0xc5c
	v_lshlrev_b32_e32 v3, 4, v0
	s_mov_b32 s18, 0
	s_waitcnt lgkmcnt(0)
	s_and_b32 s2, s2, 0xffff
	s_delay_alu instid0(SALU_CYCLE_1)
	v_add_lshl_u32 v1, v0, s2, 2
	s_lshl_b32 s19, s2, 2
	s_lshl_b32 s20, s2, 4
	s_set_inst_prefetch_distance 0x1
	.p2align	6
.LBB2_3:                                ; =>This Inner Loop Header: Depth=1
	v_add_co_u32 v15, s2, s8, v3
	s_delay_alu instid0(VALU_DEP_1) | instskip(SKIP_1) | instid1(VALU_DEP_1)
	v_add_co_ci_u32_e64 v16, null, s9, 0, s2
	v_add_co_u32 v8, s2, s15, v3
	v_add_co_ci_u32_e64 v9, null, s16, 0, s2
	global_load_b128 v[4:7], v[15:16], off
	global_load_b128 v[8:11], v[8:9], off
	v_cmp_le_i64_e32 vcc_lo, s[6:7], v[1:2]
	v_cmp_lt_u64_e64 s2, 0xffff, v[1:2]
	v_add_co_u32 v1, s3, v1, s19
	s_delay_alu instid0(VALU_DEP_1) | instskip(NEXT) | instid1(VALU_DEP_3)
	v_add_co_ci_u32_e64 v2, s3, 0, v2, s3
	s_or_b32 s2, vcc_lo, s2
	s_add_u32 s8, s8, s20
	s_addc_u32 s9, s9, 0
	s_add_u32 s15, s15, s20
	s_addc_u32 s16, s16, 0
	s_and_b32 s2, exec_lo, s2
	s_delay_alu instid0(SALU_CYCLE_1) | instskip(SKIP_3) | instid1(VALU_DEP_1)
	s_or_b32 s18, s2, s18
	s_waitcnt vmcnt(1)
	v_mov_b32_e32 v12, v7
	s_waitcnt vmcnt(0)
	v_mad_u64_u32 v[17:18], null, v11, s14, v[12:13]
	v_mad_u64_u32 v[11:12], null, v8, s14, v[4:5]
	;; [unrolled: 1-line block ×4, first 2 shown]
	s_delay_alu instid0(VALU_DEP_4)
	v_mov_b32_e32 v14, v17
	global_store_b128 v[15:16], v[11:14], off
	s_and_not1_b32 exec_lo, exec_lo, s18
	s_cbranch_execnz .LBB2_3
.LBB2_4:
	s_set_inst_prefetch_distance 0x2
	s_or_b32 exec_lo, exec_lo, s17
	s_mov_b32 s2, 0
.LBB2_5:
	s_delay_alu instid0(SALU_CYCLE_1)
	s_and_not1_b32 vcc_lo, exec_lo, s2
	s_cbranch_vccnz .LBB2_25
; %bb.6:
	v_cmp_lt_i64_e64 s2, s[6:7], 1
	s_delay_alu instid0(VALU_DEP_1)
	s_and_b32 vcc_lo, exec_lo, s2
	s_cbranch_vccnz .LBB2_25
; %bb.7:
	s_load_b32 s0, s[0:1], 0xc5c
	v_dual_mov_b32 v2, 0 :: v_dual_lshlrev_b32 v1, 2, v0
	v_cmp_gt_u64_e64 s1, 0x10000, s[6:7]
	s_delay_alu instid0(VALU_DEP_2) | instskip(NEXT) | instid1(VALU_DEP_1)
	v_add_co_u32 v5, s2, s10, v1
	v_add_co_ci_u32_e64 v6, null, s11, 0, s2
	v_add_co_u32 v7, s2, s12, v1
	s_delay_alu instid0(VALU_DEP_1)
	v_add_co_ci_u32_e64 v8, null, s13, 0, s2
	s_waitcnt lgkmcnt(0)
	s_and_b32 s0, s0, 0xffff
	s_and_b32 s1, s1, exec_lo
	v_mad_u64_u32 v[3:4], null, s0, 12, v[1:2]
	s_cselect_b32 s9, s7, 0
	s_cselect_b32 s8, s6, 0x10000
	s_lshl_b32 s3, s0, 3
	s_mul_i32 s2, s0, 3
	v_add_co_u32 v1, s3, s3, v1
	s_delay_alu instid0(VALU_DEP_2) | instskip(NEXT) | instid1(VALU_DEP_3)
	v_add_co_u32 v9, vcc_lo, s10, v3
	v_add_co_ci_u32_e32 v10, vcc_lo, s11, v4, vcc_lo
	v_add_co_u32 v13, s2, s2, v0
	v_add_co_u32 v11, vcc_lo, s12, v3
	v_add_co_ci_u32_e64 v2, null, 0, 0, s3
	v_add_co_ci_u32_e64 v14, null, 0, 0, s2
	v_add_co_u32 v17, s2, v0, s0
	v_add_co_ci_u32_e32 v12, vcc_lo, s13, v4, vcc_lo
	v_add_co_u32 v15, vcc_lo, s10, v1
	v_add_co_ci_u32_e32 v16, vcc_lo, s11, v2, vcc_lo
	v_add_co_u32 v18, vcc_lo, s12, v1
	v_lshlrev_b32_e32 v1, 2, v17
	s_lshl_b32 s1, s0, 1
	v_add_co_ci_u32_e32 v19, vcc_lo, s13, v2, vcc_lo
	v_add_co_u32 v21, s1, s1, v0
	s_delay_alu instid0(VALU_DEP_1) | instskip(SKIP_1) | instid1(VALU_DEP_1)
	v_add_co_ci_u32_e64 v22, null, 0, 0, s1
	v_add_co_u32 v23, s1, s10, v1
	v_add_co_ci_u32_e64 v24, null, s11, 0, s1
	v_add_co_u32 v25, s1, s12, v1
	v_add_co_ci_u32_e64 v20, null, 0, 0, s2
	v_add_co_ci_u32_e64 v26, null, s13, 0, s1
	s_lshl_b32 s12, s0, 2
	s_lshl_b32 s13, s0, 4
	s_mov_b64 s[10:11], 0
	s_branch .LBB2_9
.LBB2_8:                                ;   in Loop: Header=BB2_9 Depth=1
	s_or_b32 exec_lo, exec_lo, s0
	v_add_co_u32 v5, vcc_lo, v5, s13
	v_add_co_ci_u32_e32 v6, vcc_lo, 0, v6, vcc_lo
	v_add_co_u32 v7, vcc_lo, v7, s13
	v_add_co_ci_u32_e32 v8, vcc_lo, 0, v8, vcc_lo
	;; [unrolled: 2-line block ×5, first 2 shown]
	s_add_u32 s10, s10, s12
	v_add_co_u32 v18, vcc_lo, v18, s13
	s_addc_u32 s11, s11, 0
	v_add_co_ci_u32_e32 v19, vcc_lo, 0, v19, vcc_lo
	v_cmp_ge_i64_e64 s0, s[10:11], s[6:7]
	v_cmp_lt_u64_e64 s1, 0xffff, s[10:11]
	v_add_co_u32 v23, vcc_lo, v23, s13
	v_add_co_ci_u32_e32 v24, vcc_lo, 0, v24, vcc_lo
	v_add_co_u32 v25, vcc_lo, v25, s13
	v_add_co_ci_u32_e32 v26, vcc_lo, 0, v26, vcc_lo
	s_or_b32 s0, s0, s1
	s_delay_alu instid0(SALU_CYCLE_1)
	s_and_b32 vcc_lo, exec_lo, s0
	s_cbranch_vccnz .LBB2_25
.LBB2_9:                                ; =>This Inner Loop Header: Depth=1
	s_waitcnt vmcnt(1)
	v_add_co_u32 v1, s0, v0, s10
	s_delay_alu instid0(VALU_DEP_1) | instskip(SKIP_2) | instid1(VALU_DEP_2)
	v_add_co_ci_u32_e64 v2, null, 0, s11, s0
	s_waitcnt vmcnt(0)
	v_mov_b32_e32 v27, 0
	v_cmp_gt_u64_e32 vcc_lo, s[8:9], v[1:2]
	v_mov_b32_e32 v1, 0
	s_and_saveexec_b32 s1, vcc_lo
	s_cbranch_execz .LBB2_11
; %bb.10:                               ;   in Loop: Header=BB2_9 Depth=1
	v_add_co_u32 v1, s0, v5, s4
	s_delay_alu instid0(VALU_DEP_1) | instskip(SKIP_1) | instid1(VALU_DEP_1)
	v_add_co_ci_u32_e64 v2, s0, s5, v6, s0
	v_add_co_u32 v3, s0, v7, s4
	v_add_co_ci_u32_e64 v4, s0, s5, v8, s0
	global_load_b32 v1, v[1:2], off
	global_load_b32 v27, v[3:4], off
.LBB2_11:                               ;   in Loop: Header=BB2_9 Depth=1
	s_or_b32 exec_lo, exec_lo, s1
	v_add_co_u32 v3, s0, v17, s10
	s_delay_alu instid0(VALU_DEP_1) | instskip(SKIP_2) | instid1(VALU_DEP_3)
	v_add_co_ci_u32_e64 v4, s0, s11, v20, s0
	v_mov_b32_e32 v2, 0
	v_mov_b32_e32 v28, 0
	v_cmp_gt_u64_e64 s0, s[8:9], v[3:4]
	v_mov_b32_e32 v3, 0
	s_delay_alu instid0(VALU_DEP_2)
	s_and_saveexec_b32 s2, s0
	s_cbranch_execz .LBB2_13
; %bb.12:                               ;   in Loop: Header=BB2_9 Depth=1
	v_add_co_u32 v3, s1, v23, s4
	s_delay_alu instid0(VALU_DEP_1) | instskip(SKIP_1) | instid1(VALU_DEP_1)
	v_add_co_ci_u32_e64 v4, s1, s5, v24, s1
	v_add_co_u32 v28, s1, v25, s4
	v_add_co_ci_u32_e64 v29, s1, s5, v26, s1
	global_load_b32 v3, v[3:4], off
	global_load_b32 v28, v[28:29], off
.LBB2_13:                               ;   in Loop: Header=BB2_9 Depth=1
	s_or_b32 exec_lo, exec_lo, s2
	v_add_co_u32 v29, s1, v21, s10
	s_delay_alu instid0(VALU_DEP_1) | instskip(NEXT) | instid1(VALU_DEP_1)
	v_add_co_ci_u32_e64 v30, s1, s11, v22, s1
	v_cmp_gt_u64_e64 s1, s[8:9], v[29:30]
	v_mov_b32_e32 v29, 0
	s_delay_alu instid0(VALU_DEP_2)
	s_and_saveexec_b32 s3, s1
	s_cbranch_execz .LBB2_15
; %bb.14:                               ;   in Loop: Header=BB2_9 Depth=1
	v_add_co_u32 v29, s2, v15, s4
	s_delay_alu instid0(VALU_DEP_1) | instskip(SKIP_1) | instid1(VALU_DEP_1)
	v_add_co_ci_u32_e64 v30, s2, s5, v16, s2
	v_add_co_u32 v31, s2, v18, s4
	v_add_co_ci_u32_e64 v32, s2, s5, v19, s2
	global_load_b32 v2, v[29:30], off
	global_load_b32 v29, v[31:32], off
.LBB2_15:                               ;   in Loop: Header=BB2_9 Depth=1
	s_or_b32 exec_lo, exec_lo, s3
	v_add_co_u32 v30, s2, v13, s10
	s_delay_alu instid0(VALU_DEP_1) | instskip(SKIP_1) | instid1(VALU_DEP_2)
	v_add_co_ci_u32_e64 v31, s2, s11, v14, s2
	v_mov_b32_e32 v4, 0
	v_cmp_gt_u64_e64 s2, s[8:9], v[30:31]
	v_mov_b32_e32 v30, 0
	s_delay_alu instid0(VALU_DEP_2)
	s_and_saveexec_b32 s15, s2
	s_cbranch_execnz .LBB2_20
; %bb.16:                               ;   in Loop: Header=BB2_9 Depth=1
	s_or_b32 exec_lo, exec_lo, s15
	s_and_saveexec_b32 s3, vcc_lo
	s_cbranch_execnz .LBB2_21
.LBB2_17:                               ;   in Loop: Header=BB2_9 Depth=1
	s_or_b32 exec_lo, exec_lo, s3
	s_and_saveexec_b32 s3, s0
	s_cbranch_execnz .LBB2_22
.LBB2_18:                               ;   in Loop: Header=BB2_9 Depth=1
	s_or_b32 exec_lo, exec_lo, s3
	s_and_saveexec_b32 s0, s1
	s_cbranch_execnz .LBB2_23
.LBB2_19:                               ;   in Loop: Header=BB2_9 Depth=1
	s_or_b32 exec_lo, exec_lo, s0
	s_and_saveexec_b32 s0, s2
	s_cbranch_execz .LBB2_8
	s_branch .LBB2_24
.LBB2_20:                               ;   in Loop: Header=BB2_9 Depth=1
	v_add_co_u32 v30, s3, v9, s4
	s_delay_alu instid0(VALU_DEP_1) | instskip(SKIP_1) | instid1(VALU_DEP_1)
	v_add_co_ci_u32_e64 v31, s3, s5, v10, s3
	v_add_co_u32 v32, s3, v11, s4
	v_add_co_ci_u32_e64 v33, s3, s5, v12, s3
	global_load_b32 v4, v[30:31], off
	global_load_b32 v30, v[32:33], off
	s_or_b32 exec_lo, exec_lo, s15
	s_and_saveexec_b32 s3, vcc_lo
	s_cbranch_execz .LBB2_17
.LBB2_21:                               ;   in Loop: Header=BB2_9 Depth=1
	s_waitcnt vmcnt(0)
	v_mad_u64_u32 v[31:32], null, v27, s14, v[1:2]
	v_add_co_u32 v32, vcc_lo, v5, s4
	v_add_co_ci_u32_e32 v33, vcc_lo, s5, v6, vcc_lo
	global_store_b32 v[32:33], v31, off
	s_or_b32 exec_lo, exec_lo, s3
	s_and_saveexec_b32 s3, s0
	s_cbranch_execz .LBB2_18
.LBB2_22:                               ;   in Loop: Header=BB2_9 Depth=1
	s_waitcnt vmcnt(0)
	v_mad_u64_u32 v[31:32], null, v28, s14, v[3:4]
	v_add_co_u32 v27, vcc_lo, v23, s4
	v_add_co_ci_u32_e32 v28, vcc_lo, s5, v24, vcc_lo
	global_store_b32 v[27:28], v31, off
	s_or_b32 exec_lo, exec_lo, s3
	s_and_saveexec_b32 s0, s1
	s_cbranch_execz .LBB2_19
.LBB2_23:                               ;   in Loop: Header=BB2_9 Depth=1
	s_waitcnt vmcnt(0)
	v_mad_u64_u32 v[27:28], null, v29, s14, v[2:3]
	v_add_co_u32 v1, vcc_lo, v15, s4
	v_add_co_ci_u32_e32 v2, vcc_lo, s5, v16, vcc_lo
	global_store_b32 v[1:2], v27, off
	s_or_b32 exec_lo, exec_lo, s0
	s_and_saveexec_b32 s0, s2
	s_cbranch_execz .LBB2_8
.LBB2_24:                               ;   in Loop: Header=BB2_9 Depth=1
	s_waitcnt vmcnt(0)
	v_mad_u64_u32 v[1:2], null, v30, s14, v[4:5]
	v_add_co_u32 v2, vcc_lo, v9, s4
	v_add_co_ci_u32_e32 v3, vcc_lo, s5, v10, vcc_lo
	global_store_b32 v[2:3], v1, off
	s_branch .LBB2_8
.LBB2_25:
	s_nop 0
	s_sendmsg sendmsg(MSG_DEALLOC_VGPRS)
	s_endpgm
	.section	.rodata,"a",@progbits
	.p2align	6, 0x0
	.amdhsa_kernel _ZN2at6native12_GLOBAL__N_125multi_tensor_apply_kernelINS1_18TensorListMetadataILi2EEENS1_24BinaryOpListAlphaFunctorIiLi2ELi2ELi0EEEJSt4plusIiEiEEEvT_T0_DpT1_
		.amdhsa_group_segment_fixed_size 0
		.amdhsa_private_segment_fixed_size 0
		.amdhsa_kernarg_size 3408
		.amdhsa_user_sgpr_count 15
		.amdhsa_user_sgpr_dispatch_ptr 0
		.amdhsa_user_sgpr_queue_ptr 0
		.amdhsa_user_sgpr_kernarg_segment_ptr 1
		.amdhsa_user_sgpr_dispatch_id 0
		.amdhsa_user_sgpr_private_segment_size 0
		.amdhsa_wavefront_size32 1
		.amdhsa_uses_dynamic_stack 0
		.amdhsa_enable_private_segment 0
		.amdhsa_system_sgpr_workgroup_id_x 1
		.amdhsa_system_sgpr_workgroup_id_y 0
		.amdhsa_system_sgpr_workgroup_id_z 0
		.amdhsa_system_sgpr_workgroup_info 0
		.amdhsa_system_vgpr_workitem_id 0
		.amdhsa_next_free_vgpr 34
		.amdhsa_next_free_sgpr 24
		.amdhsa_reserve_vcc 1
		.amdhsa_float_round_mode_32 0
		.amdhsa_float_round_mode_16_64 0
		.amdhsa_float_denorm_mode_32 3
		.amdhsa_float_denorm_mode_16_64 3
		.amdhsa_dx10_clamp 1
		.amdhsa_ieee_mode 1
		.amdhsa_fp16_overflow 0
		.amdhsa_workgroup_processor_mode 1
		.amdhsa_memory_ordered 1
		.amdhsa_forward_progress 0
		.amdhsa_shared_vgpr_count 0
		.amdhsa_exception_fp_ieee_invalid_op 0
		.amdhsa_exception_fp_denorm_src 0
		.amdhsa_exception_fp_ieee_div_zero 0
		.amdhsa_exception_fp_ieee_overflow 0
		.amdhsa_exception_fp_ieee_underflow 0
		.amdhsa_exception_fp_ieee_inexact 0
		.amdhsa_exception_int_div_zero 0
	.end_amdhsa_kernel
	.section	.text._ZN2at6native12_GLOBAL__N_125multi_tensor_apply_kernelINS1_18TensorListMetadataILi2EEENS1_24BinaryOpListAlphaFunctorIiLi2ELi2ELi0EEEJSt4plusIiEiEEEvT_T0_DpT1_,"axG",@progbits,_ZN2at6native12_GLOBAL__N_125multi_tensor_apply_kernelINS1_18TensorListMetadataILi2EEENS1_24BinaryOpListAlphaFunctorIiLi2ELi2ELi0EEEJSt4plusIiEiEEEvT_T0_DpT1_,comdat
.Lfunc_end2:
	.size	_ZN2at6native12_GLOBAL__N_125multi_tensor_apply_kernelINS1_18TensorListMetadataILi2EEENS1_24BinaryOpListAlphaFunctorIiLi2ELi2ELi0EEEJSt4plusIiEiEEEvT_T0_DpT1_, .Lfunc_end2-_ZN2at6native12_GLOBAL__N_125multi_tensor_apply_kernelINS1_18TensorListMetadataILi2EEENS1_24BinaryOpListAlphaFunctorIiLi2ELi2ELi0EEEJSt4plusIiEiEEEvT_T0_DpT1_
                                        ; -- End function
	.section	.AMDGPU.csdata,"",@progbits
; Kernel info:
; codeLenInByte = 1584
; NumSgprs: 26
; NumVgprs: 34
; ScratchSize: 0
; MemoryBound: 0
; FloatMode: 240
; IeeeMode: 1
; LDSByteSize: 0 bytes/workgroup (compile time only)
; SGPRBlocks: 3
; VGPRBlocks: 4
; NumSGPRsForWavesPerEU: 26
; NumVGPRsForWavesPerEU: 34
; Occupancy: 16
; WaveLimiterHint : 0
; COMPUTE_PGM_RSRC2:SCRATCH_EN: 0
; COMPUTE_PGM_RSRC2:USER_SGPR: 15
; COMPUTE_PGM_RSRC2:TRAP_HANDLER: 0
; COMPUTE_PGM_RSRC2:TGID_X_EN: 1
; COMPUTE_PGM_RSRC2:TGID_Y_EN: 0
; COMPUTE_PGM_RSRC2:TGID_Z_EN: 0
; COMPUTE_PGM_RSRC2:TIDIG_COMP_CNT: 0
	.section	.text._ZN2at6native12_GLOBAL__N_125multi_tensor_apply_kernelINS1_18TensorListMetadataILi2EEENS1_24BinaryOpListAlphaFunctorIlLi2ELi2ELi0EEEJSt4plusIlElEEEvT_T0_DpT1_,"axG",@progbits,_ZN2at6native12_GLOBAL__N_125multi_tensor_apply_kernelINS1_18TensorListMetadataILi2EEENS1_24BinaryOpListAlphaFunctorIlLi2ELi2ELi0EEEJSt4plusIlElEEEvT_T0_DpT1_,comdat
	.globl	_ZN2at6native12_GLOBAL__N_125multi_tensor_apply_kernelINS1_18TensorListMetadataILi2EEENS1_24BinaryOpListAlphaFunctorIlLi2ELi2ELi0EEEJSt4plusIlElEEEvT_T0_DpT1_ ; -- Begin function _ZN2at6native12_GLOBAL__N_125multi_tensor_apply_kernelINS1_18TensorListMetadataILi2EEENS1_24BinaryOpListAlphaFunctorIlLi2ELi2ELi0EEEJSt4plusIlElEEEvT_T0_DpT1_
	.p2align	8
	.type	_ZN2at6native12_GLOBAL__N_125multi_tensor_apply_kernelINS1_18TensorListMetadataILi2EEENS1_24BinaryOpListAlphaFunctorIlLi2ELi2ELi0EEEJSt4plusIlElEEEvT_T0_DpT1_,@function
_ZN2at6native12_GLOBAL__N_125multi_tensor_apply_kernelINS1_18TensorListMetadataILi2EEENS1_24BinaryOpListAlphaFunctorIlLi2ELi2ELi0EEEJSt4plusIlElEEEvT_T0_DpT1_: ; @_ZN2at6native12_GLOBAL__N_125multi_tensor_apply_kernelINS1_18TensorListMetadataILi2EEENS1_24BinaryOpListAlphaFunctorIlLi2ELi2ELi0EEEJSt4plusIlElEEEvT_T0_DpT1_
; %bb.0:
	v_mov_b32_e32 v1, s15
	s_add_u32 s2, s0, s15
	s_mul_hi_u32 s3, s15, 3
	s_mul_i32 s15, s15, 3
	s_addc_u32 s4, s1, 0
	global_load_u8 v1, v1, s[0:1] offset:1536
	s_add_u32 s2, s2, s15
	s_addc_u32 s3, s4, s3
	s_mov_b32 s19, 0
	s_load_b32 s2, s[2:3], 0x740
	s_mov_b32 s21, s19
	s_mov_b32 s23, s19
	s_waitcnt vmcnt(0)
	v_readfirstlane_b32 s3, v1
	s_delay_alu instid0(VALU_DEP_1)
	s_lshl_b32 s3, s3, 3
	s_clause 0x3
	s_load_b64 s[12:13], s[0:1], s3 offset:0x0
	s_load_b64 s[14:15], s[0:1], s3 offset:0x200
	;; [unrolled: 1-line block ×3, first 2 shown]
	s_load_b64 s[4:5], s[0:1], 0xc50
	s_waitcnt lgkmcnt(0)
	s_ashr_i32 s3, s2, 31
	s_delay_alu instid0(SALU_CYCLE_1) | instskip(NEXT) | instid1(SALU_CYCLE_1)
	s_lshl_b64 s[6:7], s[2:3], 19
	s_add_u32 s10, s12, s6
	s_addc_u32 s11, s13, s7
	s_and_b32 s18, s10, 31
	s_add_u32 s16, s14, s6
	s_addc_u32 s17, s15, s7
	s_and_b32 s20, s8, 3
	s_and_b32 s22, s16, 31
	s_or_b64 s[18:19], s[18:19], s[20:21]
	s_lshl_b64 s[2:3], s[2:3], 16
	s_or_b64 s[18:19], s[22:23], s[18:19]
	s_sub_u32 s8, s8, s2
	s_subb_u32 s9, s9, s3
	s_cmp_eq_u64 s[18:19], 0
	s_mov_b32 s2, -1
	s_cbranch_scc0 .LBB3_5
; %bb.1:
	v_dual_mov_b32 v2, 0 :: v_dual_lshlrev_b32 v1, 2, v0
	s_mov_b32 s18, exec_lo
	s_delay_alu instid0(VALU_DEP_1)
	v_cmpx_gt_i64_e64 s[8:9], v[1:2]
	s_cbranch_execz .LBB3_4
; %bb.2:
	s_load_b32 s2, s[0:1], 0xc64
	v_lshlrev_b32_e32 v3, 5, v0
	s_mov_b32 s19, 0
	s_waitcnt lgkmcnt(0)
	s_and_b32 s2, s2, 0xffff
	s_delay_alu instid0(SALU_CYCLE_1)
	v_add_lshl_u32 v1, v0, s2, 2
	s_lshl_b32 s20, s2, 2
	s_lshl_b32 s21, s2, 5
.LBB3_3:                                ; =>This Inner Loop Header: Depth=1
	v_add_co_u32 v24, s2, s10, v3
	s_delay_alu instid0(VALU_DEP_1) | instskip(SKIP_1) | instid1(VALU_DEP_1)
	v_add_co_ci_u32_e64 v25, null, s11, 0, s2
	v_add_co_u32 v16, s2, s16, v3
	v_add_co_ci_u32_e64 v17, null, s17, 0, s2
	global_load_b128 v[4:7], v[24:25], off
	global_load_b128 v[8:11], v[16:17], off
	global_load_b128 v[12:15], v[24:25], off offset:16
	global_load_b128 v[16:19], v[16:17], off offset:16
	v_cmp_le_i64_e32 vcc_lo, s[8:9], v[1:2]
	v_cmp_lt_u64_e64 s2, 0xffff, v[1:2]
	v_add_co_u32 v1, s3, v1, s20
	s_delay_alu instid0(VALU_DEP_1) | instskip(NEXT) | instid1(VALU_DEP_3)
	v_add_co_ci_u32_e64 v2, s3, 0, v2, s3
	s_or_b32 s2, vcc_lo, s2
	s_add_u32 s10, s10, s21
	s_addc_u32 s11, s11, 0
	s_add_u32 s16, s16, s21
	s_addc_u32 s17, s17, 0
	s_and_b32 s2, exec_lo, s2
	s_delay_alu instid0(SALU_CYCLE_1)
	s_or_b32 s19, s2, s19
	s_waitcnt vmcnt(2)
	v_mad_u64_u32 v[20:21], null, v8, s4, v[4:5]
	v_mul_lo_u32 v8, v8, s5
	v_mul_lo_u32 v9, v9, s4
	v_mad_u64_u32 v[22:23], null, v10, s4, v[6:7]
	v_mul_lo_u32 v10, v10, s5
	v_mul_lo_u32 v11, v11, s4
	s_waitcnt vmcnt(0)
	v_mad_u64_u32 v[4:5], null, v16, s4, v[12:13]
	v_mul_lo_u32 v12, v16, s5
	v_mul_lo_u32 v13, v17, s4
	v_mad_u64_u32 v[6:7], null, v18, s4, v[14:15]
	v_mul_lo_u32 v14, v18, s5
	v_mul_lo_u32 v15, v19, s4
	v_add3_u32 v21, v9, v21, v8
	v_add3_u32 v23, v11, v23, v10
	;; [unrolled: 1-line block ×3, first 2 shown]
	s_delay_alu instid0(VALU_DEP_4)
	v_add3_u32 v7, v15, v7, v14
	s_clause 0x1
	global_store_b128 v[24:25], v[20:23], off
	global_store_b128 v[24:25], v[4:7], off offset:16
	s_and_not1_b32 exec_lo, exec_lo, s19
	s_cbranch_execnz .LBB3_3
.LBB3_4:
	s_or_b32 exec_lo, exec_lo, s18
	s_mov_b32 s2, 0
.LBB3_5:
	s_delay_alu instid0(SALU_CYCLE_1)
	s_and_not1_b32 vcc_lo, exec_lo, s2
	s_cbranch_vccnz .LBB3_25
; %bb.6:
	v_cmp_lt_i64_e64 s2, s[8:9], 1
	s_delay_alu instid0(VALU_DEP_1)
	s_and_b32 vcc_lo, exec_lo, s2
	s_cbranch_vccnz .LBB3_25
; %bb.7:
	s_load_b32 s0, s[0:1], 0xc64
	v_dual_mov_b32 v2, 0 :: v_dual_lshlrev_b32 v1, 3, v0
	v_cmp_gt_u64_e64 s1, 0x10000, s[8:9]
	s_delay_alu instid0(VALU_DEP_2) | instskip(NEXT) | instid1(VALU_DEP_1)
	v_add_co_u32 v17, s2, s12, v1
	v_add_co_ci_u32_e64 v18, null, s13, 0, s2
	v_add_co_u32 v19, s2, s14, v1
	s_delay_alu instid0(VALU_DEP_1)
	v_add_co_ci_u32_e64 v20, null, s15, 0, s2
	s_waitcnt lgkmcnt(0)
	s_and_b32 s0, s0, 0xffff
	s_and_b32 s1, s1, exec_lo
	v_mad_u64_u32 v[3:4], null, s0, 24, v[1:2]
	s_cselect_b32 s11, s9, 0
	s_cselect_b32 s10, s8, 0x10000
	s_lshl_b32 s3, s0, 4
	s_mul_i32 s2, s0, 3
	v_add_co_u32 v1, s3, s3, v1
	s_delay_alu instid0(VALU_DEP_2) | instskip(NEXT) | instid1(VALU_DEP_3)
	v_add_co_u32 v21, vcc_lo, s12, v3
	v_add_co_ci_u32_e32 v22, vcc_lo, s13, v4, vcc_lo
	v_add_co_u32 v25, s2, s2, v0
	v_add_co_u32 v23, vcc_lo, s14, v3
	v_add_co_ci_u32_e64 v2, null, 0, 0, s3
	v_add_co_ci_u32_e64 v26, null, 0, 0, s2
	v_add_co_u32 v29, s2, v0, s0
	v_add_co_ci_u32_e32 v24, vcc_lo, s15, v4, vcc_lo
	v_add_co_u32 v27, vcc_lo, s12, v1
	v_add_co_ci_u32_e32 v28, vcc_lo, s13, v2, vcc_lo
	v_add_co_u32 v30, vcc_lo, s14, v1
	v_lshlrev_b32_e32 v1, 3, v29
	s_lshl_b32 s1, s0, 1
	v_add_co_ci_u32_e32 v31, vcc_lo, s15, v2, vcc_lo
	v_add_co_u32 v33, s1, s1, v0
	s_delay_alu instid0(VALU_DEP_1) | instskip(SKIP_1) | instid1(VALU_DEP_1)
	v_add_co_ci_u32_e64 v34, null, 0, 0, s1
	v_add_co_u32 v35, s1, s12, v1
	v_add_co_ci_u32_e64 v36, null, s13, 0, s1
	v_add_co_u32 v37, s1, s14, v1
	v_add_co_ci_u32_e64 v32, null, 0, 0, s2
	v_add_co_ci_u32_e64 v38, null, s15, 0, s1
	s_lshl_b32 s14, s0, 2
	s_lshl_b32 s15, s0, 5
	s_mov_b64 s[12:13], 0
	s_branch .LBB3_9
.LBB3_8:                                ;   in Loop: Header=BB3_9 Depth=1
	s_or_b32 exec_lo, exec_lo, s0
	v_add_co_u32 v17, vcc_lo, v17, s15
	v_add_co_ci_u32_e32 v18, vcc_lo, 0, v18, vcc_lo
	v_add_co_u32 v19, vcc_lo, v19, s15
	v_add_co_ci_u32_e32 v20, vcc_lo, 0, v20, vcc_lo
	;; [unrolled: 2-line block ×5, first 2 shown]
	s_add_u32 s12, s12, s14
	v_add_co_u32 v30, vcc_lo, v30, s15
	s_addc_u32 s13, s13, 0
	v_add_co_ci_u32_e32 v31, vcc_lo, 0, v31, vcc_lo
	v_cmp_ge_i64_e64 s0, s[12:13], s[8:9]
	v_cmp_lt_u64_e64 s1, 0xffff, s[12:13]
	v_add_co_u32 v35, vcc_lo, v35, s15
	v_add_co_ci_u32_e32 v36, vcc_lo, 0, v36, vcc_lo
	v_add_co_u32 v37, vcc_lo, v37, s15
	v_add_co_ci_u32_e32 v38, vcc_lo, 0, v38, vcc_lo
	s_or_b32 s0, s0, s1
	s_delay_alu instid0(SALU_CYCLE_1)
	s_and_b32 vcc_lo, exec_lo, s0
	s_cbranch_vccnz .LBB3_25
.LBB3_9:                                ; =>This Inner Loop Header: Depth=1
	s_waitcnt vmcnt(1)
	v_add_co_u32 v3, s0, v0, s12
	s_delay_alu instid0(VALU_DEP_1) | instskip(SKIP_2) | instid1(VALU_DEP_3)
	v_add_co_ci_u32_e64 v4, null, 0, s13, s0
	v_mov_b32_e32 v1, 0
	v_mov_b32_e32 v2, 0
	v_cmp_gt_u64_e32 vcc_lo, s[10:11], v[3:4]
	s_delay_alu instid0(VALU_DEP_2)
	v_dual_mov_b32 v4, v2 :: v_dual_mov_b32 v3, v1
	s_waitcnt vmcnt(0)
	v_dual_mov_b32 v6, v2 :: v_dual_mov_b32 v5, v1
	s_and_saveexec_b32 s1, vcc_lo
	s_cbranch_execz .LBB3_11
; %bb.10:                               ;   in Loop: Header=BB3_9 Depth=1
	v_add_co_u32 v3, s0, v17, s6
	s_delay_alu instid0(VALU_DEP_1) | instskip(SKIP_1) | instid1(VALU_DEP_1)
	v_add_co_ci_u32_e64 v4, s0, s7, v18, s0
	v_add_co_u32 v5, s0, v19, s6
	v_add_co_ci_u32_e64 v6, s0, s7, v20, s0
	global_load_b64 v[3:4], v[3:4], off
	global_load_b64 v[5:6], v[5:6], off
.LBB3_11:                               ;   in Loop: Header=BB3_9 Depth=1
	s_or_b32 exec_lo, exec_lo, s1
	v_add_co_u32 v7, s0, v29, s12
	s_delay_alu instid0(VALU_DEP_1) | instskip(SKIP_1) | instid1(VALU_DEP_2)
	v_add_co_ci_u32_e64 v8, s0, s13, v32, s0
	v_dual_mov_b32 v10, v2 :: v_dual_mov_b32 v9, v1
	v_cmp_gt_u64_e64 s0, s[10:11], v[7:8]
	s_delay_alu instid0(VALU_DEP_1)
	s_and_saveexec_b32 s2, s0
	s_cbranch_execz .LBB3_13
; %bb.12:                               ;   in Loop: Header=BB3_9 Depth=1
	v_add_co_u32 v1, s1, v35, s6
	s_delay_alu instid0(VALU_DEP_1) | instskip(SKIP_1) | instid1(VALU_DEP_1)
	v_add_co_ci_u32_e64 v2, s1, s7, v36, s1
	v_add_co_u32 v7, s1, v37, s6
	v_add_co_ci_u32_e64 v8, s1, s7, v38, s1
	global_load_b64 v[1:2], v[1:2], off
	global_load_b64 v[9:10], v[7:8], off
.LBB3_13:                               ;   in Loop: Header=BB3_9 Depth=1
	s_or_b32 exec_lo, exec_lo, s2
	v_add_co_u32 v11, s1, v33, s12
	s_delay_alu instid0(VALU_DEP_1) | instskip(SKIP_2) | instid1(VALU_DEP_3)
	v_add_co_ci_u32_e64 v12, s1, s13, v34, s1
	v_mov_b32_e32 v7, 0
	v_mov_b32_e32 v8, 0
	v_cmp_gt_u64_e64 s1, s[10:11], v[11:12]
	s_delay_alu instid0(VALU_DEP_2) | instskip(SKIP_1) | instid1(VALU_DEP_3)
	v_dual_mov_b32 v12, v8 :: v_dual_mov_b32 v11, v7
	v_dual_mov_b32 v14, v8 :: v_dual_mov_b32 v13, v7
	s_and_saveexec_b32 s3, s1
	s_cbranch_execz .LBB3_15
; %bb.14:                               ;   in Loop: Header=BB3_9 Depth=1
	v_add_co_u32 v11, s2, v27, s6
	s_delay_alu instid0(VALU_DEP_1) | instskip(SKIP_1) | instid1(VALU_DEP_1)
	v_add_co_ci_u32_e64 v12, s2, s7, v28, s2
	v_add_co_u32 v13, s2, v30, s6
	v_add_co_ci_u32_e64 v14, s2, s7, v31, s2
	global_load_b64 v[11:12], v[11:12], off
	global_load_b64 v[13:14], v[13:14], off
.LBB3_15:                               ;   in Loop: Header=BB3_9 Depth=1
	s_or_b32 exec_lo, exec_lo, s3
	v_add_co_u32 v15, s2, v25, s12
	s_delay_alu instid0(VALU_DEP_1) | instskip(NEXT) | instid1(VALU_DEP_1)
	v_add_co_ci_u32_e64 v16, s2, s13, v26, s2
	v_cmp_gt_u64_e64 s2, s[10:11], v[15:16]
	v_dual_mov_b32 v16, v8 :: v_dual_mov_b32 v15, v7
	s_delay_alu instid0(VALU_DEP_2)
	s_and_saveexec_b32 s16, s2
	s_cbranch_execnz .LBB3_20
; %bb.16:                               ;   in Loop: Header=BB3_9 Depth=1
	s_or_b32 exec_lo, exec_lo, s16
	s_and_saveexec_b32 s3, vcc_lo
	s_cbranch_execnz .LBB3_21
.LBB3_17:                               ;   in Loop: Header=BB3_9 Depth=1
	s_or_b32 exec_lo, exec_lo, s3
	s_and_saveexec_b32 s3, s0
	s_cbranch_execnz .LBB3_22
.LBB3_18:                               ;   in Loop: Header=BB3_9 Depth=1
	s_or_b32 exec_lo, exec_lo, s3
	s_and_saveexec_b32 s0, s1
	s_cbranch_execnz .LBB3_23
.LBB3_19:                               ;   in Loop: Header=BB3_9 Depth=1
	s_or_b32 exec_lo, exec_lo, s0
	s_and_saveexec_b32 s0, s2
	s_cbranch_execz .LBB3_8
	s_branch .LBB3_24
.LBB3_20:                               ;   in Loop: Header=BB3_9 Depth=1
	v_add_co_u32 v7, s3, v21, s6
	s_delay_alu instid0(VALU_DEP_1) | instskip(SKIP_1) | instid1(VALU_DEP_1)
	v_add_co_ci_u32_e64 v8, s3, s7, v22, s3
	v_add_co_u32 v15, s3, v23, s6
	v_add_co_ci_u32_e64 v16, s3, s7, v24, s3
	global_load_b64 v[7:8], v[7:8], off
	global_load_b64 v[15:16], v[15:16], off
	s_or_b32 exec_lo, exec_lo, s16
	s_and_saveexec_b32 s3, vcc_lo
	s_cbranch_execz .LBB3_17
.LBB3_21:                               ;   in Loop: Header=BB3_9 Depth=1
	s_waitcnt vmcnt(0)
	v_mad_u64_u32 v[39:40], null, v5, s4, v[3:4]
	v_mul_lo_u32 v3, v5, s5
	v_mul_lo_u32 v4, v6, s4
	s_delay_alu instid0(VALU_DEP_1)
	v_add3_u32 v40, v4, v40, v3
	v_add_co_u32 v3, vcc_lo, v17, s6
	v_add_co_ci_u32_e32 v4, vcc_lo, s7, v18, vcc_lo
	global_store_b64 v[3:4], v[39:40], off
	s_or_b32 exec_lo, exec_lo, s3
	s_and_saveexec_b32 s3, s0
	s_cbranch_execz .LBB3_18
.LBB3_22:                               ;   in Loop: Header=BB3_9 Depth=1
	s_waitcnt vmcnt(0)
	v_mad_u64_u32 v[3:4], null, v9, s4, v[1:2]
	v_mul_lo_u32 v1, v9, s5
	v_mul_lo_u32 v2, v10, s4
	s_delay_alu instid0(VALU_DEP_1)
	v_add3_u32 v4, v2, v4, v1
	v_add_co_u32 v1, vcc_lo, v35, s6
	v_add_co_ci_u32_e32 v2, vcc_lo, s7, v36, vcc_lo
	global_store_b64 v[1:2], v[3:4], off
	s_or_b32 exec_lo, exec_lo, s3
	s_and_saveexec_b32 s0, s1
	s_cbranch_execz .LBB3_19
.LBB3_23:                               ;   in Loop: Header=BB3_9 Depth=1
	s_waitcnt vmcnt(0)
	v_mad_u64_u32 v[1:2], null, v13, s4, v[11:12]
	v_mul_lo_u32 v3, v13, s5
	v_mul_lo_u32 v4, v14, s4
	s_delay_alu instid0(VALU_DEP_1)
	v_add3_u32 v2, v4, v2, v3
	v_add_co_u32 v3, vcc_lo, v27, s6
	v_add_co_ci_u32_e32 v4, vcc_lo, s7, v28, vcc_lo
	global_store_b64 v[3:4], v[1:2], off
	s_or_b32 exec_lo, exec_lo, s0
	s_and_saveexec_b32 s0, s2
	s_cbranch_execz .LBB3_8
.LBB3_24:                               ;   in Loop: Header=BB3_9 Depth=1
	s_waitcnt vmcnt(0)
	v_mad_u64_u32 v[1:2], null, v15, s4, v[7:8]
	v_mul_lo_u32 v3, v15, s5
	v_mul_lo_u32 v4, v16, s4
	s_delay_alu instid0(VALU_DEP_1)
	v_add3_u32 v2, v4, v2, v3
	v_add_co_u32 v3, vcc_lo, v21, s6
	v_add_co_ci_u32_e32 v4, vcc_lo, s7, v22, vcc_lo
	global_store_b64 v[3:4], v[1:2], off
	s_branch .LBB3_8
.LBB3_25:
	s_nop 0
	s_sendmsg sendmsg(MSG_DEALLOC_VGPRS)
	s_endpgm
	.section	.rodata,"a",@progbits
	.p2align	6, 0x0
	.amdhsa_kernel _ZN2at6native12_GLOBAL__N_125multi_tensor_apply_kernelINS1_18TensorListMetadataILi2EEENS1_24BinaryOpListAlphaFunctorIlLi2ELi2ELi0EEEJSt4plusIlElEEEvT_T0_DpT1_
		.amdhsa_group_segment_fixed_size 0
		.amdhsa_private_segment_fixed_size 0
		.amdhsa_kernarg_size 3416
		.amdhsa_user_sgpr_count 15
		.amdhsa_user_sgpr_dispatch_ptr 0
		.amdhsa_user_sgpr_queue_ptr 0
		.amdhsa_user_sgpr_kernarg_segment_ptr 1
		.amdhsa_user_sgpr_dispatch_id 0
		.amdhsa_user_sgpr_private_segment_size 0
		.amdhsa_wavefront_size32 1
		.amdhsa_uses_dynamic_stack 0
		.amdhsa_enable_private_segment 0
		.amdhsa_system_sgpr_workgroup_id_x 1
		.amdhsa_system_sgpr_workgroup_id_y 0
		.amdhsa_system_sgpr_workgroup_id_z 0
		.amdhsa_system_sgpr_workgroup_info 0
		.amdhsa_system_vgpr_workitem_id 0
		.amdhsa_next_free_vgpr 41
		.amdhsa_next_free_sgpr 24
		.amdhsa_reserve_vcc 1
		.amdhsa_float_round_mode_32 0
		.amdhsa_float_round_mode_16_64 0
		.amdhsa_float_denorm_mode_32 3
		.amdhsa_float_denorm_mode_16_64 3
		.amdhsa_dx10_clamp 1
		.amdhsa_ieee_mode 1
		.amdhsa_fp16_overflow 0
		.amdhsa_workgroup_processor_mode 1
		.amdhsa_memory_ordered 1
		.amdhsa_forward_progress 0
		.amdhsa_shared_vgpr_count 0
		.amdhsa_exception_fp_ieee_invalid_op 0
		.amdhsa_exception_fp_denorm_src 0
		.amdhsa_exception_fp_ieee_div_zero 0
		.amdhsa_exception_fp_ieee_overflow 0
		.amdhsa_exception_fp_ieee_underflow 0
		.amdhsa_exception_fp_ieee_inexact 0
		.amdhsa_exception_int_div_zero 0
	.end_amdhsa_kernel
	.section	.text._ZN2at6native12_GLOBAL__N_125multi_tensor_apply_kernelINS1_18TensorListMetadataILi2EEENS1_24BinaryOpListAlphaFunctorIlLi2ELi2ELi0EEEJSt4plusIlElEEEvT_T0_DpT1_,"axG",@progbits,_ZN2at6native12_GLOBAL__N_125multi_tensor_apply_kernelINS1_18TensorListMetadataILi2EEENS1_24BinaryOpListAlphaFunctorIlLi2ELi2ELi0EEEJSt4plusIlElEEEvT_T0_DpT1_,comdat
.Lfunc_end3:
	.size	_ZN2at6native12_GLOBAL__N_125multi_tensor_apply_kernelINS1_18TensorListMetadataILi2EEENS1_24BinaryOpListAlphaFunctorIlLi2ELi2ELi0EEEJSt4plusIlElEEEvT_T0_DpT1_, .Lfunc_end3-_ZN2at6native12_GLOBAL__N_125multi_tensor_apply_kernelINS1_18TensorListMetadataILi2EEENS1_24BinaryOpListAlphaFunctorIlLi2ELi2ELi0EEEJSt4plusIlElEEEvT_T0_DpT1_
                                        ; -- End function
	.section	.AMDGPU.csdata,"",@progbits
; Kernel info:
; codeLenInByte = 1840
; NumSgprs: 26
; NumVgprs: 41
; ScratchSize: 0
; MemoryBound: 0
; FloatMode: 240
; IeeeMode: 1
; LDSByteSize: 0 bytes/workgroup (compile time only)
; SGPRBlocks: 3
; VGPRBlocks: 5
; NumSGPRsForWavesPerEU: 26
; NumVGPRsForWavesPerEU: 41
; Occupancy: 16
; WaveLimiterHint : 0
; COMPUTE_PGM_RSRC2:SCRATCH_EN: 0
; COMPUTE_PGM_RSRC2:USER_SGPR: 15
; COMPUTE_PGM_RSRC2:TRAP_HANDLER: 0
; COMPUTE_PGM_RSRC2:TGID_X_EN: 1
; COMPUTE_PGM_RSRC2:TGID_Y_EN: 0
; COMPUTE_PGM_RSRC2:TGID_Z_EN: 0
; COMPUTE_PGM_RSRC2:TIDIG_COMP_CNT: 0
	.section	.text._ZN2at6native12_GLOBAL__N_125multi_tensor_apply_kernelINS1_18TensorListMetadataILi2EEENS1_24BinaryOpListAlphaFunctorIsLi2ELi2ELi0EEEJSt4plusIsEsEEEvT_T0_DpT1_,"axG",@progbits,_ZN2at6native12_GLOBAL__N_125multi_tensor_apply_kernelINS1_18TensorListMetadataILi2EEENS1_24BinaryOpListAlphaFunctorIsLi2ELi2ELi0EEEJSt4plusIsEsEEEvT_T0_DpT1_,comdat
	.globl	_ZN2at6native12_GLOBAL__N_125multi_tensor_apply_kernelINS1_18TensorListMetadataILi2EEENS1_24BinaryOpListAlphaFunctorIsLi2ELi2ELi0EEEJSt4plusIsEsEEEvT_T0_DpT1_ ; -- Begin function _ZN2at6native12_GLOBAL__N_125multi_tensor_apply_kernelINS1_18TensorListMetadataILi2EEENS1_24BinaryOpListAlphaFunctorIsLi2ELi2ELi0EEEJSt4plusIsEsEEEvT_T0_DpT1_
	.p2align	8
	.type	_ZN2at6native12_GLOBAL__N_125multi_tensor_apply_kernelINS1_18TensorListMetadataILi2EEENS1_24BinaryOpListAlphaFunctorIsLi2ELi2ELi0EEEJSt4plusIsEsEEEvT_T0_DpT1_,@function
_ZN2at6native12_GLOBAL__N_125multi_tensor_apply_kernelINS1_18TensorListMetadataILi2EEENS1_24BinaryOpListAlphaFunctorIsLi2ELi2ELi0EEEJSt4plusIsEsEEEvT_T0_DpT1_: ; @_ZN2at6native12_GLOBAL__N_125multi_tensor_apply_kernelINS1_18TensorListMetadataILi2EEENS1_24BinaryOpListAlphaFunctorIsLi2ELi2ELi0EEEJSt4plusIsEsEEEvT_T0_DpT1_
; %bb.0:
	v_mov_b32_e32 v1, s15
	s_mul_i32 s4, s15, 3
	s_mul_hi_u32 s3, s15, 3
	s_mov_b32 s9, 0
	s_load_b32 s2, s[0:1], 0xc48
	global_load_u8 v1, v1, s[0:1] offset:1536
	s_mov_b32 s19, s9
	s_mov_b32 s17, s9
	s_waitcnt lgkmcnt(0)
	s_lshr_b32 s14, s2, 16
	s_add_u32 s2, s0, s15
	s_addc_u32 s5, s1, 0
	s_add_u32 s2, s2, s4
	s_addc_u32 s3, s5, s3
	s_load_b32 s2, s[2:3], 0x740
	s_waitcnt vmcnt(0)
	v_readfirstlane_b32 s6, v1
	s_delay_alu instid0(VALU_DEP_1)
	s_lshl_b32 s3, s6, 3
	s_clause 0x2
	s_load_b64 s[10:11], s[0:1], s3 offset:0x0
	s_load_b64 s[12:13], s[0:1], s3 offset:0x200
	;; [unrolled: 1-line block ×3, first 2 shown]
	s_waitcnt lgkmcnt(0)
	s_ashr_i32 s3, s2, 31
	s_delay_alu instid0(SALU_CYCLE_1) | instskip(SKIP_4) | instid1(SALU_CYCLE_1)
	s_lshl_b64 s[4:5], s[2:3], 17
	s_lshl_b64 s[2:3], s[2:3], 16
	s_and_b32 s8, s10, 7
	s_and_b32 s16, s12, 7
	s_and_b32 s18, s6, 3
	s_or_b64 s[8:9], s[8:9], s[18:19]
	s_delay_alu instid0(SALU_CYCLE_1)
	s_or_b64 s[8:9], s[16:17], s[8:9]
	s_sub_u32 s6, s6, s2
	s_subb_u32 s7, s7, s3
	s_cmp_eq_u64 s[8:9], 0
	s_mov_b32 s2, -1
	s_cbranch_scc0 .LBB4_5
; %bb.1:
	v_dual_mov_b32 v2, 0 :: v_dual_lshlrev_b32 v1, 2, v0
	s_mov_b32 s8, exec_lo
	s_delay_alu instid0(VALU_DEP_1)
	v_cmpx_gt_i64_e64 s[6:7], v[1:2]
	s_cbranch_execz .LBB4_4
; %bb.2:
	s_load_b32 s2, s[0:1], 0xc5c
	v_lshlrev_b32_e32 v1, 3, v0
	s_mov_b32 s9, 0
	s_delay_alu instid0(VALU_DEP_1) | instskip(NEXT) | instid1(VALU_DEP_1)
	v_add_co_u32 v3, s3, s4, v1
	v_add_co_ci_u32_e64 v4, null, s5, 0, s3
	s_waitcnt lgkmcnt(0)
	s_and_b32 s2, s2, 0xffff
	s_delay_alu instid0(SALU_CYCLE_1)
	v_add_lshl_u32 v1, v0, s2, 2
	s_lshl_b32 s15, s2, 3
	s_lshl_b32 s16, s2, 2
.LBB4_3:                                ; =>This Inner Loop Header: Depth=1
	v_add_co_u32 v5, vcc_lo, s10, v3
	v_add_co_ci_u32_e32 v6, vcc_lo, s11, v4, vcc_lo
	v_add_co_u32 v7, vcc_lo, s12, v3
	v_add_co_ci_u32_e32 v8, vcc_lo, s13, v4, vcc_lo
	v_cmp_le_i64_e32 vcc_lo, s[6:7], v[1:2]
	global_load_b64 v[9:10], v[5:6], off
	global_load_b64 v[7:8], v[7:8], off
	v_cmp_lt_u64_e64 s2, 0xffff, v[1:2]
	v_add_co_u32 v3, s3, v3, s15
	s_delay_alu instid0(VALU_DEP_1) | instskip(SKIP_1) | instid1(VALU_DEP_4)
	v_add_co_ci_u32_e64 v4, s3, 0, v4, s3
	v_add_co_u32 v1, s3, v1, s16
	s_or_b32 s2, vcc_lo, s2
	v_add_co_ci_u32_e64 v2, s3, 0, v2, s3
	s_and_b32 s2, exec_lo, s2
	s_delay_alu instid0(SALU_CYCLE_1)
	s_or_b32 s9, s2, s9
	s_waitcnt vmcnt(1)
	v_lshrrev_b32_e32 v11, 16, v9
	s_waitcnt vmcnt(0)
	v_lshrrev_b32_e32 v12, 16, v7
	v_mad_u16 v7, v7, s14, v9
	v_lshrrev_b32_e32 v9, 16, v10
	v_lshrrev_b32_e32 v13, 16, v8
	v_mad_u16 v8, v8, s14, v10
	v_mad_u16 v11, v12, s14, v11
	v_and_b32_e32 v7, 0xffff, v7
	s_delay_alu instid0(VALU_DEP_4) | instskip(NEXT) | instid1(VALU_DEP_4)
	v_mad_u16 v9, v13, s14, v9
	v_and_b32_e32 v8, 0xffff, v8
	s_delay_alu instid0(VALU_DEP_4) | instskip(NEXT) | instid1(VALU_DEP_3)
	v_lshlrev_b32_e32 v10, 16, v11
	v_lshlrev_b32_e32 v9, 16, v9
	s_delay_alu instid0(VALU_DEP_2) | instskip(NEXT) | instid1(VALU_DEP_2)
	v_or_b32_e32 v7, v10, v7
	v_or3_b32 v8, 0, v8, v9
	s_delay_alu instid0(VALU_DEP_2)
	v_or3_b32 v7, v7, 0, 0
	global_store_b64 v[5:6], v[7:8], off
	s_and_not1_b32 exec_lo, exec_lo, s9
	s_cbranch_execnz .LBB4_3
.LBB4_4:
	s_or_b32 exec_lo, exec_lo, s8
	s_mov_b32 s2, 0
.LBB4_5:
	s_delay_alu instid0(SALU_CYCLE_1)
	s_and_not1_b32 vcc_lo, exec_lo, s2
	s_cbranch_vccnz .LBB4_25
; %bb.6:
	v_cmp_lt_i64_e64 s2, s[6:7], 1
	s_delay_alu instid0(VALU_DEP_1)
	s_and_b32 vcc_lo, exec_lo, s2
	s_cbranch_vccnz .LBB4_25
; %bb.7:
	s_load_b32 s0, s[0:1], 0xc5c
	v_dual_mov_b32 v2, 0 :: v_dual_lshlrev_b32 v1, 1, v0
	v_cmp_gt_u64_e64 s1, 0x10000, s[6:7]
	s_delay_alu instid0(VALU_DEP_2) | instskip(NEXT) | instid1(VALU_DEP_1)
	v_add_co_u32 v3, s2, s10, v1
	v_add_co_ci_u32_e64 v4, null, s11, 0, s2
	v_add_co_u32 v5, s2, s12, v1
	s_delay_alu instid0(VALU_DEP_1)
	v_add_co_ci_u32_e64 v6, null, s13, 0, s2
	s_waitcnt lgkmcnt(0)
	s_and_b32 s0, s0, 0xffff
	s_and_b32 s1, s1, exec_lo
	v_mad_u64_u32 v[9:10], null, s0, 6, v[1:2]
	s_cselect_b32 s9, s7, 0
	s_cselect_b32 s8, s6, 0x10000
	s_lshl_b32 s15, s0, 2
	s_mul_i32 s2, s0, 3
	v_add_co_u32 v1, s3, s15, v1
	s_delay_alu instid0(VALU_DEP_2) | instskip(NEXT) | instid1(VALU_DEP_3)
	v_add_co_u32 v7, vcc_lo, s10, v9
	v_add_co_ci_u32_e32 v8, vcc_lo, s11, v10, vcc_lo
	v_add_co_u32 v11, s2, s2, v0
	v_add_co_u32 v9, vcc_lo, s12, v9
	v_add_co_ci_u32_e64 v2, null, 0, 0, s3
	v_add_co_ci_u32_e64 v12, null, 0, 0, s2
	v_add_co_u32 v15, s2, v0, s0
	v_add_co_ci_u32_e32 v10, vcc_lo, s13, v10, vcc_lo
	v_add_co_u32 v13, vcc_lo, s10, v1
	v_add_co_ci_u32_e32 v14, vcc_lo, s11, v2, vcc_lo
	v_add_co_u32 v16, vcc_lo, s12, v1
	v_lshlrev_b32_e32 v1, 1, v15
	s_lshl_b32 s1, s0, 1
	v_add_co_ci_u32_e32 v17, vcc_lo, s13, v2, vcc_lo
	v_add_co_u32 v19, s1, s1, v0
	s_delay_alu instid0(VALU_DEP_1) | instskip(SKIP_1) | instid1(VALU_DEP_1)
	v_add_co_ci_u32_e64 v20, null, 0, 0, s1
	v_add_co_u32 v21, s1, s10, v1
	v_add_co_ci_u32_e64 v22, null, s11, 0, s1
	v_add_co_u32 v23, s1, s12, v1
	v_add_co_ci_u32_e64 v18, null, 0, 0, s2
	v_add_co_ci_u32_e64 v24, null, s13, 0, s1
	s_mov_b32 s12, 0
	s_lshl_b32 s13, s0, 3
	s_mov_b64 s[10:11], 0
	s_branch .LBB4_9
.LBB4_8:                                ;   in Loop: Header=BB4_9 Depth=1
	s_or_b32 exec_lo, exec_lo, s0
	v_add_co_u32 v3, vcc_lo, v3, s13
	v_add_co_ci_u32_e32 v4, vcc_lo, 0, v4, vcc_lo
	v_add_co_u32 v5, vcc_lo, v5, s13
	v_add_co_ci_u32_e32 v6, vcc_lo, 0, v6, vcc_lo
	v_add_co_u32 v7, vcc_lo, v7, s13
	v_add_co_ci_u32_e32 v8, vcc_lo, 0, v8, vcc_lo
	v_add_co_u32 v9, vcc_lo, v9, s13
	v_add_co_ci_u32_e32 v10, vcc_lo, 0, v10, vcc_lo
	v_add_co_u32 v13, vcc_lo, v13, s13
	v_add_co_ci_u32_e32 v14, vcc_lo, 0, v14, vcc_lo
	s_add_u32 s10, s10, s15
	v_add_co_u32 v16, vcc_lo, v16, s13
	s_addc_u32 s11, s11, 0
	v_add_co_ci_u32_e32 v17, vcc_lo, 0, v17, vcc_lo
	v_cmp_ge_i64_e64 s0, s[10:11], s[6:7]
	v_cmp_lt_u64_e64 s1, 0xffff, s[10:11]
	v_add_co_u32 v21, vcc_lo, v21, s13
	v_add_co_ci_u32_e32 v22, vcc_lo, 0, v22, vcc_lo
	v_add_co_u32 v23, vcc_lo, v23, s13
	v_add_co_ci_u32_e32 v24, vcc_lo, 0, v24, vcc_lo
	s_or_b32 s0, s0, s1
	s_delay_alu instid0(SALU_CYCLE_1)
	s_and_b32 vcc_lo, exec_lo, s0
	s_cbranch_vccnz .LBB4_25
.LBB4_9:                                ; =>This Inner Loop Header: Depth=1
	v_add_co_u32 v1, s0, v0, s10
	s_delay_alu instid0(VALU_DEP_1) | instskip(SKIP_2) | instid1(VALU_DEP_2)
	v_add_co_ci_u32_e64 v2, null, 0, s11, s0
	s_waitcnt vmcnt(0)
	v_mov_b32_e32 v25, 0
	v_cmp_gt_u64_e32 vcc_lo, s[8:9], v[1:2]
	v_mov_b32_e32 v1, 0
	v_mov_b32_e32 v2, 0
	s_and_saveexec_b32 s1, vcc_lo
	s_cbranch_execz .LBB4_11
; %bb.10:                               ;   in Loop: Header=BB4_9 Depth=1
	v_add_co_u32 v1, s0, v3, s4
	s_delay_alu instid0(VALU_DEP_1) | instskip(SKIP_2) | instid1(VALU_DEP_1)
	v_add_co_ci_u32_e64 v2, s0, s5, v4, s0
	global_load_u16 v26, v[1:2], off
	v_add_co_u32 v1, s0, v5, s4
	v_add_co_ci_u32_e64 v2, s0, s5, v6, s0
	global_load_u16 v25, v[1:2], off
	s_waitcnt vmcnt(1)
	v_dual_mov_b32 v2, s12 :: v_dual_and_b32 v1, 0xffff, v26
.LBB4_11:                               ;   in Loop: Header=BB4_9 Depth=1
	s_or_b32 exec_lo, exec_lo, s1
	v_add_co_u32 v26, s0, v15, s10
	s_delay_alu instid0(VALU_DEP_1) | instskip(NEXT) | instid1(VALU_DEP_1)
	v_add_co_ci_u32_e64 v27, s0, s11, v18, s0
	v_cmp_gt_u64_e64 s0, s[8:9], v[26:27]
	v_dual_mov_b32 v26, 0 :: v_dual_mov_b32 v27, 0
	s_delay_alu instid0(VALU_DEP_2)
	s_and_saveexec_b32 s2, s0
	s_cbranch_execz .LBB4_13
; %bb.12:                               ;   in Loop: Header=BB4_9 Depth=1
	v_add_co_u32 v27, s1, v21, s4
	s_delay_alu instid0(VALU_DEP_1) | instskip(SKIP_2) | instid1(VALU_DEP_1)
	v_add_co_ci_u32_e64 v28, s1, s5, v22, s1
	global_load_u16 v29, v[27:28], off
	v_add_co_u32 v27, s1, v23, s4
	v_add_co_ci_u32_e64 v28, s1, s5, v24, s1
	global_load_u16 v27, v[27:28], off
	s_waitcnt vmcnt(1)
	v_lshl_or_b32 v1, v29, 16, v1
.LBB4_13:                               ;   in Loop: Header=BB4_9 Depth=1
	s_or_b32 exec_lo, exec_lo, s2
	v_add_co_u32 v28, s1, v19, s10
	s_delay_alu instid0(VALU_DEP_1) | instskip(NEXT) | instid1(VALU_DEP_1)
	v_add_co_ci_u32_e64 v29, s1, s11, v20, s1
	v_cmp_gt_u64_e64 s1, s[8:9], v[28:29]
	s_delay_alu instid0(VALU_DEP_1)
	s_and_saveexec_b32 s3, s1
	s_cbranch_execz .LBB4_15
; %bb.14:                               ;   in Loop: Header=BB4_9 Depth=1
	v_add_co_u32 v28, s2, v13, s4
	s_delay_alu instid0(VALU_DEP_1) | instskip(SKIP_2) | instid1(VALU_DEP_1)
	v_add_co_ci_u32_e64 v29, s2, s5, v14, s2
	global_load_u16 v30, v[28:29], off
	v_add_co_u32 v28, s2, v16, s4
	v_add_co_ci_u32_e64 v29, s2, s5, v17, s2
	global_load_u16 v26, v[28:29], off
	s_waitcnt vmcnt(1)
	v_or_b32_e32 v2, v30, v2
.LBB4_15:                               ;   in Loop: Header=BB4_9 Depth=1
	s_or_b32 exec_lo, exec_lo, s3
	v_add_co_u32 v28, s2, v11, s10
	s_delay_alu instid0(VALU_DEP_1) | instskip(NEXT) | instid1(VALU_DEP_1)
	v_add_co_ci_u32_e64 v29, s2, s11, v12, s2
	v_cmp_gt_u64_e64 s2, s[8:9], v[28:29]
	v_mov_b32_e32 v28, 0
	s_delay_alu instid0(VALU_DEP_2)
	s_and_saveexec_b32 s16, s2
	s_cbranch_execnz .LBB4_20
; %bb.16:                               ;   in Loop: Header=BB4_9 Depth=1
	s_or_b32 exec_lo, exec_lo, s16
	s_and_saveexec_b32 s3, vcc_lo
	s_cbranch_execnz .LBB4_21
.LBB4_17:                               ;   in Loop: Header=BB4_9 Depth=1
	s_or_b32 exec_lo, exec_lo, s3
	s_and_saveexec_b32 s3, s0
	s_cbranch_execnz .LBB4_22
.LBB4_18:                               ;   in Loop: Header=BB4_9 Depth=1
	s_or_b32 exec_lo, exec_lo, s3
	s_and_saveexec_b32 s0, s1
	s_cbranch_execnz .LBB4_23
.LBB4_19:                               ;   in Loop: Header=BB4_9 Depth=1
	s_or_b32 exec_lo, exec_lo, s0
	s_and_saveexec_b32 s0, s2
	s_cbranch_execz .LBB4_8
	s_branch .LBB4_24
.LBB4_20:                               ;   in Loop: Header=BB4_9 Depth=1
	v_add_co_u32 v28, s3, v7, s4
	s_delay_alu instid0(VALU_DEP_1) | instskip(SKIP_3) | instid1(VALU_DEP_1)
	v_add_co_ci_u32_e64 v29, s3, s5, v8, s3
	v_mov_b32_e32 v30, 0
	global_load_d16_hi_b16 v30, v[28:29], off
	v_add_co_u32 v28, s3, v9, s4
	v_add_co_ci_u32_e64 v29, s3, s5, v10, s3
	global_load_u16 v28, v[28:29], off
	s_waitcnt vmcnt(1)
	v_or_b32_e32 v2, v30, v2
	s_or_b32 exec_lo, exec_lo, s16
	s_and_saveexec_b32 s3, vcc_lo
	s_cbranch_execz .LBB4_17
.LBB4_21:                               ;   in Loop: Header=BB4_9 Depth=1
	v_add_co_u32 v29, vcc_lo, v3, s4
	v_add_co_ci_u32_e32 v30, vcc_lo, s5, v4, vcc_lo
	s_waitcnt vmcnt(0)
	v_mad_u16 v25, v25, s14, v1
	global_store_b16 v[29:30], v25, off
	s_or_b32 exec_lo, exec_lo, s3
	s_and_saveexec_b32 s3, s0
	s_cbranch_execz .LBB4_18
.LBB4_22:                               ;   in Loop: Header=BB4_9 Depth=1
	v_lshrrev_b32_e32 v1, 16, v1
	v_add_co_u32 v29, vcc_lo, v21, s4
	v_add_co_ci_u32_e32 v30, vcc_lo, s5, v22, vcc_lo
	s_waitcnt vmcnt(0)
	s_delay_alu instid0(VALU_DEP_3)
	v_mad_u16 v1, v27, s14, v1
	global_store_b16 v[29:30], v1, off
	s_or_b32 exec_lo, exec_lo, s3
	s_and_saveexec_b32 s0, s1
	s_cbranch_execz .LBB4_19
.LBB4_23:                               ;   in Loop: Header=BB4_9 Depth=1
	s_waitcnt vmcnt(0)
	v_add_co_u32 v25, vcc_lo, v13, s4
	v_mad_u16 v1, v26, s14, v2
	v_add_co_ci_u32_e32 v26, vcc_lo, s5, v14, vcc_lo
	global_store_b16 v[25:26], v1, off
	s_or_b32 exec_lo, exec_lo, s0
	s_and_saveexec_b32 s0, s2
	s_cbranch_execz .LBB4_8
.LBB4_24:                               ;   in Loop: Header=BB4_9 Depth=1
	v_lshrrev_b32_e32 v1, 16, v2
	s_waitcnt vmcnt(0)
	s_delay_alu instid0(VALU_DEP_1)
	v_mad_u16 v25, v28, s14, v1
	v_add_co_u32 v1, vcc_lo, v7, s4
	v_add_co_ci_u32_e32 v2, vcc_lo, s5, v8, vcc_lo
	global_store_b16 v[1:2], v25, off
	s_branch .LBB4_8
.LBB4_25:
	s_nop 0
	s_sendmsg sendmsg(MSG_DEALLOC_VGPRS)
	s_endpgm
	.section	.rodata,"a",@progbits
	.p2align	6, 0x0
	.amdhsa_kernel _ZN2at6native12_GLOBAL__N_125multi_tensor_apply_kernelINS1_18TensorListMetadataILi2EEENS1_24BinaryOpListAlphaFunctorIsLi2ELi2ELi0EEEJSt4plusIsEsEEEvT_T0_DpT1_
		.amdhsa_group_segment_fixed_size 0
		.amdhsa_private_segment_fixed_size 0
		.amdhsa_kernarg_size 3408
		.amdhsa_user_sgpr_count 15
		.amdhsa_user_sgpr_dispatch_ptr 0
		.amdhsa_user_sgpr_queue_ptr 0
		.amdhsa_user_sgpr_kernarg_segment_ptr 1
		.amdhsa_user_sgpr_dispatch_id 0
		.amdhsa_user_sgpr_private_segment_size 0
		.amdhsa_wavefront_size32 1
		.amdhsa_uses_dynamic_stack 0
		.amdhsa_enable_private_segment 0
		.amdhsa_system_sgpr_workgroup_id_x 1
		.amdhsa_system_sgpr_workgroup_id_y 0
		.amdhsa_system_sgpr_workgroup_id_z 0
		.amdhsa_system_sgpr_workgroup_info 0
		.amdhsa_system_vgpr_workitem_id 0
		.amdhsa_next_free_vgpr 31
		.amdhsa_next_free_sgpr 20
		.amdhsa_reserve_vcc 1
		.amdhsa_float_round_mode_32 0
		.amdhsa_float_round_mode_16_64 0
		.amdhsa_float_denorm_mode_32 3
		.amdhsa_float_denorm_mode_16_64 3
		.amdhsa_dx10_clamp 1
		.amdhsa_ieee_mode 1
		.amdhsa_fp16_overflow 0
		.amdhsa_workgroup_processor_mode 1
		.amdhsa_memory_ordered 1
		.amdhsa_forward_progress 0
		.amdhsa_shared_vgpr_count 0
		.amdhsa_exception_fp_ieee_invalid_op 0
		.amdhsa_exception_fp_denorm_src 0
		.amdhsa_exception_fp_ieee_div_zero 0
		.amdhsa_exception_fp_ieee_overflow 0
		.amdhsa_exception_fp_ieee_underflow 0
		.amdhsa_exception_fp_ieee_inexact 0
		.amdhsa_exception_int_div_zero 0
	.end_amdhsa_kernel
	.section	.text._ZN2at6native12_GLOBAL__N_125multi_tensor_apply_kernelINS1_18TensorListMetadataILi2EEENS1_24BinaryOpListAlphaFunctorIsLi2ELi2ELi0EEEJSt4plusIsEsEEEvT_T0_DpT1_,"axG",@progbits,_ZN2at6native12_GLOBAL__N_125multi_tensor_apply_kernelINS1_18TensorListMetadataILi2EEENS1_24BinaryOpListAlphaFunctorIsLi2ELi2ELi0EEEJSt4plusIsEsEEEvT_T0_DpT1_,comdat
.Lfunc_end4:
	.size	_ZN2at6native12_GLOBAL__N_125multi_tensor_apply_kernelINS1_18TensorListMetadataILi2EEENS1_24BinaryOpListAlphaFunctorIsLi2ELi2ELi0EEEJSt4plusIsEsEEEvT_T0_DpT1_, .Lfunc_end4-_ZN2at6native12_GLOBAL__N_125multi_tensor_apply_kernelINS1_18TensorListMetadataILi2EEENS1_24BinaryOpListAlphaFunctorIsLi2ELi2ELi0EEEJSt4plusIsEsEEEvT_T0_DpT1_
                                        ; -- End function
	.section	.AMDGPU.csdata,"",@progbits
; Kernel info:
; codeLenInByte = 1696
; NumSgprs: 22
; NumVgprs: 31
; ScratchSize: 0
; MemoryBound: 0
; FloatMode: 240
; IeeeMode: 1
; LDSByteSize: 0 bytes/workgroup (compile time only)
; SGPRBlocks: 2
; VGPRBlocks: 3
; NumSGPRsForWavesPerEU: 22
; NumVGPRsForWavesPerEU: 31
; Occupancy: 16
; WaveLimiterHint : 0
; COMPUTE_PGM_RSRC2:SCRATCH_EN: 0
; COMPUTE_PGM_RSRC2:USER_SGPR: 15
; COMPUTE_PGM_RSRC2:TRAP_HANDLER: 0
; COMPUTE_PGM_RSRC2:TGID_X_EN: 1
; COMPUTE_PGM_RSRC2:TGID_Y_EN: 0
; COMPUTE_PGM_RSRC2:TGID_Z_EN: 0
; COMPUTE_PGM_RSRC2:TIDIG_COMP_CNT: 0
	.section	.text._ZN2at6native12_GLOBAL__N_125multi_tensor_apply_kernelINS1_18TensorListMetadataILi2EEENS1_24BinaryOpListAlphaFunctorIdLi2ELi2ELi0EEEJSt4plusIdEdEEEvT_T0_DpT1_,"axG",@progbits,_ZN2at6native12_GLOBAL__N_125multi_tensor_apply_kernelINS1_18TensorListMetadataILi2EEENS1_24BinaryOpListAlphaFunctorIdLi2ELi2ELi0EEEJSt4plusIdEdEEEvT_T0_DpT1_,comdat
	.globl	_ZN2at6native12_GLOBAL__N_125multi_tensor_apply_kernelINS1_18TensorListMetadataILi2EEENS1_24BinaryOpListAlphaFunctorIdLi2ELi2ELi0EEEJSt4plusIdEdEEEvT_T0_DpT1_ ; -- Begin function _ZN2at6native12_GLOBAL__N_125multi_tensor_apply_kernelINS1_18TensorListMetadataILi2EEENS1_24BinaryOpListAlphaFunctorIdLi2ELi2ELi0EEEJSt4plusIdEdEEEvT_T0_DpT1_
	.p2align	8
	.type	_ZN2at6native12_GLOBAL__N_125multi_tensor_apply_kernelINS1_18TensorListMetadataILi2EEENS1_24BinaryOpListAlphaFunctorIdLi2ELi2ELi0EEEJSt4plusIdEdEEEvT_T0_DpT1_,@function
_ZN2at6native12_GLOBAL__N_125multi_tensor_apply_kernelINS1_18TensorListMetadataILi2EEENS1_24BinaryOpListAlphaFunctorIdLi2ELi2ELi0EEEJSt4plusIdEdEEEvT_T0_DpT1_: ; @_ZN2at6native12_GLOBAL__N_125multi_tensor_apply_kernelINS1_18TensorListMetadataILi2EEENS1_24BinaryOpListAlphaFunctorIdLi2ELi2ELi0EEEJSt4plusIdEdEEEvT_T0_DpT1_
; %bb.0:
	v_mov_b32_e32 v1, s15
	s_add_u32 s2, s0, s15
	s_mul_hi_u32 s3, s15, 3
	s_mul_i32 s15, s15, 3
	s_addc_u32 s4, s1, 0
	global_load_u8 v1, v1, s[0:1] offset:1536
	s_add_u32 s2, s2, s15
	s_addc_u32 s3, s4, s3
	s_mov_b32 s19, 0
	s_load_b32 s2, s[2:3], 0x740
	s_mov_b32 s21, s19
	s_mov_b32 s23, s19
	s_waitcnt vmcnt(0)
	v_readfirstlane_b32 s3, v1
	s_delay_alu instid0(VALU_DEP_1)
	s_lshl_b32 s3, s3, 3
	s_clause 0x3
	s_load_b64 s[12:13], s[0:1], s3 offset:0x0
	s_load_b64 s[14:15], s[0:1], s3 offset:0x200
	;; [unrolled: 1-line block ×3, first 2 shown]
	s_load_b64 s[4:5], s[0:1], 0xc50
	s_waitcnt lgkmcnt(0)
	s_ashr_i32 s3, s2, 31
	s_delay_alu instid0(SALU_CYCLE_1) | instskip(NEXT) | instid1(SALU_CYCLE_1)
	s_lshl_b64 s[6:7], s[2:3], 19
	s_add_u32 s10, s12, s6
	s_addc_u32 s11, s13, s7
	s_and_b32 s18, s10, 31
	s_add_u32 s16, s14, s6
	s_addc_u32 s17, s15, s7
	s_and_b32 s20, s8, 3
	s_and_b32 s22, s16, 31
	s_or_b64 s[18:19], s[18:19], s[20:21]
	s_lshl_b64 s[2:3], s[2:3], 16
	s_or_b64 s[18:19], s[22:23], s[18:19]
	s_sub_u32 s8, s8, s2
	s_subb_u32 s9, s9, s3
	s_cmp_eq_u64 s[18:19], 0
	s_mov_b32 s2, -1
	s_cbranch_scc0 .LBB5_5
; %bb.1:
	v_dual_mov_b32 v2, 0 :: v_dual_lshlrev_b32 v1, 2, v0
	s_mov_b32 s18, exec_lo
	s_delay_alu instid0(VALU_DEP_1)
	v_cmpx_gt_i64_e64 s[8:9], v[1:2]
	s_cbranch_execz .LBB5_4
; %bb.2:
	s_load_b32 s2, s[0:1], 0xc64
	v_lshlrev_b32_e32 v3, 5, v0
	s_mov_b32 s19, 0
	s_waitcnt lgkmcnt(0)
	s_and_b32 s2, s2, 0xffff
	s_delay_alu instid0(SALU_CYCLE_1)
	v_add_lshl_u32 v1, v0, s2, 2
	s_lshl_b32 s20, s2, 2
	s_lshl_b32 s21, s2, 5
	s_set_inst_prefetch_distance 0x1
	.p2align	6
.LBB5_3:                                ; =>This Inner Loop Header: Depth=1
	v_add_co_u32 v20, s2, s10, v3
	s_delay_alu instid0(VALU_DEP_1) | instskip(SKIP_1) | instid1(VALU_DEP_1)
	v_add_co_ci_u32_e64 v21, null, s11, 0, s2
	v_add_co_u32 v16, s2, s16, v3
	v_add_co_ci_u32_e64 v17, null, s17, 0, s2
	global_load_b128 v[4:7], v[20:21], off
	global_load_b128 v[8:11], v[16:17], off
	global_load_b128 v[12:15], v[20:21], off offset:16
	global_load_b128 v[16:19], v[16:17], off offset:16
	v_cmp_le_i64_e32 vcc_lo, s[8:9], v[1:2]
	v_cmp_lt_u64_e64 s2, 0xffff, v[1:2]
	v_add_co_u32 v1, s3, v1, s20
	s_delay_alu instid0(VALU_DEP_1) | instskip(NEXT) | instid1(VALU_DEP_3)
	v_add_co_ci_u32_e64 v2, s3, 0, v2, s3
	s_or_b32 s2, vcc_lo, s2
	s_add_u32 s10, s10, s21
	s_addc_u32 s11, s11, 0
	s_add_u32 s16, s16, s21
	s_addc_u32 s17, s17, 0
	s_and_b32 s2, exec_lo, s2
	s_delay_alu instid0(SALU_CYCLE_1)
	s_or_b32 s19, s2, s19
	s_waitcnt vmcnt(2)
	v_fma_f64 v[4:5], v[8:9], s[4:5], v[4:5]
	v_fma_f64 v[6:7], v[10:11], s[4:5], v[6:7]
	s_waitcnt vmcnt(0)
	v_fma_f64 v[8:9], v[16:17], s[4:5], v[12:13]
	v_fma_f64 v[10:11], v[18:19], s[4:5], v[14:15]
	s_clause 0x1
	global_store_b128 v[20:21], v[4:7], off
	global_store_b128 v[20:21], v[8:11], off offset:16
	s_and_not1_b32 exec_lo, exec_lo, s19
	s_cbranch_execnz .LBB5_3
.LBB5_4:
	s_set_inst_prefetch_distance 0x2
	s_or_b32 exec_lo, exec_lo, s18
	s_mov_b32 s2, 0
.LBB5_5:
	s_delay_alu instid0(SALU_CYCLE_1)
	s_and_not1_b32 vcc_lo, exec_lo, s2
	s_cbranch_vccnz .LBB5_25
; %bb.6:
	v_cmp_lt_i64_e64 s2, s[8:9], 1
	s_delay_alu instid0(VALU_DEP_1)
	s_and_b32 vcc_lo, exec_lo, s2
	s_cbranch_vccnz .LBB5_25
; %bb.7:
	s_load_b32 s0, s[0:1], 0xc64
	v_dual_mov_b32 v2, 0 :: v_dual_lshlrev_b32 v1, 3, v0
	v_cmp_gt_u64_e64 s1, 0x10000, s[8:9]
	s_delay_alu instid0(VALU_DEP_2) | instskip(NEXT) | instid1(VALU_DEP_1)
	v_add_co_u32 v17, s2, s12, v1
	v_add_co_ci_u32_e64 v18, null, s13, 0, s2
	v_add_co_u32 v19, s2, s14, v1
	s_delay_alu instid0(VALU_DEP_1)
	v_add_co_ci_u32_e64 v20, null, s15, 0, s2
	s_waitcnt lgkmcnt(0)
	s_and_b32 s0, s0, 0xffff
	s_and_b32 s1, s1, exec_lo
	v_mad_u64_u32 v[3:4], null, s0, 24, v[1:2]
	s_cselect_b32 s11, s9, 0
	s_cselect_b32 s10, s8, 0x10000
	s_lshl_b32 s3, s0, 4
	s_mul_i32 s2, s0, 3
	v_add_co_u32 v1, s3, s3, v1
	s_delay_alu instid0(VALU_DEP_2) | instskip(NEXT) | instid1(VALU_DEP_3)
	v_add_co_u32 v21, vcc_lo, s12, v3
	v_add_co_ci_u32_e32 v22, vcc_lo, s13, v4, vcc_lo
	v_add_co_u32 v25, s2, s2, v0
	v_add_co_u32 v23, vcc_lo, s14, v3
	v_add_co_ci_u32_e64 v2, null, 0, 0, s3
	v_add_co_ci_u32_e64 v26, null, 0, 0, s2
	v_add_co_u32 v29, s2, v0, s0
	v_add_co_ci_u32_e32 v24, vcc_lo, s15, v4, vcc_lo
	v_add_co_u32 v27, vcc_lo, s12, v1
	v_add_co_ci_u32_e32 v28, vcc_lo, s13, v2, vcc_lo
	v_add_co_u32 v30, vcc_lo, s14, v1
	v_lshlrev_b32_e32 v1, 3, v29
	s_lshl_b32 s1, s0, 1
	v_add_co_ci_u32_e32 v31, vcc_lo, s15, v2, vcc_lo
	v_add_co_u32 v33, s1, s1, v0
	s_delay_alu instid0(VALU_DEP_1) | instskip(SKIP_1) | instid1(VALU_DEP_1)
	v_add_co_ci_u32_e64 v34, null, 0, 0, s1
	v_add_co_u32 v35, s1, s12, v1
	v_add_co_ci_u32_e64 v36, null, s13, 0, s1
	v_add_co_u32 v37, s1, s14, v1
	v_add_co_ci_u32_e64 v32, null, 0, 0, s2
	v_add_co_ci_u32_e64 v38, null, s15, 0, s1
	s_lshl_b32 s14, s0, 2
	s_lshl_b32 s15, s0, 5
	s_mov_b64 s[12:13], 0
	s_branch .LBB5_9
.LBB5_8:                                ;   in Loop: Header=BB5_9 Depth=1
	s_or_b32 exec_lo, exec_lo, s0
	v_add_co_u32 v17, vcc_lo, v17, s15
	v_add_co_ci_u32_e32 v18, vcc_lo, 0, v18, vcc_lo
	v_add_co_u32 v19, vcc_lo, v19, s15
	v_add_co_ci_u32_e32 v20, vcc_lo, 0, v20, vcc_lo
	;; [unrolled: 2-line block ×5, first 2 shown]
	s_add_u32 s12, s12, s14
	v_add_co_u32 v30, vcc_lo, v30, s15
	s_addc_u32 s13, s13, 0
	v_add_co_ci_u32_e32 v31, vcc_lo, 0, v31, vcc_lo
	v_cmp_ge_i64_e64 s0, s[12:13], s[8:9]
	v_cmp_lt_u64_e64 s1, 0xffff, s[12:13]
	v_add_co_u32 v35, vcc_lo, v35, s15
	v_add_co_ci_u32_e32 v36, vcc_lo, 0, v36, vcc_lo
	v_add_co_u32 v37, vcc_lo, v37, s15
	v_add_co_ci_u32_e32 v38, vcc_lo, 0, v38, vcc_lo
	s_or_b32 s0, s0, s1
	s_delay_alu instid0(SALU_CYCLE_1)
	s_and_b32 vcc_lo, exec_lo, s0
	s_cbranch_vccnz .LBB5_25
.LBB5_9:                                ; =>This Inner Loop Header: Depth=1
	s_waitcnt vmcnt(1)
	v_add_co_u32 v3, s0, v0, s12
	s_delay_alu instid0(VALU_DEP_1) | instskip(SKIP_2) | instid1(VALU_DEP_3)
	v_add_co_ci_u32_e64 v4, null, 0, s13, s0
	v_mov_b32_e32 v1, 0
	v_mov_b32_e32 v2, 0
	v_cmp_gt_u64_e32 vcc_lo, s[10:11], v[3:4]
	s_delay_alu instid0(VALU_DEP_2)
	v_dual_mov_b32 v4, v2 :: v_dual_mov_b32 v3, v1
	s_waitcnt vmcnt(0)
	v_dual_mov_b32 v6, v2 :: v_dual_mov_b32 v5, v1
	s_and_saveexec_b32 s1, vcc_lo
	s_cbranch_execz .LBB5_11
; %bb.10:                               ;   in Loop: Header=BB5_9 Depth=1
	v_add_co_u32 v3, s0, v17, s6
	s_delay_alu instid0(VALU_DEP_1) | instskip(SKIP_1) | instid1(VALU_DEP_1)
	v_add_co_ci_u32_e64 v4, s0, s7, v18, s0
	v_add_co_u32 v5, s0, v19, s6
	v_add_co_ci_u32_e64 v6, s0, s7, v20, s0
	global_load_b64 v[3:4], v[3:4], off
	global_load_b64 v[5:6], v[5:6], off
.LBB5_11:                               ;   in Loop: Header=BB5_9 Depth=1
	s_or_b32 exec_lo, exec_lo, s1
	v_add_co_u32 v7, s0, v29, s12
	s_delay_alu instid0(VALU_DEP_1) | instskip(NEXT) | instid1(VALU_DEP_1)
	v_add_co_ci_u32_e64 v8, s0, s13, v32, s0
	v_cmp_gt_u64_e64 s0, s[10:11], v[7:8]
	v_dual_mov_b32 v8, v2 :: v_dual_mov_b32 v7, v1
	s_delay_alu instid0(VALU_DEP_2)
	s_and_saveexec_b32 s2, s0
	s_cbranch_execz .LBB5_13
; %bb.12:                               ;   in Loop: Header=BB5_9 Depth=1
	v_add_co_u32 v1, s1, v35, s6
	s_delay_alu instid0(VALU_DEP_1) | instskip(SKIP_1) | instid1(VALU_DEP_1)
	v_add_co_ci_u32_e64 v2, s1, s7, v36, s1
	v_add_co_u32 v7, s1, v37, s6
	v_add_co_ci_u32_e64 v8, s1, s7, v38, s1
	global_load_b64 v[1:2], v[1:2], off
	global_load_b64 v[7:8], v[7:8], off
.LBB5_13:                               ;   in Loop: Header=BB5_9 Depth=1
	s_or_b32 exec_lo, exec_lo, s2
	v_add_co_u32 v11, s1, v33, s12
	s_delay_alu instid0(VALU_DEP_1) | instskip(SKIP_2) | instid1(VALU_DEP_3)
	v_add_co_ci_u32_e64 v12, s1, s13, v34, s1
	v_mov_b32_e32 v9, 0
	v_mov_b32_e32 v10, 0
	v_cmp_gt_u64_e64 s1, s[10:11], v[11:12]
	s_delay_alu instid0(VALU_DEP_2) | instskip(SKIP_1) | instid1(VALU_DEP_3)
	v_dual_mov_b32 v12, v10 :: v_dual_mov_b32 v11, v9
	v_dual_mov_b32 v14, v10 :: v_dual_mov_b32 v13, v9
	s_and_saveexec_b32 s3, s1
	s_cbranch_execz .LBB5_15
; %bb.14:                               ;   in Loop: Header=BB5_9 Depth=1
	v_add_co_u32 v11, s2, v27, s6
	s_delay_alu instid0(VALU_DEP_1) | instskip(SKIP_1) | instid1(VALU_DEP_1)
	v_add_co_ci_u32_e64 v12, s2, s7, v28, s2
	v_add_co_u32 v13, s2, v30, s6
	v_add_co_ci_u32_e64 v14, s2, s7, v31, s2
	global_load_b64 v[11:12], v[11:12], off
	global_load_b64 v[13:14], v[13:14], off
.LBB5_15:                               ;   in Loop: Header=BB5_9 Depth=1
	s_or_b32 exec_lo, exec_lo, s3
	v_add_co_u32 v15, s2, v25, s12
	s_delay_alu instid0(VALU_DEP_1) | instskip(NEXT) | instid1(VALU_DEP_1)
	v_add_co_ci_u32_e64 v16, s2, s13, v26, s2
	v_cmp_gt_u64_e64 s2, s[10:11], v[15:16]
	v_dual_mov_b32 v16, v10 :: v_dual_mov_b32 v15, v9
	s_delay_alu instid0(VALU_DEP_2)
	s_and_saveexec_b32 s16, s2
	s_cbranch_execnz .LBB5_20
; %bb.16:                               ;   in Loop: Header=BB5_9 Depth=1
	s_or_b32 exec_lo, exec_lo, s16
	s_and_saveexec_b32 s3, vcc_lo
	s_cbranch_execnz .LBB5_21
.LBB5_17:                               ;   in Loop: Header=BB5_9 Depth=1
	s_or_b32 exec_lo, exec_lo, s3
	s_and_saveexec_b32 s3, s0
	s_cbranch_execnz .LBB5_22
.LBB5_18:                               ;   in Loop: Header=BB5_9 Depth=1
	s_or_b32 exec_lo, exec_lo, s3
	s_and_saveexec_b32 s0, s1
	s_cbranch_execnz .LBB5_23
.LBB5_19:                               ;   in Loop: Header=BB5_9 Depth=1
	s_or_b32 exec_lo, exec_lo, s0
	s_and_saveexec_b32 s0, s2
	s_cbranch_execz .LBB5_8
	s_branch .LBB5_24
.LBB5_20:                               ;   in Loop: Header=BB5_9 Depth=1
	v_add_co_u32 v9, s3, v21, s6
	s_delay_alu instid0(VALU_DEP_1) | instskip(SKIP_1) | instid1(VALU_DEP_1)
	v_add_co_ci_u32_e64 v10, s3, s7, v22, s3
	v_add_co_u32 v15, s3, v23, s6
	v_add_co_ci_u32_e64 v16, s3, s7, v24, s3
	global_load_b64 v[9:10], v[9:10], off
	global_load_b64 v[15:16], v[15:16], off
	s_or_b32 exec_lo, exec_lo, s16
	s_and_saveexec_b32 s3, vcc_lo
	s_cbranch_execz .LBB5_17
.LBB5_21:                               ;   in Loop: Header=BB5_9 Depth=1
	s_waitcnt vmcnt(0)
	v_fma_f64 v[3:4], v[5:6], s[4:5], v[3:4]
	v_add_co_u32 v5, vcc_lo, v17, s6
	v_add_co_ci_u32_e32 v6, vcc_lo, s7, v18, vcc_lo
	global_store_b64 v[5:6], v[3:4], off
	s_or_b32 exec_lo, exec_lo, s3
	s_and_saveexec_b32 s3, s0
	s_cbranch_execz .LBB5_18
.LBB5_22:                               ;   in Loop: Header=BB5_9 Depth=1
	s_waitcnt vmcnt(0)
	v_fma_f64 v[1:2], v[7:8], s[4:5], v[1:2]
	v_add_co_u32 v3, vcc_lo, v35, s6
	v_add_co_ci_u32_e32 v4, vcc_lo, s7, v36, vcc_lo
	global_store_b64 v[3:4], v[1:2], off
	s_or_b32 exec_lo, exec_lo, s3
	s_and_saveexec_b32 s0, s1
	s_cbranch_execz .LBB5_19
.LBB5_23:                               ;   in Loop: Header=BB5_9 Depth=1
	s_waitcnt vmcnt(0)
	v_fma_f64 v[1:2], v[13:14], s[4:5], v[11:12]
	v_add_co_u32 v3, vcc_lo, v27, s6
	v_add_co_ci_u32_e32 v4, vcc_lo, s7, v28, vcc_lo
	global_store_b64 v[3:4], v[1:2], off
	s_or_b32 exec_lo, exec_lo, s0
	s_and_saveexec_b32 s0, s2
	s_cbranch_execz .LBB5_8
.LBB5_24:                               ;   in Loop: Header=BB5_9 Depth=1
	s_waitcnt vmcnt(0)
	v_fma_f64 v[1:2], v[15:16], s[4:5], v[9:10]
	v_add_co_u32 v3, vcc_lo, v21, s6
	v_add_co_ci_u32_e32 v4, vcc_lo, s7, v22, vcc_lo
	global_store_b64 v[3:4], v[1:2], off
	s_branch .LBB5_8
.LBB5_25:
	s_nop 0
	s_sendmsg sendmsg(MSG_DEALLOC_VGPRS)
	s_endpgm
	.section	.rodata,"a",@progbits
	.p2align	6, 0x0
	.amdhsa_kernel _ZN2at6native12_GLOBAL__N_125multi_tensor_apply_kernelINS1_18TensorListMetadataILi2EEENS1_24BinaryOpListAlphaFunctorIdLi2ELi2ELi0EEEJSt4plusIdEdEEEvT_T0_DpT1_
		.amdhsa_group_segment_fixed_size 0
		.amdhsa_private_segment_fixed_size 0
		.amdhsa_kernarg_size 3416
		.amdhsa_user_sgpr_count 15
		.amdhsa_user_sgpr_dispatch_ptr 0
		.amdhsa_user_sgpr_queue_ptr 0
		.amdhsa_user_sgpr_kernarg_segment_ptr 1
		.amdhsa_user_sgpr_dispatch_id 0
		.amdhsa_user_sgpr_private_segment_size 0
		.amdhsa_wavefront_size32 1
		.amdhsa_uses_dynamic_stack 0
		.amdhsa_enable_private_segment 0
		.amdhsa_system_sgpr_workgroup_id_x 1
		.amdhsa_system_sgpr_workgroup_id_y 0
		.amdhsa_system_sgpr_workgroup_id_z 0
		.amdhsa_system_sgpr_workgroup_info 0
		.amdhsa_system_vgpr_workitem_id 0
		.amdhsa_next_free_vgpr 39
		.amdhsa_next_free_sgpr 24
		.amdhsa_reserve_vcc 1
		.amdhsa_float_round_mode_32 0
		.amdhsa_float_round_mode_16_64 0
		.amdhsa_float_denorm_mode_32 3
		.amdhsa_float_denorm_mode_16_64 3
		.amdhsa_dx10_clamp 1
		.amdhsa_ieee_mode 1
		.amdhsa_fp16_overflow 0
		.amdhsa_workgroup_processor_mode 1
		.amdhsa_memory_ordered 1
		.amdhsa_forward_progress 0
		.amdhsa_shared_vgpr_count 0
		.amdhsa_exception_fp_ieee_invalid_op 0
		.amdhsa_exception_fp_denorm_src 0
		.amdhsa_exception_fp_ieee_div_zero 0
		.amdhsa_exception_fp_ieee_overflow 0
		.amdhsa_exception_fp_ieee_underflow 0
		.amdhsa_exception_fp_ieee_inexact 0
		.amdhsa_exception_int_div_zero 0
	.end_amdhsa_kernel
	.section	.text._ZN2at6native12_GLOBAL__N_125multi_tensor_apply_kernelINS1_18TensorListMetadataILi2EEENS1_24BinaryOpListAlphaFunctorIdLi2ELi2ELi0EEEJSt4plusIdEdEEEvT_T0_DpT1_,"axG",@progbits,_ZN2at6native12_GLOBAL__N_125multi_tensor_apply_kernelINS1_18TensorListMetadataILi2EEENS1_24BinaryOpListAlphaFunctorIdLi2ELi2ELi0EEEJSt4plusIdEdEEEvT_T0_DpT1_,comdat
.Lfunc_end5:
	.size	_ZN2at6native12_GLOBAL__N_125multi_tensor_apply_kernelINS1_18TensorListMetadataILi2EEENS1_24BinaryOpListAlphaFunctorIdLi2ELi2ELi0EEEJSt4plusIdEdEEEvT_T0_DpT1_, .Lfunc_end5-_ZN2at6native12_GLOBAL__N_125multi_tensor_apply_kernelINS1_18TensorListMetadataILi2EEENS1_24BinaryOpListAlphaFunctorIdLi2ELi2ELi0EEEJSt4plusIdEdEEEvT_T0_DpT1_
                                        ; -- End function
	.section	.AMDGPU.csdata,"",@progbits
; Kernel info:
; codeLenInByte = 1636
; NumSgprs: 26
; NumVgprs: 39
; ScratchSize: 0
; MemoryBound: 0
; FloatMode: 240
; IeeeMode: 1
; LDSByteSize: 0 bytes/workgroup (compile time only)
; SGPRBlocks: 3
; VGPRBlocks: 4
; NumSGPRsForWavesPerEU: 26
; NumVGPRsForWavesPerEU: 39
; Occupancy: 16
; WaveLimiterHint : 0
; COMPUTE_PGM_RSRC2:SCRATCH_EN: 0
; COMPUTE_PGM_RSRC2:USER_SGPR: 15
; COMPUTE_PGM_RSRC2:TRAP_HANDLER: 0
; COMPUTE_PGM_RSRC2:TGID_X_EN: 1
; COMPUTE_PGM_RSRC2:TGID_Y_EN: 0
; COMPUTE_PGM_RSRC2:TGID_Z_EN: 0
; COMPUTE_PGM_RSRC2:TIDIG_COMP_CNT: 0
	.section	.text._ZN2at6native12_GLOBAL__N_125multi_tensor_apply_kernelINS1_18TensorListMetadataILi2EEENS1_24BinaryOpListAlphaFunctorIfLi2ELi2ELi0EEEJSt4plusIfEfEEEvT_T0_DpT1_,"axG",@progbits,_ZN2at6native12_GLOBAL__N_125multi_tensor_apply_kernelINS1_18TensorListMetadataILi2EEENS1_24BinaryOpListAlphaFunctorIfLi2ELi2ELi0EEEJSt4plusIfEfEEEvT_T0_DpT1_,comdat
	.globl	_ZN2at6native12_GLOBAL__N_125multi_tensor_apply_kernelINS1_18TensorListMetadataILi2EEENS1_24BinaryOpListAlphaFunctorIfLi2ELi2ELi0EEEJSt4plusIfEfEEEvT_T0_DpT1_ ; -- Begin function _ZN2at6native12_GLOBAL__N_125multi_tensor_apply_kernelINS1_18TensorListMetadataILi2EEENS1_24BinaryOpListAlphaFunctorIfLi2ELi2ELi0EEEJSt4plusIfEfEEEvT_T0_DpT1_
	.p2align	8
	.type	_ZN2at6native12_GLOBAL__N_125multi_tensor_apply_kernelINS1_18TensorListMetadataILi2EEENS1_24BinaryOpListAlphaFunctorIfLi2ELi2ELi0EEEJSt4plusIfEfEEEvT_T0_DpT1_,@function
_ZN2at6native12_GLOBAL__N_125multi_tensor_apply_kernelINS1_18TensorListMetadataILi2EEENS1_24BinaryOpListAlphaFunctorIfLi2ELi2ELi0EEEJSt4plusIfEfEEEvT_T0_DpT1_: ; @_ZN2at6native12_GLOBAL__N_125multi_tensor_apply_kernelINS1_18TensorListMetadataILi2EEENS1_24BinaryOpListAlphaFunctorIfLi2ELi2ELi0EEEJSt4plusIfEfEEEvT_T0_DpT1_
; %bb.0:
	v_mov_b32_e32 v1, s15
	s_add_u32 s2, s0, s15
	s_mul_hi_u32 s3, s15, 3
	s_mul_i32 s15, s15, 3
	s_addc_u32 s4, s1, 0
	global_load_u8 v1, v1, s[0:1] offset:1536
	s_add_u32 s2, s2, s15
	s_addc_u32 s3, s4, s3
	s_mov_b32 s19, 0
	s_load_b32 s2, s[2:3], 0x740
	s_mov_b32 s21, s19
	s_mov_b32 s23, s19
	s_waitcnt vmcnt(0)
	v_readfirstlane_b32 s3, v1
	s_delay_alu instid0(VALU_DEP_1)
	s_lshl_b32 s3, s3, 3
	s_clause 0x3
	s_load_b64 s[10:11], s[0:1], s3 offset:0x0
	s_load_b64 s[12:13], s[0:1], s3 offset:0x200
	;; [unrolled: 1-line block ×3, first 2 shown]
	s_load_b32 s14, s[0:1], 0xc4c
	s_waitcnt lgkmcnt(0)
	s_ashr_i32 s3, s2, 31
	s_delay_alu instid0(SALU_CYCLE_1) | instskip(NEXT) | instid1(SALU_CYCLE_1)
	s_lshl_b64 s[4:5], s[2:3], 18
	s_add_u32 s8, s10, s4
	s_addc_u32 s9, s11, s5
	s_and_b32 s18, s8, 15
	s_add_u32 s15, s12, s4
	s_addc_u32 s16, s13, s5
	s_and_b32 s20, s6, 3
	s_and_b32 s22, s15, 15
	s_or_b64 s[18:19], s[18:19], s[20:21]
	s_lshl_b64 s[2:3], s[2:3], 16
	s_or_b64 s[18:19], s[22:23], s[18:19]
	s_sub_u32 s6, s6, s2
	s_subb_u32 s7, s7, s3
	s_cmp_eq_u64 s[18:19], 0
	s_mov_b32 s2, -1
	s_cbranch_scc0 .LBB6_5
; %bb.1:
	v_dual_mov_b32 v2, 0 :: v_dual_lshlrev_b32 v1, 2, v0
	s_mov_b32 s17, exec_lo
	s_delay_alu instid0(VALU_DEP_1)
	v_cmpx_gt_i64_e64 s[6:7], v[1:2]
	s_cbranch_execz .LBB6_4
; %bb.2:
	s_load_b32 s2, s[0:1], 0xc5c
	v_lshlrev_b32_e32 v3, 4, v0
	s_mov_b32 s18, 0
	s_waitcnt lgkmcnt(0)
	s_and_b32 s2, s2, 0xffff
	s_delay_alu instid0(SALU_CYCLE_1)
	v_add_lshl_u32 v1, v0, s2, 2
	s_lshl_b32 s19, s2, 2
	s_lshl_b32 s20, s2, 4
	s_set_inst_prefetch_distance 0x1
	.p2align	6
.LBB6_3:                                ; =>This Inner Loop Header: Depth=1
	v_add_co_u32 v12, s2, s8, v3
	s_delay_alu instid0(VALU_DEP_1) | instskip(SKIP_1) | instid1(VALU_DEP_1)
	v_add_co_ci_u32_e64 v13, null, s9, 0, s2
	v_add_co_u32 v8, s2, s15, v3
	v_add_co_ci_u32_e64 v9, null, s16, 0, s2
	global_load_b128 v[4:7], v[12:13], off
	global_load_b128 v[8:11], v[8:9], off
	v_cmp_le_i64_e32 vcc_lo, s[6:7], v[1:2]
	v_cmp_lt_u64_e64 s2, 0xffff, v[1:2]
	v_add_co_u32 v1, s3, v1, s19
	s_delay_alu instid0(VALU_DEP_1) | instskip(NEXT) | instid1(VALU_DEP_3)
	v_add_co_ci_u32_e64 v2, s3, 0, v2, s3
	s_or_b32 s2, vcc_lo, s2
	s_add_u32 s8, s8, s20
	s_addc_u32 s9, s9, 0
	s_add_u32 s15, s15, s20
	s_addc_u32 s16, s16, 0
	s_and_b32 s2, exec_lo, s2
	s_delay_alu instid0(SALU_CYCLE_1)
	s_or_b32 s18, s2, s18
	s_waitcnt vmcnt(0)
	v_fma_f32 v4, s14, v8, v4
	v_fma_f32 v5, s14, v9, v5
	;; [unrolled: 1-line block ×3, first 2 shown]
	v_fmac_f32_e32 v7, s14, v11
	global_store_b128 v[12:13], v[4:7], off
	s_and_not1_b32 exec_lo, exec_lo, s18
	s_cbranch_execnz .LBB6_3
.LBB6_4:
	s_set_inst_prefetch_distance 0x2
	s_or_b32 exec_lo, exec_lo, s17
	s_mov_b32 s2, 0
.LBB6_5:
	s_delay_alu instid0(SALU_CYCLE_1)
	s_and_not1_b32 vcc_lo, exec_lo, s2
	s_cbranch_vccnz .LBB6_25
; %bb.6:
	v_cmp_lt_i64_e64 s2, s[6:7], 1
	s_delay_alu instid0(VALU_DEP_1)
	s_and_b32 vcc_lo, exec_lo, s2
	s_cbranch_vccnz .LBB6_25
; %bb.7:
	s_load_b32 s0, s[0:1], 0xc5c
	v_dual_mov_b32 v10, 0 :: v_dual_lshlrev_b32 v9, 2, v0
	v_cmp_gt_u64_e64 s1, 0x10000, s[6:7]
	s_delay_alu instid0(VALU_DEP_2) | instskip(NEXT) | instid1(VALU_DEP_1)
	v_add_co_u32 v1, s2, s10, v9
	v_add_co_ci_u32_e64 v2, null, s11, 0, s2
	v_add_co_u32 v3, s2, s12, v9
	s_delay_alu instid0(VALU_DEP_1)
	v_add_co_ci_u32_e64 v4, null, s13, 0, s2
	s_waitcnt lgkmcnt(0)
	s_and_b32 s0, s0, 0xffff
	s_and_b32 s1, s1, exec_lo
	v_mad_u64_u32 v[7:8], null, s0, 12, v[9:10]
	s_cselect_b32 s9, s7, 0
	s_cselect_b32 s8, s6, 0x10000
	s_mul_i32 s2, s0, 3
	s_lshl_b32 s3, s0, 3
	s_lshl_b32 s1, s0, 1
	v_add_co_u32 v14, s3, s3, v9
	v_add_co_u32 v9, s2, s2, v0
	s_delay_alu instid0(VALU_DEP_1) | instskip(SKIP_3) | instid1(VALU_DEP_3)
	v_add_co_ci_u32_e64 v10, null, 0, 0, s2
	v_add_co_u32 v13, s2, v0, s0
	v_add_co_u32 v5, vcc_lo, s10, v7
	v_add_co_ci_u32_e32 v6, vcc_lo, s11, v8, vcc_lo
	v_lshlrev_b32_e32 v21, 2, v13
	v_add_co_u32 v7, vcc_lo, s12, v7
	v_add_co_ci_u32_e64 v15, null, 0, 0, s3
	v_add_co_ci_u32_e32 v8, vcc_lo, s13, v8, vcc_lo
	v_add_co_u32 v17, s1, s1, v0
	v_add_co_u32 v11, vcc_lo, s10, v14
	v_add_co_ci_u32_e64 v18, null, 0, 0, s1
	v_add_co_u32 v19, s1, s10, v21
	v_add_co_ci_u32_e32 v12, vcc_lo, s11, v15, vcc_lo
	v_add_co_u32 v14, vcc_lo, s12, v14
	v_add_co_ci_u32_e64 v20, null, s11, 0, s1
	v_add_co_u32 v21, s1, s12, v21
	v_add_co_ci_u32_e32 v15, vcc_lo, s13, v15, vcc_lo
	v_add_co_ci_u32_e64 v16, null, 0, 0, s2
	v_add_co_ci_u32_e64 v22, null, s13, 0, s1
	s_lshl_b32 s12, s0, 2
	s_lshl_b32 s13, s0, 4
	s_mov_b64 s[10:11], 0
	s_branch .LBB6_9
.LBB6_8:                                ;   in Loop: Header=BB6_9 Depth=1
	s_or_b32 exec_lo, exec_lo, s0
	v_add_co_u32 v1, vcc_lo, v1, s13
	v_add_co_ci_u32_e32 v2, vcc_lo, 0, v2, vcc_lo
	v_add_co_u32 v3, vcc_lo, v3, s13
	v_add_co_ci_u32_e32 v4, vcc_lo, 0, v4, vcc_lo
	;; [unrolled: 2-line block ×5, first 2 shown]
	s_add_u32 s10, s10, s12
	v_add_co_u32 v14, vcc_lo, v14, s13
	s_addc_u32 s11, s11, 0
	v_add_co_ci_u32_e32 v15, vcc_lo, 0, v15, vcc_lo
	v_cmp_ge_i64_e64 s0, s[10:11], s[6:7]
	v_cmp_lt_u64_e64 s1, 0xffff, s[10:11]
	v_add_co_u32 v19, vcc_lo, v19, s13
	v_add_co_ci_u32_e32 v20, vcc_lo, 0, v20, vcc_lo
	v_add_co_u32 v21, vcc_lo, v21, s13
	v_add_co_ci_u32_e32 v22, vcc_lo, 0, v22, vcc_lo
	s_or_b32 s0, s0, s1
	s_delay_alu instid0(SALU_CYCLE_1)
	s_and_b32 vcc_lo, exec_lo, s0
	s_cbranch_vccnz .LBB6_25
.LBB6_9:                                ; =>This Inner Loop Header: Depth=1
	s_waitcnt vmcnt(1)
	v_add_co_u32 v23, s0, v0, s10
	s_delay_alu instid0(VALU_DEP_1) | instskip(SKIP_2) | instid1(VALU_DEP_2)
	v_add_co_ci_u32_e64 v24, null, 0, s11, s0
	s_waitcnt vmcnt(0)
	v_mov_b32_e32 v25, 0
	v_cmp_gt_u64_e32 vcc_lo, s[8:9], v[23:24]
	v_mov_b32_e32 v23, 0
	s_and_saveexec_b32 s1, vcc_lo
	s_cbranch_execz .LBB6_11
; %bb.10:                               ;   in Loop: Header=BB6_9 Depth=1
	v_add_co_u32 v23, s0, v1, s4
	s_delay_alu instid0(VALU_DEP_1) | instskip(SKIP_1) | instid1(VALU_DEP_1)
	v_add_co_ci_u32_e64 v24, s0, s5, v2, s0
	v_add_co_u32 v25, s0, v3, s4
	v_add_co_ci_u32_e64 v26, s0, s5, v4, s0
	global_load_b32 v23, v[23:24], off
	global_load_b32 v25, v[25:26], off
.LBB6_11:                               ;   in Loop: Header=BB6_9 Depth=1
	s_or_b32 exec_lo, exec_lo, s1
	v_add_co_u32 v26, s0, v13, s10
	s_delay_alu instid0(VALU_DEP_1) | instskip(SKIP_1) | instid1(VALU_DEP_2)
	v_add_co_ci_u32_e64 v27, s0, s11, v16, s0
	v_mov_b32_e32 v24, 0
	v_cmp_gt_u64_e64 s0, s[8:9], v[26:27]
	v_dual_mov_b32 v27, 0 :: v_dual_mov_b32 v26, 0
	s_delay_alu instid0(VALU_DEP_2)
	s_and_saveexec_b32 s2, s0
	s_cbranch_execz .LBB6_13
; %bb.12:                               ;   in Loop: Header=BB6_9 Depth=1
	v_add_co_u32 v26, s1, v19, s4
	s_delay_alu instid0(VALU_DEP_1) | instskip(SKIP_1) | instid1(VALU_DEP_1)
	v_add_co_ci_u32_e64 v27, s1, s5, v20, s1
	v_add_co_u32 v28, s1, v21, s4
	v_add_co_ci_u32_e64 v29, s1, s5, v22, s1
	global_load_b32 v26, v[26:27], off
	global_load_b32 v27, v[28:29], off
.LBB6_13:                               ;   in Loop: Header=BB6_9 Depth=1
	s_or_b32 exec_lo, exec_lo, s2
	v_add_co_u32 v28, s1, v17, s10
	s_delay_alu instid0(VALU_DEP_1) | instskip(NEXT) | instid1(VALU_DEP_1)
	v_add_co_ci_u32_e64 v29, s1, s11, v18, s1
	v_cmp_gt_u64_e64 s1, s[8:9], v[28:29]
	v_mov_b32_e32 v28, 0
	s_delay_alu instid0(VALU_DEP_2)
	s_and_saveexec_b32 s3, s1
	s_cbranch_execz .LBB6_15
; %bb.14:                               ;   in Loop: Header=BB6_9 Depth=1
	v_add_co_u32 v28, s2, v11, s4
	s_delay_alu instid0(VALU_DEP_1) | instskip(SKIP_1) | instid1(VALU_DEP_1)
	v_add_co_ci_u32_e64 v29, s2, s5, v12, s2
	v_add_co_u32 v30, s2, v14, s4
	v_add_co_ci_u32_e64 v31, s2, s5, v15, s2
	global_load_b32 v24, v[28:29], off
	global_load_b32 v28, v[30:31], off
.LBB6_15:                               ;   in Loop: Header=BB6_9 Depth=1
	s_or_b32 exec_lo, exec_lo, s3
	v_add_co_u32 v29, s2, v9, s10
	s_delay_alu instid0(VALU_DEP_1) | instskip(NEXT) | instid1(VALU_DEP_1)
	v_add_co_ci_u32_e64 v30, s2, s11, v10, s2
	v_cmp_gt_u64_e64 s2, s[8:9], v[29:30]
	v_dual_mov_b32 v29, 0 :: v_dual_mov_b32 v30, 0
	s_delay_alu instid0(VALU_DEP_2)
	s_and_saveexec_b32 s15, s2
	s_cbranch_execnz .LBB6_20
; %bb.16:                               ;   in Loop: Header=BB6_9 Depth=1
	s_or_b32 exec_lo, exec_lo, s15
	s_and_saveexec_b32 s3, vcc_lo
	s_cbranch_execnz .LBB6_21
.LBB6_17:                               ;   in Loop: Header=BB6_9 Depth=1
	s_or_b32 exec_lo, exec_lo, s3
	s_and_saveexec_b32 s3, s0
	s_cbranch_execnz .LBB6_22
.LBB6_18:                               ;   in Loop: Header=BB6_9 Depth=1
	s_or_b32 exec_lo, exec_lo, s3
	s_and_saveexec_b32 s0, s1
	s_cbranch_execnz .LBB6_23
.LBB6_19:                               ;   in Loop: Header=BB6_9 Depth=1
	s_or_b32 exec_lo, exec_lo, s0
	s_and_saveexec_b32 s0, s2
	s_cbranch_execz .LBB6_8
	s_branch .LBB6_24
.LBB6_20:                               ;   in Loop: Header=BB6_9 Depth=1
	v_add_co_u32 v29, s3, v5, s4
	s_delay_alu instid0(VALU_DEP_1) | instskip(SKIP_1) | instid1(VALU_DEP_1)
	v_add_co_ci_u32_e64 v30, s3, s5, v6, s3
	v_add_co_u32 v31, s3, v7, s4
	v_add_co_ci_u32_e64 v32, s3, s5, v8, s3
	global_load_b32 v29, v[29:30], off
	global_load_b32 v30, v[31:32], off
	s_or_b32 exec_lo, exec_lo, s15
	s_and_saveexec_b32 s3, vcc_lo
	s_cbranch_execz .LBB6_17
.LBB6_21:                               ;   in Loop: Header=BB6_9 Depth=1
	v_add_co_u32 v31, vcc_lo, v1, s4
	v_add_co_ci_u32_e32 v32, vcc_lo, s5, v2, vcc_lo
	s_waitcnt vmcnt(0)
	v_fmac_f32_e32 v23, s14, v25
	global_store_b32 v[31:32], v23, off
	s_or_b32 exec_lo, exec_lo, s3
	s_and_saveexec_b32 s3, s0
	s_cbranch_execz .LBB6_18
.LBB6_22:                               ;   in Loop: Header=BB6_9 Depth=1
	v_add_co_u32 v31, vcc_lo, v19, s4
	s_waitcnt vmcnt(0)
	v_fmac_f32_e32 v26, s14, v27
	v_add_co_ci_u32_e32 v32, vcc_lo, s5, v20, vcc_lo
	global_store_b32 v[31:32], v26, off
	s_or_b32 exec_lo, exec_lo, s3
	s_and_saveexec_b32 s0, s1
	s_cbranch_execz .LBB6_19
.LBB6_23:                               ;   in Loop: Header=BB6_9 Depth=1
	s_waitcnt vmcnt(0)
	v_add_co_u32 v25, vcc_lo, v11, s4
	v_fmac_f32_e32 v24, s14, v28
	v_add_co_ci_u32_e32 v26, vcc_lo, s5, v12, vcc_lo
	global_store_b32 v[25:26], v24, off
	s_or_b32 exec_lo, exec_lo, s0
	s_and_saveexec_b32 s0, s2
	s_cbranch_execz .LBB6_8
.LBB6_24:                               ;   in Loop: Header=BB6_9 Depth=1
	s_waitcnt vmcnt(1)
	v_add_co_u32 v23, vcc_lo, v5, s4
	s_waitcnt vmcnt(0)
	v_fmac_f32_e32 v29, s14, v30
	v_add_co_ci_u32_e32 v24, vcc_lo, s5, v6, vcc_lo
	global_store_b32 v[23:24], v29, off
	s_branch .LBB6_8
.LBB6_25:
	s_nop 0
	s_sendmsg sendmsg(MSG_DEALLOC_VGPRS)
	s_endpgm
	.section	.rodata,"a",@progbits
	.p2align	6, 0x0
	.amdhsa_kernel _ZN2at6native12_GLOBAL__N_125multi_tensor_apply_kernelINS1_18TensorListMetadataILi2EEENS1_24BinaryOpListAlphaFunctorIfLi2ELi2ELi0EEEJSt4plusIfEfEEEvT_T0_DpT1_
		.amdhsa_group_segment_fixed_size 0
		.amdhsa_private_segment_fixed_size 0
		.amdhsa_kernarg_size 3408
		.amdhsa_user_sgpr_count 15
		.amdhsa_user_sgpr_dispatch_ptr 0
		.amdhsa_user_sgpr_queue_ptr 0
		.amdhsa_user_sgpr_kernarg_segment_ptr 1
		.amdhsa_user_sgpr_dispatch_id 0
		.amdhsa_user_sgpr_private_segment_size 0
		.amdhsa_wavefront_size32 1
		.amdhsa_uses_dynamic_stack 0
		.amdhsa_enable_private_segment 0
		.amdhsa_system_sgpr_workgroup_id_x 1
		.amdhsa_system_sgpr_workgroup_id_y 0
		.amdhsa_system_sgpr_workgroup_id_z 0
		.amdhsa_system_sgpr_workgroup_info 0
		.amdhsa_system_vgpr_workitem_id 0
		.amdhsa_next_free_vgpr 33
		.amdhsa_next_free_sgpr 24
		.amdhsa_reserve_vcc 1
		.amdhsa_float_round_mode_32 0
		.amdhsa_float_round_mode_16_64 0
		.amdhsa_float_denorm_mode_32 3
		.amdhsa_float_denorm_mode_16_64 3
		.amdhsa_dx10_clamp 1
		.amdhsa_ieee_mode 1
		.amdhsa_fp16_overflow 0
		.amdhsa_workgroup_processor_mode 1
		.amdhsa_memory_ordered 1
		.amdhsa_forward_progress 0
		.amdhsa_shared_vgpr_count 0
		.amdhsa_exception_fp_ieee_invalid_op 0
		.amdhsa_exception_fp_denorm_src 0
		.amdhsa_exception_fp_ieee_div_zero 0
		.amdhsa_exception_fp_ieee_overflow 0
		.amdhsa_exception_fp_ieee_underflow 0
		.amdhsa_exception_fp_ieee_inexact 0
		.amdhsa_exception_int_div_zero 0
	.end_amdhsa_kernel
	.section	.text._ZN2at6native12_GLOBAL__N_125multi_tensor_apply_kernelINS1_18TensorListMetadataILi2EEENS1_24BinaryOpListAlphaFunctorIfLi2ELi2ELi0EEEJSt4plusIfEfEEEvT_T0_DpT1_,"axG",@progbits,_ZN2at6native12_GLOBAL__N_125multi_tensor_apply_kernelINS1_18TensorListMetadataILi2EEENS1_24BinaryOpListAlphaFunctorIfLi2ELi2ELi0EEEJSt4plusIfEfEEEvT_T0_DpT1_,comdat
.Lfunc_end6:
	.size	_ZN2at6native12_GLOBAL__N_125multi_tensor_apply_kernelINS1_18TensorListMetadataILi2EEENS1_24BinaryOpListAlphaFunctorIfLi2ELi2ELi0EEEJSt4plusIfEfEEEvT_T0_DpT1_, .Lfunc_end6-_ZN2at6native12_GLOBAL__N_125multi_tensor_apply_kernelINS1_18TensorListMetadataILi2EEENS1_24BinaryOpListAlphaFunctorIfLi2ELi2ELi0EEEJSt4plusIfEfEEEvT_T0_DpT1_
                                        ; -- End function
	.section	.AMDGPU.csdata,"",@progbits
; Kernel info:
; codeLenInByte = 1548
; NumSgprs: 26
; NumVgprs: 33
; ScratchSize: 0
; MemoryBound: 0
; FloatMode: 240
; IeeeMode: 1
; LDSByteSize: 0 bytes/workgroup (compile time only)
; SGPRBlocks: 3
; VGPRBlocks: 4
; NumSGPRsForWavesPerEU: 26
; NumVGPRsForWavesPerEU: 33
; Occupancy: 16
; WaveLimiterHint : 0
; COMPUTE_PGM_RSRC2:SCRATCH_EN: 0
; COMPUTE_PGM_RSRC2:USER_SGPR: 15
; COMPUTE_PGM_RSRC2:TRAP_HANDLER: 0
; COMPUTE_PGM_RSRC2:TGID_X_EN: 1
; COMPUTE_PGM_RSRC2:TGID_Y_EN: 0
; COMPUTE_PGM_RSRC2:TGID_Z_EN: 0
; COMPUTE_PGM_RSRC2:TIDIG_COMP_CNT: 0
	.section	.text._ZN2at6native12_GLOBAL__N_125multi_tensor_apply_kernelINS1_18TensorListMetadataILi2EEENS1_24BinaryOpListAlphaFunctorIN3c107complexIdEELi2ELi2ELi0EEEJSt4plusIS8_ES8_EEEvT_T0_DpT1_,"axG",@progbits,_ZN2at6native12_GLOBAL__N_125multi_tensor_apply_kernelINS1_18TensorListMetadataILi2EEENS1_24BinaryOpListAlphaFunctorIN3c107complexIdEELi2ELi2ELi0EEEJSt4plusIS8_ES8_EEEvT_T0_DpT1_,comdat
	.globl	_ZN2at6native12_GLOBAL__N_125multi_tensor_apply_kernelINS1_18TensorListMetadataILi2EEENS1_24BinaryOpListAlphaFunctorIN3c107complexIdEELi2ELi2ELi0EEEJSt4plusIS8_ES8_EEEvT_T0_DpT1_ ; -- Begin function _ZN2at6native12_GLOBAL__N_125multi_tensor_apply_kernelINS1_18TensorListMetadataILi2EEENS1_24BinaryOpListAlphaFunctorIN3c107complexIdEELi2ELi2ELi0EEEJSt4plusIS8_ES8_EEEvT_T0_DpT1_
	.p2align	8
	.type	_ZN2at6native12_GLOBAL__N_125multi_tensor_apply_kernelINS1_18TensorListMetadataILi2EEENS1_24BinaryOpListAlphaFunctorIN3c107complexIdEELi2ELi2ELi0EEEJSt4plusIS8_ES8_EEEvT_T0_DpT1_,@function
_ZN2at6native12_GLOBAL__N_125multi_tensor_apply_kernelINS1_18TensorListMetadataILi2EEENS1_24BinaryOpListAlphaFunctorIN3c107complexIdEELi2ELi2ELi0EEEJSt4plusIS8_ES8_EEEvT_T0_DpT1_: ; @_ZN2at6native12_GLOBAL__N_125multi_tensor_apply_kernelINS1_18TensorListMetadataILi2EEENS1_24BinaryOpListAlphaFunctorIN3c107complexIdEELi2ELi2ELi0EEEJSt4plusIS8_ES8_EEEvT_T0_DpT1_
; %bb.0:
	v_mov_b32_e32 v1, s15
	s_add_u32 s2, s0, s15
	s_mul_hi_u32 s3, s15, 3
	s_mul_i32 s15, s15, 3
	s_addc_u32 s4, s1, 0
	global_load_u8 v1, v1, s[0:1] offset:1536
	s_add_u32 s2, s2, s15
	s_addc_u32 s3, s4, s3
	s_mov_b32 s21, 0
	s_load_b32 s2, s[2:3], 0x740
	s_mov_b32 s23, s21
	s_mov_b32 s25, s21
	s_waitcnt vmcnt(0)
	v_readfirstlane_b32 s3, v1
	s_delay_alu instid0(VALU_DEP_1)
	s_lshl_b32 s3, s3, 3
	s_clause 0x3
	s_load_b64 s[16:17], s[0:1], s3 offset:0x0
	s_load_b64 s[18:19], s[0:1], s3 offset:0x200
	;; [unrolled: 1-line block ×3, first 2 shown]
	s_load_b128 s[4:7], s[0:1], 0xc50
	s_waitcnt lgkmcnt(0)
	s_ashr_i32 s3, s2, 31
	s_delay_alu instid0(SALU_CYCLE_1) | instskip(NEXT) | instid1(SALU_CYCLE_1)
	s_lshl_b64 s[8:9], s[2:3], 20
	s_add_u32 s12, s16, s8
	s_addc_u32 s13, s17, s9
	s_add_u32 s14, s18, s8
	s_addc_u32 s15, s19, s9
	s_and_b32 s22, s12, 63
	s_and_b32 s24, s10, 3
	;; [unrolled: 1-line block ×3, first 2 shown]
	s_or_b64 s[22:23], s[22:23], s[24:25]
	s_lshl_b64 s[2:3], s[2:3], 16
	s_or_b64 s[20:21], s[20:21], s[22:23]
	s_sub_u32 s10, s10, s2
	s_subb_u32 s11, s11, s3
	s_cmp_eq_u64 s[20:21], 0
	s_mov_b32 s2, -1
	s_cbranch_scc0 .LBB7_5
; %bb.1:
	v_dual_mov_b32 v2, 0 :: v_dual_lshlrev_b32 v1, 2, v0
	s_mov_b32 s20, exec_lo
	s_delay_alu instid0(VALU_DEP_1)
	v_cmpx_gt_i64_e64 s[10:11], v[1:2]
	s_cbranch_execz .LBB7_4
; %bb.2:
	s_load_b32 s2, s[0:1], 0xc6c
	v_lshlrev_b32_e32 v3, 6, v0
	s_mov_b32 s21, 0
	s_waitcnt lgkmcnt(0)
	s_and_b32 s2, s2, 0xffff
	s_delay_alu instid0(SALU_CYCLE_1)
	v_add_lshl_u32 v1, v0, s2, 2
	s_lshl_b32 s22, s2, 2
	s_lshl_b32 s23, s2, 6
.LBB7_3:                                ; =>This Inner Loop Header: Depth=1
	v_add_co_u32 v16, s2, s14, v3
	s_delay_alu instid0(VALU_DEP_1) | instskip(SKIP_1) | instid1(VALU_DEP_1)
	v_add_co_ci_u32_e64 v17, null, s15, 0, s2
	v_add_co_u32 v36, s2, s12, v3
	v_add_co_ci_u32_e64 v37, null, s13, 0, s2
	s_clause 0x3
	global_load_b128 v[4:7], v[16:17], off
	global_load_b128 v[8:11], v[16:17], off offset:16
	global_load_b128 v[12:15], v[16:17], off offset:32
	;; [unrolled: 1-line block ×3, first 2 shown]
	s_clause 0x3
	global_load_b128 v[20:23], v[36:37], off
	global_load_b128 v[24:27], v[36:37], off offset:16
	global_load_b128 v[28:31], v[36:37], off offset:32
	;; [unrolled: 1-line block ×3, first 2 shown]
	v_cmp_le_i64_e32 vcc_lo, s[10:11], v[1:2]
	v_cmp_lt_u64_e64 s2, 0xffff, v[1:2]
	v_add_co_u32 v1, s3, v1, s22
	s_delay_alu instid0(VALU_DEP_1) | instskip(NEXT) | instid1(VALU_DEP_3)
	v_add_co_ci_u32_e64 v2, s3, 0, v2, s3
	s_or_b32 s2, vcc_lo, s2
	s_add_u32 s12, s12, s23
	s_addc_u32 s13, s13, 0
	s_add_u32 s14, s14, s23
	s_addc_u32 s15, s15, 0
	s_and_b32 s2, exec_lo, s2
	s_delay_alu instid0(SALU_CYCLE_1)
	s_or_b32 s21, s2, s21
	s_waitcnt vmcnt(7)
	v_mul_f64 v[38:39], s[6:7], v[6:7]
	v_mul_f64 v[6:7], s[4:5], v[6:7]
	s_waitcnt vmcnt(6)
	v_mul_f64 v[40:41], s[6:7], v[10:11]
	v_mul_f64 v[10:11], s[4:5], v[10:11]
	;; [unrolled: 3-line block ×4, first 2 shown]
	v_fma_f64 v[38:39], s[4:5], v[4:5], -v[38:39]
	v_fma_f64 v[6:7], s[6:7], v[4:5], v[6:7]
	v_fma_f64 v[40:41], s[4:5], v[8:9], -v[40:41]
	v_fma_f64 v[10:11], s[6:7], v[8:9], v[10:11]
	;; [unrolled: 2-line block ×4, first 2 shown]
	s_waitcnt vmcnt(3)
	v_add_f64 v[4:5], v[20:21], v[38:39]
	v_add_f64 v[6:7], v[22:23], v[6:7]
	s_waitcnt vmcnt(2)
	v_add_f64 v[8:9], v[24:25], v[40:41]
	v_add_f64 v[10:11], v[26:27], v[10:11]
	;; [unrolled: 3-line block ×4, first 2 shown]
	s_clause 0x3
	global_store_b128 v[36:37], v[4:7], off
	global_store_b128 v[36:37], v[8:11], off offset:16
	global_store_b128 v[36:37], v[12:15], off offset:32
	;; [unrolled: 1-line block ×3, first 2 shown]
	s_and_not1_b32 exec_lo, exec_lo, s21
	s_cbranch_execnz .LBB7_3
.LBB7_4:
	s_or_b32 exec_lo, exec_lo, s20
	s_mov_b32 s2, 0
.LBB7_5:
	s_delay_alu instid0(SALU_CYCLE_1)
	s_and_not1_b32 vcc_lo, exec_lo, s2
	s_cbranch_vccnz .LBB7_25
; %bb.6:
	v_cmp_lt_i64_e64 s2, s[10:11], 1
	s_delay_alu instid0(VALU_DEP_1)
	s_and_b32 vcc_lo, exec_lo, s2
	s_cbranch_vccnz .LBB7_25
; %bb.7:
	s_load_b32 s0, s[0:1], 0xc6c
	v_mov_b32_e32 v1, 0
	v_lshl_or_b32 v2, v0, 4, 8
	v_cmp_gt_u64_e64 s1, 0x10000, s[10:11]
	s_mov_b32 s13, 0
	s_delay_alu instid0(VALU_DEP_3) | instskip(NEXT) | instid1(VALU_DEP_3)
	v_mov_b32_e32 v3, v1
	v_add_co_u32 v34, s2, s18, v2
	s_delay_alu instid0(VALU_DEP_1) | instskip(SKIP_1) | instid1(VALU_DEP_1)
	v_add_co_ci_u32_e64 v35, null, s19, 0, s2
	v_add_co_u32 v36, s2, s16, v2
	v_add_co_ci_u32_e64 v37, null, s17, 0, s2
	s_waitcnt lgkmcnt(0)
	s_and_b32 s20, s0, 0xffff
	s_and_b32 s0, s1, exec_lo
	v_add_lshl_u32 v6, v0, s20, 4
	v_mad_u64_u32 v[4:5], null, s20, 48, v[2:3]
	s_cselect_b32 s15, s11, 0
	s_cselect_b32 s14, s10, 0x10000
	s_delay_alu instid0(VALU_DEP_2) | instskip(NEXT) | instid1(VALU_DEP_1)
	v_add_co_u32 v38, s0, s16, v6
	v_add_co_ci_u32_e64 v39, null, s17, 0, s0
	v_add_co_u32 v42, s0, s18, v6
	s_delay_alu instid0(VALU_DEP_1)
	v_add_co_ci_u32_e64 v43, null, s19, 0, s0
	s_lshl_b32 s0, s20, 5
	v_add_co_u32 v40, vcc_lo, s18, v4
	v_add_co_u32 v2, s0, v2, s0
	v_add_co_ci_u32_e32 v41, vcc_lo, s19, v5, vcc_lo
	v_add_co_ci_u32_e64 v3, null, 0, 0, s0
	v_add_co_u32 v44, vcc_lo, s16, v4
	v_add_co_ci_u32_e32 v45, vcc_lo, s17, v5, vcc_lo
	v_add_co_u32 v46, vcc_lo, s18, v2
	s_delay_alu instid0(VALU_DEP_4)
	v_add_co_ci_u32_e32 v47, vcc_lo, s19, v3, vcc_lo
	v_add_co_u32 v48, vcc_lo, s16, v2
	v_add_co_ci_u32_e32 v49, vcc_lo, s17, v3, vcc_lo
	s_lshl_b32 s12, s20, 2
	s_lshl_b32 s21, s20, 1
	s_mul_i32 s22, s20, 3
	s_lshl_b32 s18, s20, 6
	s_mov_b64 s[16:17], s[12:13]
	s_branch .LBB7_9
.LBB7_8:                                ;   in Loop: Header=BB7_9 Depth=1
	s_or_b32 exec_lo, exec_lo, s0
	v_add_co_u32 v0, vcc_lo, v0, s12
	v_add_co_ci_u32_e32 v1, vcc_lo, 0, v1, vcc_lo
	v_add_co_u32 v34, vcc_lo, v34, s18
	v_add_co_ci_u32_e32 v35, vcc_lo, 0, v35, vcc_lo
	;; [unrolled: 2-line block ×7, first 2 shown]
	v_cmp_ge_i64_e64 s0, s[16:17], s[10:11]
	v_cmp_lt_u64_e64 s1, 0xffff, s[16:17]
	v_add_co_u32 v46, vcc_lo, v46, s18
	v_add_co_ci_u32_e32 v47, vcc_lo, 0, v47, vcc_lo
	v_add_co_u32 v48, vcc_lo, v48, s18
	v_add_co_ci_u32_e32 v49, vcc_lo, 0, v49, vcc_lo
	s_or_b32 s0, s0, s1
	s_add_u32 s16, s16, s12
	s_addc_u32 s17, s17, 0
	s_and_b32 vcc_lo, exec_lo, s0
	s_cbranch_vccnz .LBB7_25
.LBB7_9:                                ; =>This Inner Loop Header: Depth=1
	s_waitcnt vmcnt(0)
	v_mov_b32_e32 v4, 0
	v_mov_b32_e32 v5, 0
	v_cmp_gt_u64_e32 vcc_lo, s[14:15], v[0:1]
	s_delay_alu instid0(VALU_DEP_2)
	v_dual_mov_b32 v13, v5 :: v_dual_mov_b32 v12, v4
	v_dual_mov_b32 v11, v5 :: v_dual_mov_b32 v10, v4
	;; [unrolled: 1-line block ×4, first 2 shown]
	s_and_saveexec_b32 s1, vcc_lo
	s_cbranch_execz .LBB7_11
; %bb.10:                               ;   in Loop: Header=BB7_9 Depth=1
	v_add_co_u32 v2, s0, v36, s8
	s_delay_alu instid0(VALU_DEP_1) | instskip(SKIP_1) | instid1(VALU_DEP_1)
	v_add_co_ci_u32_e64 v3, s0, s9, v37, s0
	v_add_co_u32 v10, s0, v34, s8
	v_add_co_ci_u32_e64 v11, s0, s9, v35, s0
	global_load_b128 v[6:9], v[2:3], off offset:-8
	global_load_b128 v[10:13], v[10:11], off offset:-8
.LBB7_11:                               ;   in Loop: Header=BB7_9 Depth=1
	s_or_b32 exec_lo, exec_lo, s1
	v_add_co_u32 v14, s0, s20, v0
	s_delay_alu instid0(VALU_DEP_1) | instskip(SKIP_2) | instid1(VALU_DEP_3)
	v_add_co_ci_u32_e64 v15, s0, 0, v1, s0
	v_dual_mov_b32 v2, v4 :: v_dual_mov_b32 v3, v5
	v_dual_mov_b32 v17, v5 :: v_dual_mov_b32 v16, v4
	v_cmp_gt_u64_e64 s0, s[14:15], v[14:15]
	v_dual_mov_b32 v15, v5 :: v_dual_mov_b32 v14, v4
	s_delay_alu instid0(VALU_DEP_2)
	s_and_saveexec_b32 s2, s0
	s_cbranch_execz .LBB7_13
; %bb.12:                               ;   in Loop: Header=BB7_9 Depth=1
	v_add_co_u32 v2, s1, v38, s8
	s_delay_alu instid0(VALU_DEP_1) | instskip(SKIP_1) | instid1(VALU_DEP_1)
	v_add_co_ci_u32_e64 v3, s1, s9, v39, s1
	v_add_co_u32 v4, s1, v42, s8
	v_add_co_ci_u32_e64 v5, s1, s9, v43, s1
	global_load_b128 v[14:17], v[2:3], off
	global_load_b128 v[2:5], v[4:5], off
.LBB7_13:                               ;   in Loop: Header=BB7_9 Depth=1
	s_or_b32 exec_lo, exec_lo, s2
	v_add_co_u32 v18, s1, s21, v0
	s_delay_alu instid0(VALU_DEP_1) | instskip(SKIP_2) | instid1(VALU_DEP_3)
	v_add_co_ci_u32_e64 v19, s1, 0, v1, s1
	v_mov_b32_e32 v20, 0
	v_mov_b32_e32 v21, 0
	v_cmp_gt_u64_e64 s1, s[14:15], v[18:19]
	s_delay_alu instid0(VALU_DEP_2)
	v_dual_mov_b32 v29, v21 :: v_dual_mov_b32 v28, v20
	v_dual_mov_b32 v27, v21 :: v_dual_mov_b32 v26, v20
	;; [unrolled: 1-line block ×4, first 2 shown]
	s_and_saveexec_b32 s3, s1
	s_cbranch_execz .LBB7_15
; %bb.14:                               ;   in Loop: Header=BB7_9 Depth=1
	v_add_co_u32 v18, s2, v48, s8
	s_delay_alu instid0(VALU_DEP_1) | instskip(SKIP_1) | instid1(VALU_DEP_1)
	v_add_co_ci_u32_e64 v19, s2, s9, v49, s2
	v_add_co_u32 v26, s2, v46, s8
	v_add_co_ci_u32_e64 v27, s2, s9, v47, s2
	global_load_b128 v[22:25], v[18:19], off offset:-8
	global_load_b128 v[26:29], v[26:27], off offset:-8
.LBB7_15:                               ;   in Loop: Header=BB7_9 Depth=1
	s_or_b32 exec_lo, exec_lo, s3
	v_add_co_u32 v30, s2, s22, v0
	s_delay_alu instid0(VALU_DEP_1) | instskip(SKIP_2) | instid1(VALU_DEP_3)
	v_add_co_ci_u32_e64 v31, s2, 0, v1, s2
	v_dual_mov_b32 v18, v20 :: v_dual_mov_b32 v19, v21
	v_dual_mov_b32 v33, v21 :: v_dual_mov_b32 v32, v20
	v_cmp_gt_u64_e64 s2, s[14:15], v[30:31]
	v_dual_mov_b32 v31, v21 :: v_dual_mov_b32 v30, v20
	s_delay_alu instid0(VALU_DEP_2)
	s_and_saveexec_b32 s13, s2
	s_cbranch_execnz .LBB7_20
; %bb.16:                               ;   in Loop: Header=BB7_9 Depth=1
	s_or_b32 exec_lo, exec_lo, s13
	s_and_saveexec_b32 s3, vcc_lo
	s_cbranch_execnz .LBB7_21
.LBB7_17:                               ;   in Loop: Header=BB7_9 Depth=1
	s_or_b32 exec_lo, exec_lo, s3
	s_and_saveexec_b32 s3, s0
	s_cbranch_execnz .LBB7_22
.LBB7_18:                               ;   in Loop: Header=BB7_9 Depth=1
	s_or_b32 exec_lo, exec_lo, s3
	s_and_saveexec_b32 s0, s1
	s_cbranch_execnz .LBB7_23
.LBB7_19:                               ;   in Loop: Header=BB7_9 Depth=1
	s_or_b32 exec_lo, exec_lo, s0
	s_and_saveexec_b32 s0, s2
	s_cbranch_execz .LBB7_8
	s_branch .LBB7_24
.LBB7_20:                               ;   in Loop: Header=BB7_9 Depth=1
	v_add_co_u32 v18, s3, v44, s8
	s_delay_alu instid0(VALU_DEP_1) | instskip(SKIP_1) | instid1(VALU_DEP_1)
	v_add_co_ci_u32_e64 v19, s3, s9, v45, s3
	v_add_co_u32 v20, s3, v40, s8
	v_add_co_ci_u32_e64 v21, s3, s9, v41, s3
	global_load_b128 v[30:33], v[18:19], off offset:-8
	global_load_b128 v[18:21], v[20:21], off offset:-8
	s_or_b32 exec_lo, exec_lo, s13
	s_and_saveexec_b32 s3, vcc_lo
	s_cbranch_execz .LBB7_17
.LBB7_21:                               ;   in Loop: Header=BB7_9 Depth=1
	s_waitcnt vmcnt(0)
	v_mul_f64 v[50:51], s[6:7], v[10:11]
	v_mul_f64 v[52:53], s[6:7], v[12:13]
	s_delay_alu instid0(VALU_DEP_2) | instskip(NEXT) | instid1(VALU_DEP_2)
	v_fma_f64 v[12:13], s[4:5], v[12:13], v[50:51]
	v_fma_f64 v[10:11], s[4:5], v[10:11], -v[52:53]
	s_delay_alu instid0(VALU_DEP_2) | instskip(NEXT) | instid1(VALU_DEP_2)
	v_add_f64 v[8:9], v[8:9], v[12:13]
	v_add_f64 v[6:7], v[6:7], v[10:11]
	v_add_co_u32 v10, vcc_lo, v36, s8
	v_add_co_ci_u32_e32 v11, vcc_lo, s9, v37, vcc_lo
	global_store_b128 v[10:11], v[6:9], off offset:-8
	s_or_b32 exec_lo, exec_lo, s3
	s_and_saveexec_b32 s3, s0
	s_cbranch_execz .LBB7_18
.LBB7_22:                               ;   in Loop: Header=BB7_9 Depth=1
	s_waitcnt vmcnt(0)
	v_mul_f64 v[6:7], s[6:7], v[4:5]
	v_mul_f64 v[8:9], s[6:7], v[2:3]
	s_delay_alu instid0(VALU_DEP_2) | instskip(NEXT) | instid1(VALU_DEP_2)
	v_fma_f64 v[2:3], s[4:5], v[2:3], -v[6:7]
	v_fma_f64 v[4:5], s[4:5], v[4:5], v[8:9]
	v_add_co_u32 v6, vcc_lo, v38, s8
	v_add_co_ci_u32_e32 v7, vcc_lo, s9, v39, vcc_lo
	s_delay_alu instid0(VALU_DEP_4) | instskip(NEXT) | instid1(VALU_DEP_4)
	v_add_f64 v[2:3], v[14:15], v[2:3]
	v_add_f64 v[4:5], v[16:17], v[4:5]
	global_store_b128 v[6:7], v[2:5], off
	s_or_b32 exec_lo, exec_lo, s3
	s_and_saveexec_b32 s0, s1
	s_cbranch_execz .LBB7_19
.LBB7_23:                               ;   in Loop: Header=BB7_9 Depth=1
	s_waitcnt vmcnt(0)
	v_mul_f64 v[2:3], s[6:7], v[28:29]
	v_mul_f64 v[4:5], s[6:7], v[26:27]
	v_add_co_u32 v6, vcc_lo, v48, s8
	v_add_co_ci_u32_e32 v7, vcc_lo, s9, v49, vcc_lo
	s_delay_alu instid0(VALU_DEP_4) | instskip(NEXT) | instid1(VALU_DEP_4)
	v_fma_f64 v[2:3], s[4:5], v[26:27], -v[2:3]
	v_fma_f64 v[4:5], s[4:5], v[28:29], v[4:5]
	s_delay_alu instid0(VALU_DEP_2) | instskip(NEXT) | instid1(VALU_DEP_2)
	v_add_f64 v[2:3], v[22:23], v[2:3]
	v_add_f64 v[4:5], v[24:25], v[4:5]
	global_store_b128 v[6:7], v[2:5], off offset:-8
	s_or_b32 exec_lo, exec_lo, s0
	s_and_saveexec_b32 s0, s2
	s_cbranch_execz .LBB7_8
.LBB7_24:                               ;   in Loop: Header=BB7_9 Depth=1
	s_waitcnt vmcnt(0)
	v_mul_f64 v[2:3], s[6:7], v[20:21]
	v_mul_f64 v[4:5], s[6:7], v[18:19]
	v_add_co_u32 v6, vcc_lo, v44, s8
	v_add_co_ci_u32_e32 v7, vcc_lo, s9, v45, vcc_lo
	s_delay_alu instid0(VALU_DEP_4) | instskip(NEXT) | instid1(VALU_DEP_4)
	v_fma_f64 v[2:3], s[4:5], v[18:19], -v[2:3]
	v_fma_f64 v[4:5], s[4:5], v[20:21], v[4:5]
	s_delay_alu instid0(VALU_DEP_2) | instskip(NEXT) | instid1(VALU_DEP_2)
	v_add_f64 v[2:3], v[30:31], v[2:3]
	v_add_f64 v[4:5], v[32:33], v[4:5]
	global_store_b128 v[6:7], v[2:5], off offset:-8
	s_branch .LBB7_8
.LBB7_25:
	s_nop 0
	s_sendmsg sendmsg(MSG_DEALLOC_VGPRS)
	s_endpgm
	.section	.rodata,"a",@progbits
	.p2align	6, 0x0
	.amdhsa_kernel _ZN2at6native12_GLOBAL__N_125multi_tensor_apply_kernelINS1_18TensorListMetadataILi2EEENS1_24BinaryOpListAlphaFunctorIN3c107complexIdEELi2ELi2ELi0EEEJSt4plusIS8_ES8_EEEvT_T0_DpT1_
		.amdhsa_group_segment_fixed_size 0
		.amdhsa_private_segment_fixed_size 0
		.amdhsa_kernarg_size 3424
		.amdhsa_user_sgpr_count 15
		.amdhsa_user_sgpr_dispatch_ptr 0
		.amdhsa_user_sgpr_queue_ptr 0
		.amdhsa_user_sgpr_kernarg_segment_ptr 1
		.amdhsa_user_sgpr_dispatch_id 0
		.amdhsa_user_sgpr_private_segment_size 0
		.amdhsa_wavefront_size32 1
		.amdhsa_uses_dynamic_stack 0
		.amdhsa_enable_private_segment 0
		.amdhsa_system_sgpr_workgroup_id_x 1
		.amdhsa_system_sgpr_workgroup_id_y 0
		.amdhsa_system_sgpr_workgroup_id_z 0
		.amdhsa_system_sgpr_workgroup_info 0
		.amdhsa_system_vgpr_workitem_id 0
		.amdhsa_next_free_vgpr 54
		.amdhsa_next_free_sgpr 26
		.amdhsa_reserve_vcc 1
		.amdhsa_float_round_mode_32 0
		.amdhsa_float_round_mode_16_64 0
		.amdhsa_float_denorm_mode_32 3
		.amdhsa_float_denorm_mode_16_64 3
		.amdhsa_dx10_clamp 1
		.amdhsa_ieee_mode 1
		.amdhsa_fp16_overflow 0
		.amdhsa_workgroup_processor_mode 1
		.amdhsa_memory_ordered 1
		.amdhsa_forward_progress 0
		.amdhsa_shared_vgpr_count 0
		.amdhsa_exception_fp_ieee_invalid_op 0
		.amdhsa_exception_fp_denorm_src 0
		.amdhsa_exception_fp_ieee_div_zero 0
		.amdhsa_exception_fp_ieee_overflow 0
		.amdhsa_exception_fp_ieee_underflow 0
		.amdhsa_exception_fp_ieee_inexact 0
		.amdhsa_exception_int_div_zero 0
	.end_amdhsa_kernel
	.section	.text._ZN2at6native12_GLOBAL__N_125multi_tensor_apply_kernelINS1_18TensorListMetadataILi2EEENS1_24BinaryOpListAlphaFunctorIN3c107complexIdEELi2ELi2ELi0EEEJSt4plusIS8_ES8_EEEvT_T0_DpT1_,"axG",@progbits,_ZN2at6native12_GLOBAL__N_125multi_tensor_apply_kernelINS1_18TensorListMetadataILi2EEENS1_24BinaryOpListAlphaFunctorIN3c107complexIdEELi2ELi2ELi0EEEJSt4plusIS8_ES8_EEEvT_T0_DpT1_,comdat
.Lfunc_end7:
	.size	_ZN2at6native12_GLOBAL__N_125multi_tensor_apply_kernelINS1_18TensorListMetadataILi2EEENS1_24BinaryOpListAlphaFunctorIN3c107complexIdEELi2ELi2ELi0EEEJSt4plusIS8_ES8_EEEvT_T0_DpT1_, .Lfunc_end7-_ZN2at6native12_GLOBAL__N_125multi_tensor_apply_kernelINS1_18TensorListMetadataILi2EEENS1_24BinaryOpListAlphaFunctorIN3c107complexIdEELi2ELi2ELi0EEEJSt4plusIS8_ES8_EEEvT_T0_DpT1_
                                        ; -- End function
	.section	.AMDGPU.csdata,"",@progbits
; Kernel info:
; codeLenInByte = 2080
; NumSgprs: 28
; NumVgprs: 54
; ScratchSize: 0
; MemoryBound: 1
; FloatMode: 240
; IeeeMode: 1
; LDSByteSize: 0 bytes/workgroup (compile time only)
; SGPRBlocks: 3
; VGPRBlocks: 6
; NumSGPRsForWavesPerEU: 28
; NumVGPRsForWavesPerEU: 54
; Occupancy: 16
; WaveLimiterHint : 0
; COMPUTE_PGM_RSRC2:SCRATCH_EN: 0
; COMPUTE_PGM_RSRC2:USER_SGPR: 15
; COMPUTE_PGM_RSRC2:TRAP_HANDLER: 0
; COMPUTE_PGM_RSRC2:TGID_X_EN: 1
; COMPUTE_PGM_RSRC2:TGID_Y_EN: 0
; COMPUTE_PGM_RSRC2:TGID_Z_EN: 0
; COMPUTE_PGM_RSRC2:TIDIG_COMP_CNT: 0
	.section	.text._ZN2at6native12_GLOBAL__N_125multi_tensor_apply_kernelINS1_18TensorListMetadataILi2EEENS1_24BinaryOpListAlphaFunctorIN3c107complexIfEELi2ELi2ELi0EEEJSt4plusIS8_ES8_EEEvT_T0_DpT1_,"axG",@progbits,_ZN2at6native12_GLOBAL__N_125multi_tensor_apply_kernelINS1_18TensorListMetadataILi2EEENS1_24BinaryOpListAlphaFunctorIN3c107complexIfEELi2ELi2ELi0EEEJSt4plusIS8_ES8_EEEvT_T0_DpT1_,comdat
	.globl	_ZN2at6native12_GLOBAL__N_125multi_tensor_apply_kernelINS1_18TensorListMetadataILi2EEENS1_24BinaryOpListAlphaFunctorIN3c107complexIfEELi2ELi2ELi0EEEJSt4plusIS8_ES8_EEEvT_T0_DpT1_ ; -- Begin function _ZN2at6native12_GLOBAL__N_125multi_tensor_apply_kernelINS1_18TensorListMetadataILi2EEENS1_24BinaryOpListAlphaFunctorIN3c107complexIfEELi2ELi2ELi0EEEJSt4plusIS8_ES8_EEEvT_T0_DpT1_
	.p2align	8
	.type	_ZN2at6native12_GLOBAL__N_125multi_tensor_apply_kernelINS1_18TensorListMetadataILi2EEENS1_24BinaryOpListAlphaFunctorIN3c107complexIfEELi2ELi2ELi0EEEJSt4plusIS8_ES8_EEEvT_T0_DpT1_,@function
_ZN2at6native12_GLOBAL__N_125multi_tensor_apply_kernelINS1_18TensorListMetadataILi2EEENS1_24BinaryOpListAlphaFunctorIN3c107complexIfEELi2ELi2ELi0EEEJSt4plusIS8_ES8_EEEvT_T0_DpT1_: ; @_ZN2at6native12_GLOBAL__N_125multi_tensor_apply_kernelINS1_18TensorListMetadataILi2EEENS1_24BinaryOpListAlphaFunctorIN3c107complexIfEELi2ELi2ELi0EEEJSt4plusIS8_ES8_EEEvT_T0_DpT1_
; %bb.0:
	v_mov_b32_e32 v1, s15
	s_add_u32 s2, s0, s15
	s_mul_hi_u32 s3, s15, 3
	s_mul_i32 s15, s15, 3
	s_addc_u32 s4, s1, 0
	global_load_u8 v1, v1, s[0:1] offset:1536
	s_add_u32 s2, s2, s15
	s_addc_u32 s3, s4, s3
	s_mov_b32 s19, 0
	s_load_b32 s2, s[2:3], 0x740
	s_mov_b32 s21, s19
	s_mov_b32 s23, s19
	s_waitcnt vmcnt(0)
	v_readfirstlane_b32 s3, v1
	s_delay_alu instid0(VALU_DEP_1)
	s_lshl_b32 s3, s3, 3
	s_clause 0x3
	s_load_b64 s[14:15], s[0:1], s3 offset:0x0
	s_load_b64 s[16:17], s[0:1], s3 offset:0x200
	;; [unrolled: 1-line block ×3, first 2 shown]
	s_load_b64 s[4:5], s[0:1], 0xc50
	s_waitcnt lgkmcnt(0)
	s_ashr_i32 s3, s2, 31
	s_delay_alu instid0(SALU_CYCLE_1) | instskip(NEXT) | instid1(SALU_CYCLE_1)
	s_lshl_b64 s[6:7], s[2:3], 19
	s_add_u32 s10, s14, s6
	s_addc_u32 s11, s15, s7
	s_add_u32 s12, s16, s6
	s_addc_u32 s13, s17, s7
	s_and_b32 s20, s10, 31
	s_and_b32 s22, s8, 3
	;; [unrolled: 1-line block ×3, first 2 shown]
	s_or_b64 s[20:21], s[20:21], s[22:23]
	s_lshl_b64 s[2:3], s[2:3], 16
	s_or_b64 s[18:19], s[18:19], s[20:21]
	s_sub_u32 s8, s8, s2
	s_subb_u32 s9, s9, s3
	s_cmp_eq_u64 s[18:19], 0
	s_mov_b32 s2, -1
	s_cbranch_scc0 .LBB8_5
; %bb.1:
	v_dual_mov_b32 v2, 0 :: v_dual_lshlrev_b32 v1, 2, v0
	s_mov_b32 s18, exec_lo
	s_delay_alu instid0(VALU_DEP_1)
	v_cmpx_gt_i64_e64 s[8:9], v[1:2]
	s_cbranch_execz .LBB8_4
; %bb.2:
	s_load_b32 s2, s[0:1], 0xc64
	v_lshlrev_b32_e32 v3, 5, v0
	s_mov_b32 s19, 0
	s_waitcnt lgkmcnt(0)
	s_and_b32 s2, s2, 0xffff
	s_delay_alu instid0(SALU_CYCLE_1)
	v_add_lshl_u32 v1, v0, s2, 2
	s_lshl_b32 s20, s2, 2
	s_lshl_b32 s21, s2, 5
.LBB8_3:                                ; =>This Inner Loop Header: Depth=1
	v_add_co_u32 v8, s2, s12, v3
	s_delay_alu instid0(VALU_DEP_1) | instskip(SKIP_1) | instid1(VALU_DEP_1)
	v_add_co_ci_u32_e64 v9, null, s13, 0, s2
	v_add_co_u32 v20, s2, s10, v3
	v_add_co_ci_u32_e64 v21, null, s11, 0, s2
	s_clause 0x1
	global_load_b128 v[4:7], v[8:9], off
	global_load_b128 v[8:11], v[8:9], off offset:16
	s_clause 0x1
	global_load_b128 v[12:15], v[20:21], off
	global_load_b128 v[16:19], v[20:21], off offset:16
	v_cmp_le_i64_e32 vcc_lo, s[8:9], v[1:2]
	v_cmp_lt_u64_e64 s2, 0xffff, v[1:2]
	v_add_co_u32 v1, s3, v1, s20
	s_delay_alu instid0(VALU_DEP_1) | instskip(NEXT) | instid1(VALU_DEP_3)
	v_add_co_ci_u32_e64 v2, s3, 0, v2, s3
	s_or_b32 s2, vcc_lo, s2
	s_add_u32 s10, s10, s21
	s_addc_u32 s11, s11, 0
	s_add_u32 s12, s12, s21
	s_addc_u32 s13, s13, 0
	s_and_b32 s2, exec_lo, s2
	s_delay_alu instid0(SALU_CYCLE_1) | instskip(SKIP_4) | instid1(VALU_DEP_2)
	s_or_b32 s19, s2, s19
	s_waitcnt vmcnt(3)
	v_dual_mul_f32 v22, s5, v5 :: v_dual_mul_f32 v23, s5, v7
	s_waitcnt vmcnt(2)
	v_dual_mul_f32 v7, s4, v7 :: v_dual_mul_f32 v24, s5, v9
	v_fma_f32 v22, v4, s4, -v22
	s_delay_alu instid0(VALU_DEP_3) | instskip(SKIP_1) | instid1(VALU_DEP_4)
	v_fma_f32 v23, v6, s4, -v23
	v_mul_f32_e32 v9, s4, v9
	v_fma_f32 v24, v8, s4, -v24
	v_mul_f32_e32 v25, s5, v11
	v_mul_f32_e32 v5, s4, v5
	s_waitcnt vmcnt(1)
	v_dual_fmac_f32 v7, s5, v6 :: v_dual_add_f32 v6, v14, v23
	v_fmac_f32_e32 v9, s5, v8
	s_waitcnt vmcnt(0)
	v_add_f32_e32 v8, v16, v24
	v_fma_f32 v25, v10, s4, -v25
	v_mul_f32_e32 v11, s4, v11
	v_dual_fmac_f32 v5, s5, v4 :: v_dual_add_f32 v4, v12, v22
	v_add_f32_e32 v7, v15, v7
	v_add_f32_e32 v9, v17, v9
	s_delay_alu instid0(VALU_DEP_4) | instskip(NEXT) | instid1(VALU_DEP_4)
	v_dual_fmac_f32 v11, s5, v10 :: v_dual_add_f32 v10, v18, v25
	v_add_f32_e32 v5, v13, v5
	s_delay_alu instid0(VALU_DEP_2)
	v_add_f32_e32 v11, v19, v11
	s_clause 0x1
	global_store_b128 v[20:21], v[4:7], off
	global_store_b128 v[20:21], v[8:11], off offset:16
	s_and_not1_b32 exec_lo, exec_lo, s19
	s_cbranch_execnz .LBB8_3
.LBB8_4:
	s_or_b32 exec_lo, exec_lo, s18
	s_mov_b32 s2, 0
.LBB8_5:
	s_delay_alu instid0(SALU_CYCLE_1)
	s_and_not1_b32 vcc_lo, exec_lo, s2
	s_cbranch_vccnz .LBB8_25
; %bb.6:
	v_cmp_lt_i64_e64 s2, s[8:9], 1
	s_delay_alu instid0(VALU_DEP_1)
	s_and_b32 vcc_lo, exec_lo, s2
	s_cbranch_vccnz .LBB8_25
; %bb.7:
	s_load_b32 s0, s[0:1], 0xc64
	v_mov_b32_e32 v1, 0
	v_lshl_or_b32 v2, v0, 3, 4
	v_cmp_gt_u64_e64 s1, 0x10000, s[8:9]
	s_mov_b32 s11, 0
	s_delay_alu instid0(VALU_DEP_3) | instskip(NEXT) | instid1(VALU_DEP_3)
	v_mov_b32_e32 v3, v1
	v_add_co_u32 v18, s2, s16, v2
	s_delay_alu instid0(VALU_DEP_1) | instskip(SKIP_1) | instid1(VALU_DEP_1)
	v_add_co_ci_u32_e64 v19, null, s17, 0, s2
	v_add_co_u32 v20, s2, s14, v2
	v_add_co_ci_u32_e64 v21, null, s15, 0, s2
	s_waitcnt lgkmcnt(0)
	s_and_b32 s18, s0, 0xffff
	s_and_b32 s0, s1, exec_lo
	v_add_lshl_u32 v6, v0, s18, 3
	v_mad_u64_u32 v[4:5], null, s18, 24, v[2:3]
	s_cselect_b32 s13, s9, 0
	s_cselect_b32 s12, s8, 0x10000
	s_delay_alu instid0(VALU_DEP_2) | instskip(NEXT) | instid1(VALU_DEP_1)
	v_add_co_u32 v22, s0, s14, v6
	v_add_co_ci_u32_e64 v23, null, s15, 0, s0
	v_add_co_u32 v26, s0, s16, v6
	s_delay_alu instid0(VALU_DEP_1)
	v_add_co_ci_u32_e64 v27, null, s17, 0, s0
	s_lshl_b32 s0, s18, 4
	v_add_co_u32 v24, vcc_lo, s16, v4
	v_add_co_u32 v2, s0, v2, s0
	v_add_co_ci_u32_e32 v25, vcc_lo, s17, v5, vcc_lo
	v_add_co_ci_u32_e64 v3, null, 0, 0, s0
	v_add_co_u32 v28, vcc_lo, s14, v4
	v_add_co_ci_u32_e32 v29, vcc_lo, s15, v5, vcc_lo
	v_add_co_u32 v30, vcc_lo, s16, v2
	s_delay_alu instid0(VALU_DEP_4)
	v_add_co_ci_u32_e32 v31, vcc_lo, s17, v3, vcc_lo
	v_add_co_u32 v32, vcc_lo, s14, v2
	v_add_co_ci_u32_e32 v33, vcc_lo, s15, v3, vcc_lo
	s_lshl_b32 s10, s18, 2
	s_lshl_b32 s19, s18, 1
	s_mul_i32 s20, s18, 3
	s_lshl_b32 s16, s18, 5
	s_mov_b64 s[14:15], s[10:11]
	s_branch .LBB8_9
.LBB8_8:                                ;   in Loop: Header=BB8_9 Depth=1
	s_or_b32 exec_lo, exec_lo, s0
	v_add_co_u32 v0, vcc_lo, v0, s10
	v_add_co_ci_u32_e32 v1, vcc_lo, 0, v1, vcc_lo
	v_add_co_u32 v18, vcc_lo, v18, s16
	v_add_co_ci_u32_e32 v19, vcc_lo, 0, v19, vcc_lo
	;; [unrolled: 2-line block ×7, first 2 shown]
	v_cmp_ge_i64_e64 s0, s[14:15], s[8:9]
	v_cmp_lt_u64_e64 s1, 0xffff, s[14:15]
	v_add_co_u32 v30, vcc_lo, v30, s16
	v_add_co_ci_u32_e32 v31, vcc_lo, 0, v31, vcc_lo
	v_add_co_u32 v32, vcc_lo, v32, s16
	v_add_co_ci_u32_e32 v33, vcc_lo, 0, v33, vcc_lo
	s_or_b32 s0, s0, s1
	s_add_u32 s14, s14, s10
	s_addc_u32 s15, s15, 0
	s_and_b32 vcc_lo, exec_lo, s0
	s_cbranch_vccnz .LBB8_25
.LBB8_9:                                ; =>This Inner Loop Header: Depth=1
	v_cmp_gt_u64_e32 vcc_lo, s[12:13], v[0:1]
	s_waitcnt vmcnt(1)
	v_dual_mov_b32 v5, 0 :: v_dual_mov_b32 v4, 0
	s_waitcnt vmcnt(0)
	v_dual_mov_b32 v7, 0 :: v_dual_mov_b32 v6, 0
	s_and_saveexec_b32 s1, vcc_lo
	s_cbranch_execz .LBB8_11
; %bb.10:                               ;   in Loop: Header=BB8_9 Depth=1
	v_add_co_u32 v2, s0, v20, s6
	s_delay_alu instid0(VALU_DEP_1) | instskip(SKIP_1) | instid1(VALU_DEP_1)
	v_add_co_ci_u32_e64 v3, s0, s7, v21, s0
	v_add_co_u32 v6, s0, v18, s6
	v_add_co_ci_u32_e64 v7, s0, s7, v19, s0
	global_load_b64 v[4:5], v[2:3], off offset:-4
	global_load_b64 v[6:7], v[6:7], off offset:-4
.LBB8_11:                               ;   in Loop: Header=BB8_9 Depth=1
	s_or_b32 exec_lo, exec_lo, s1
	v_add_co_u32 v8, s0, s18, v0
	s_delay_alu instid0(VALU_DEP_1) | instskip(SKIP_2) | instid1(VALU_DEP_3)
	v_add_co_ci_u32_e64 v9, s0, 0, v1, s0
	v_mov_b32_e32 v3, 0
	v_dual_mov_b32 v11, 0 :: v_dual_mov_b32 v10, 0
	v_cmp_gt_u64_e64 s0, s[12:13], v[8:9]
	v_dual_mov_b32 v8, 0 :: v_dual_mov_b32 v9, 0
	s_delay_alu instid0(VALU_DEP_2)
	s_and_saveexec_b32 s2, s0
	s_cbranch_execz .LBB8_13
; %bb.12:                               ;   in Loop: Header=BB8_9 Depth=1
	v_add_co_u32 v8, s1, v22, s6
	s_delay_alu instid0(VALU_DEP_1) | instskip(SKIP_1) | instid1(VALU_DEP_1)
	v_add_co_ci_u32_e64 v9, s1, s7, v23, s1
	v_add_co_u32 v10, s1, v26, s6
	v_add_co_ci_u32_e64 v11, s1, s7, v27, s1
	global_load_b64 v[8:9], v[8:9], off
	global_load_b64 v[10:11], v[10:11], off
.LBB8_13:                               ;   in Loop: Header=BB8_9 Depth=1
	s_or_b32 exec_lo, exec_lo, s2
	v_add_co_u32 v12, s1, s19, v0
	s_delay_alu instid0(VALU_DEP_1) | instskip(SKIP_1) | instid1(VALU_DEP_2)
	v_add_co_ci_u32_e64 v13, s1, 0, v1, s1
	v_mov_b32_e32 v2, 0
	v_cmp_gt_u64_e64 s1, s[12:13], v[12:13]
	v_dual_mov_b32 v13, 0 :: v_dual_mov_b32 v12, 0
	s_delay_alu instid0(VALU_DEP_2)
	s_and_saveexec_b32 s3, s1
	s_cbranch_execz .LBB8_15
; %bb.14:                               ;   in Loop: Header=BB8_9 Depth=1
	v_add_co_u32 v2, s2, v32, s6
	s_delay_alu instid0(VALU_DEP_1) | instskip(SKIP_1) | instid1(VALU_DEP_1)
	v_add_co_ci_u32_e64 v3, s2, s7, v33, s2
	v_add_co_u32 v12, s2, v30, s6
	v_add_co_ci_u32_e64 v13, s2, s7, v31, s2
	global_load_b64 v[2:3], v[2:3], off offset:-4
	global_load_b64 v[12:13], v[12:13], off offset:-4
.LBB8_15:                               ;   in Loop: Header=BB8_9 Depth=1
	s_or_b32 exec_lo, exec_lo, s3
	v_add_co_u32 v16, s2, s20, v0
	s_delay_alu instid0(VALU_DEP_1) | instskip(SKIP_1) | instid1(VALU_DEP_2)
	v_add_co_ci_u32_e64 v17, s2, 0, v1, s2
	v_dual_mov_b32 v15, 0 :: v_dual_mov_b32 v14, 0
	v_cmp_gt_u64_e64 s2, s[12:13], v[16:17]
	v_dual_mov_b32 v17, 0 :: v_dual_mov_b32 v16, 0
	s_delay_alu instid0(VALU_DEP_2)
	s_and_saveexec_b32 s11, s2
	s_cbranch_execnz .LBB8_20
; %bb.16:                               ;   in Loop: Header=BB8_9 Depth=1
	s_or_b32 exec_lo, exec_lo, s11
	s_and_saveexec_b32 s3, vcc_lo
	s_cbranch_execnz .LBB8_21
.LBB8_17:                               ;   in Loop: Header=BB8_9 Depth=1
	s_or_b32 exec_lo, exec_lo, s3
	s_and_saveexec_b32 s3, s0
	s_cbranch_execnz .LBB8_22
.LBB8_18:                               ;   in Loop: Header=BB8_9 Depth=1
	s_or_b32 exec_lo, exec_lo, s3
	s_and_saveexec_b32 s0, s1
	s_cbranch_execnz .LBB8_23
.LBB8_19:                               ;   in Loop: Header=BB8_9 Depth=1
	s_or_b32 exec_lo, exec_lo, s0
	s_and_saveexec_b32 s0, s2
	s_cbranch_execz .LBB8_8
	s_branch .LBB8_24
.LBB8_20:                               ;   in Loop: Header=BB8_9 Depth=1
	v_add_co_u32 v14, s3, v28, s6
	s_delay_alu instid0(VALU_DEP_1) | instskip(SKIP_1) | instid1(VALU_DEP_1)
	v_add_co_ci_u32_e64 v15, s3, s7, v29, s3
	v_add_co_u32 v16, s3, v24, s6
	v_add_co_ci_u32_e64 v17, s3, s7, v25, s3
	global_load_b64 v[14:15], v[14:15], off offset:-4
	global_load_b64 v[16:17], v[16:17], off offset:-4
	s_or_b32 exec_lo, exec_lo, s11
	s_and_saveexec_b32 s3, vcc_lo
	s_cbranch_execz .LBB8_17
.LBB8_21:                               ;   in Loop: Header=BB8_9 Depth=1
	s_waitcnt vmcnt(0)
	v_dual_mul_f32 v34, s5, v7 :: v_dual_mul_f32 v35, s5, v6
	s_delay_alu instid0(VALU_DEP_1) | instskip(NEXT) | instid1(VALU_DEP_2)
	v_fma_f32 v34, v6, s4, -v34
	v_fmac_f32_e32 v35, s4, v7
	v_add_co_u32 v6, vcc_lo, v20, s6
	v_add_co_ci_u32_e32 v7, vcc_lo, s7, v21, vcc_lo
	s_delay_alu instid0(VALU_DEP_3)
	v_dual_add_f32 v4, v4, v34 :: v_dual_add_f32 v5, v5, v35
	global_store_b64 v[6:7], v[4:5], off offset:-4
	s_or_b32 exec_lo, exec_lo, s3
	s_and_saveexec_b32 s3, s0
	s_cbranch_execz .LBB8_18
.LBB8_22:                               ;   in Loop: Header=BB8_9 Depth=1
	s_waitcnt vmcnt(0)
	v_dual_mul_f32 v4, s5, v11 :: v_dual_mul_f32 v5, s5, v10
	v_add_co_u32 v6, vcc_lo, v22, s6
	v_add_co_ci_u32_e32 v7, vcc_lo, s7, v23, vcc_lo
	s_delay_alu instid0(VALU_DEP_3) | instskip(NEXT) | instid1(VALU_DEP_1)
	v_fma_f32 v4, v10, s4, -v4
	v_dual_fmac_f32 v5, s4, v11 :: v_dual_add_f32 v4, v8, v4
	s_delay_alu instid0(VALU_DEP_1)
	v_add_f32_e32 v5, v9, v5
	global_store_b64 v[6:7], v[4:5], off
	s_or_b32 exec_lo, exec_lo, s3
	s_and_saveexec_b32 s0, s1
	s_cbranch_execz .LBB8_19
.LBB8_23:                               ;   in Loop: Header=BB8_9 Depth=1
	s_waitcnt vmcnt(0)
	v_dual_mul_f32 v4, s5, v13 :: v_dual_mul_f32 v5, s5, v12
	s_delay_alu instid0(VALU_DEP_1) | instskip(NEXT) | instid1(VALU_DEP_1)
	v_fma_f32 v4, v12, s4, -v4
	v_dual_fmac_f32 v5, s4, v13 :: v_dual_add_f32 v2, v2, v4
	v_add_co_u32 v4, vcc_lo, v32, s6
	s_delay_alu instid0(VALU_DEP_2)
	v_add_f32_e32 v3, v3, v5
	v_add_co_ci_u32_e32 v5, vcc_lo, s7, v33, vcc_lo
	global_store_b64 v[4:5], v[2:3], off offset:-4
	s_or_b32 exec_lo, exec_lo, s0
	s_and_saveexec_b32 s0, s2
	s_cbranch_execz .LBB8_8
.LBB8_24:                               ;   in Loop: Header=BB8_9 Depth=1
	s_waitcnt vmcnt(0)
	v_dual_mul_f32 v2, s5, v17 :: v_dual_mul_f32 v3, s5, v16
	v_add_co_u32 v4, vcc_lo, v28, s6
	v_add_co_ci_u32_e32 v5, vcc_lo, s7, v29, vcc_lo
	s_delay_alu instid0(VALU_DEP_3) | instskip(NEXT) | instid1(VALU_DEP_1)
	v_fma_f32 v2, v16, s4, -v2
	v_dual_fmac_f32 v3, s4, v17 :: v_dual_add_f32 v2, v14, v2
	s_delay_alu instid0(VALU_DEP_1)
	v_add_f32_e32 v3, v15, v3
	global_store_b64 v[4:5], v[2:3], off offset:-4
	s_branch .LBB8_8
.LBB8_25:
	s_nop 0
	s_sendmsg sendmsg(MSG_DEALLOC_VGPRS)
	s_endpgm
	.section	.rodata,"a",@progbits
	.p2align	6, 0x0
	.amdhsa_kernel _ZN2at6native12_GLOBAL__N_125multi_tensor_apply_kernelINS1_18TensorListMetadataILi2EEENS1_24BinaryOpListAlphaFunctorIN3c107complexIfEELi2ELi2ELi0EEEJSt4plusIS8_ES8_EEEvT_T0_DpT1_
		.amdhsa_group_segment_fixed_size 0
		.amdhsa_private_segment_fixed_size 0
		.amdhsa_kernarg_size 3416
		.amdhsa_user_sgpr_count 15
		.amdhsa_user_sgpr_dispatch_ptr 0
		.amdhsa_user_sgpr_queue_ptr 0
		.amdhsa_user_sgpr_kernarg_segment_ptr 1
		.amdhsa_user_sgpr_dispatch_id 0
		.amdhsa_user_sgpr_private_segment_size 0
		.amdhsa_wavefront_size32 1
		.amdhsa_uses_dynamic_stack 0
		.amdhsa_enable_private_segment 0
		.amdhsa_system_sgpr_workgroup_id_x 1
		.amdhsa_system_sgpr_workgroup_id_y 0
		.amdhsa_system_sgpr_workgroup_id_z 0
		.amdhsa_system_sgpr_workgroup_info 0
		.amdhsa_system_vgpr_workitem_id 0
		.amdhsa_next_free_vgpr 36
		.amdhsa_next_free_sgpr 24
		.amdhsa_reserve_vcc 1
		.amdhsa_float_round_mode_32 0
		.amdhsa_float_round_mode_16_64 0
		.amdhsa_float_denorm_mode_32 3
		.amdhsa_float_denorm_mode_16_64 3
		.amdhsa_dx10_clamp 1
		.amdhsa_ieee_mode 1
		.amdhsa_fp16_overflow 0
		.amdhsa_workgroup_processor_mode 1
		.amdhsa_memory_ordered 1
		.amdhsa_forward_progress 0
		.amdhsa_shared_vgpr_count 0
		.amdhsa_exception_fp_ieee_invalid_op 0
		.amdhsa_exception_fp_denorm_src 0
		.amdhsa_exception_fp_ieee_div_zero 0
		.amdhsa_exception_fp_ieee_overflow 0
		.amdhsa_exception_fp_ieee_underflow 0
		.amdhsa_exception_fp_ieee_inexact 0
		.amdhsa_exception_int_div_zero 0
	.end_amdhsa_kernel
	.section	.text._ZN2at6native12_GLOBAL__N_125multi_tensor_apply_kernelINS1_18TensorListMetadataILi2EEENS1_24BinaryOpListAlphaFunctorIN3c107complexIfEELi2ELi2ELi0EEEJSt4plusIS8_ES8_EEEvT_T0_DpT1_,"axG",@progbits,_ZN2at6native12_GLOBAL__N_125multi_tensor_apply_kernelINS1_18TensorListMetadataILi2EEENS1_24BinaryOpListAlphaFunctorIN3c107complexIfEELi2ELi2ELi0EEEJSt4plusIS8_ES8_EEEvT_T0_DpT1_,comdat
.Lfunc_end8:
	.size	_ZN2at6native12_GLOBAL__N_125multi_tensor_apply_kernelINS1_18TensorListMetadataILi2EEENS1_24BinaryOpListAlphaFunctorIN3c107complexIfEELi2ELi2ELi0EEEJSt4plusIS8_ES8_EEEvT_T0_DpT1_, .Lfunc_end8-_ZN2at6native12_GLOBAL__N_125multi_tensor_apply_kernelINS1_18TensorListMetadataILi2EEENS1_24BinaryOpListAlphaFunctorIN3c107complexIfEELi2ELi2ELi0EEEJSt4plusIS8_ES8_EEEvT_T0_DpT1_
                                        ; -- End function
	.section	.AMDGPU.csdata,"",@progbits
; Kernel info:
; codeLenInByte = 1804
; NumSgprs: 26
; NumVgprs: 36
; ScratchSize: 0
; MemoryBound: 0
; FloatMode: 240
; IeeeMode: 1
; LDSByteSize: 0 bytes/workgroup (compile time only)
; SGPRBlocks: 3
; VGPRBlocks: 4
; NumSGPRsForWavesPerEU: 26
; NumVGPRsForWavesPerEU: 36
; Occupancy: 16
; WaveLimiterHint : 0
; COMPUTE_PGM_RSRC2:SCRATCH_EN: 0
; COMPUTE_PGM_RSRC2:USER_SGPR: 15
; COMPUTE_PGM_RSRC2:TRAP_HANDLER: 0
; COMPUTE_PGM_RSRC2:TGID_X_EN: 1
; COMPUTE_PGM_RSRC2:TGID_Y_EN: 0
; COMPUTE_PGM_RSRC2:TGID_Z_EN: 0
; COMPUTE_PGM_RSRC2:TIDIG_COMP_CNT: 0
	.section	.text._ZN2at6native12_GLOBAL__N_125multi_tensor_apply_kernelINS1_18TensorListMetadataILi2EEENS1_24BinaryOpListAlphaFunctorIbLi2ELi2ELi0EEEJSt4plusIbEbEEEvT_T0_DpT1_,"axG",@progbits,_ZN2at6native12_GLOBAL__N_125multi_tensor_apply_kernelINS1_18TensorListMetadataILi2EEENS1_24BinaryOpListAlphaFunctorIbLi2ELi2ELi0EEEJSt4plusIbEbEEEvT_T0_DpT1_,comdat
	.globl	_ZN2at6native12_GLOBAL__N_125multi_tensor_apply_kernelINS1_18TensorListMetadataILi2EEENS1_24BinaryOpListAlphaFunctorIbLi2ELi2ELi0EEEJSt4plusIbEbEEEvT_T0_DpT1_ ; -- Begin function _ZN2at6native12_GLOBAL__N_125multi_tensor_apply_kernelINS1_18TensorListMetadataILi2EEENS1_24BinaryOpListAlphaFunctorIbLi2ELi2ELi0EEEJSt4plusIbEbEEEvT_T0_DpT1_
	.p2align	8
	.type	_ZN2at6native12_GLOBAL__N_125multi_tensor_apply_kernelINS1_18TensorListMetadataILi2EEENS1_24BinaryOpListAlphaFunctorIbLi2ELi2ELi0EEEJSt4plusIbEbEEEvT_T0_DpT1_,@function
_ZN2at6native12_GLOBAL__N_125multi_tensor_apply_kernelINS1_18TensorListMetadataILi2EEENS1_24BinaryOpListAlphaFunctorIbLi2ELi2ELi0EEEJSt4plusIbEbEEEvT_T0_DpT1_: ; @_ZN2at6native12_GLOBAL__N_125multi_tensor_apply_kernelINS1_18TensorListMetadataILi2EEENS1_24BinaryOpListAlphaFunctorIbLi2ELi2ELi0EEEJSt4plusIbEbEEEvT_T0_DpT1_
; %bb.0:
	v_mov_b32_e32 v1, s15
	s_mul_hi_u32 s3, s15, 3
	s_load_b32 s2, s[0:1], 0xc48
	global_load_u8 v1, v1, s[0:1] offset:1536
	s_waitcnt lgkmcnt(0)
	s_bitcmp1_b32 s2, 16
	s_mul_i32 s2, s15, 3
	s_cselect_b32 s18, -1, 0
	s_add_u32 s4, s0, s15
	s_addc_u32 s5, s1, 0
	s_add_u32 s2, s4, s2
	s_addc_u32 s3, s5, s3
	s_load_b32 s2, s[2:3], 0x740
	s_waitcnt vmcnt(0)
	v_readfirstlane_b32 s4, v1
	s_delay_alu instid0(VALU_DEP_1)
	s_lshl_b32 s3, s4, 3
	s_clause 0x2
	s_load_b64 s[10:11], s[0:1], s3 offset:0x0
	s_load_b64 s[12:13], s[0:1], s3 offset:0x200
	;; [unrolled: 1-line block ×3, first 2 shown]
	s_waitcnt lgkmcnt(0)
	s_ashr_i32 s3, s2, 31
	s_delay_alu instid0(SALU_CYCLE_1) | instskip(NEXT) | instid1(SALU_CYCLE_1)
	s_lshl_b64 s[14:15], s[2:3], 16
	s_add_u32 s16, s10, s14
	s_addc_u32 s17, s11, s15
	s_add_u32 s7, s12, s14
	s_addc_u32 s19, s13, s15
	s_or_b64 s[2:3], s[4:5], s[16:17]
	s_delay_alu instid0(SALU_CYCLE_1) | instskip(NEXT) | instid1(SALU_CYCLE_1)
	s_or_b32 s2, s7, s2
	s_and_b32 s2, s2, 3
	s_sub_u32 s8, s4, s14
	s_subb_u32 s9, s5, s15
	s_cmp_eq_u32 s2, 0
	s_mov_b32 s2, -1
	s_cbranch_scc0 .LBB9_5
; %bb.1:
	v_dual_mov_b32 v2, 0 :: v_dual_lshlrev_b32 v1, 2, v0
	s_mov_b32 s20, exec_lo
	s_delay_alu instid0(VALU_DEP_1)
	v_cmpx_gt_i64_e64 s[8:9], v[1:2]
	s_cbranch_execz .LBB9_4
; %bb.2:
	s_load_b32 s2, s[0:1], 0xc5c
	s_mov_b32 s22, 0
	s_waitcnt lgkmcnt(0)
	s_and_b32 s2, s2, 0xffff
	s_delay_alu instid0(SALU_CYCLE_1)
	s_lshl_b32 s21, s2, 2
.LBB9_3:                                ; =>This Inner Loop Header: Depth=1
	v_add_co_u32 v3, vcc_lo, s7, v1
	v_add_co_ci_u32_e32 v4, vcc_lo, s19, v2, vcc_lo
	global_load_b32 v5, v[3:4], off
	v_add_co_u32 v3, vcc_lo, s16, v1
	v_add_co_ci_u32_e32 v4, vcc_lo, s17, v2, vcc_lo
	v_add_co_u32 v1, vcc_lo, s21, v1
	v_add_co_ci_u32_e32 v2, vcc_lo, 0, v2, vcc_lo
	global_load_b32 v6, v[3:4], off
	v_cmp_le_i64_e32 vcc_lo, s[8:9], v[1:2]
	v_cmp_lt_u64_e64 s2, 0xffff, v[1:2]
	s_delay_alu instid0(VALU_DEP_1)
	s_or_b32 s2, vcc_lo, s2
	s_waitcnt vmcnt(1)
	v_and_b32_e32 v7, 0xff0000, v5
	v_and_b32_e32 v8, 0xff, v5
	v_cmp_lt_u32_e64 s3, 0xffffff, v5
	v_and_b32_e32 v9, 0xff00, v5
	s_delay_alu instid0(VALU_DEP_4) | instskip(NEXT) | instid1(VALU_DEP_4)
	v_cmp_ne_u32_e64 s4, 0, v7
	v_cmp_ne_u32_e64 s5, 0, v8
	s_delay_alu instid0(VALU_DEP_4) | instskip(NEXT) | instid1(VALU_DEP_3)
	s_and_b32 s3, s3, s18
	v_cmp_ne_u32_e64 s6, 0, v9
	v_cndmask_b32_e64 v5, 0, 0x1000000, s3
	s_and_b32 s3, s4, s18
	s_delay_alu instid0(SALU_CYCLE_1) | instskip(SKIP_1) | instid1(SALU_CYCLE_1)
	v_cndmask_b32_e64 v7, 0, 0x10000, s3
	s_and_b32 s3, s5, s18
	v_cndmask_b32_e64 v8, 0, 1, s3
	s_and_b32 s3, s6, s18
	s_waitcnt vmcnt(0)
	v_or3_b32 v5, v6, v5, v7
	v_cndmask_b32_e64 v9, 0, 0x100, s3
	s_and_b32 s2, exec_lo, s2
	s_delay_alu instid0(SALU_CYCLE_1) | instskip(NEXT) | instid1(VALU_DEP_1)
	s_or_b32 s22, s2, s22
	v_or3_b32 v5, v5, v9, v8
	global_store_b32 v[3:4], v5, off
	s_and_not1_b32 exec_lo, exec_lo, s22
	s_cbranch_execnz .LBB9_3
.LBB9_4:
	s_or_b32 exec_lo, exec_lo, s20
	s_mov_b32 s2, 0
.LBB9_5:
	s_delay_alu instid0(SALU_CYCLE_1)
	s_and_not1_b32 vcc_lo, exec_lo, s2
	s_cbranch_vccnz .LBB9_25
; %bb.6:
	v_cmp_lt_i64_e64 s2, s[8:9], 1
	s_delay_alu instid0(VALU_DEP_1)
	s_and_b32 vcc_lo, exec_lo, s2
	s_cbranch_vccnz .LBB9_25
; %bb.7:
	s_load_b32 s0, s[0:1], 0xc5c
	v_add_co_u32 v15, s1, s14, v0
	s_delay_alu instid0(VALU_DEP_1) | instskip(SKIP_1) | instid1(VALU_DEP_3)
	v_add_co_ci_u32_e64 v16, null, s15, 0, s1
	v_cmp_gt_u64_e64 s1, 0x10000, s[8:9]
	v_add_co_u32 v1, vcc_lo, s10, v15
	s_delay_alu instid0(VALU_DEP_3)
	v_add_co_ci_u32_e32 v2, vcc_lo, s11, v16, vcc_lo
	v_add_co_u32 v3, vcc_lo, s12, v15
	v_add_co_ci_u32_e32 v4, vcc_lo, s13, v16, vcc_lo
	s_waitcnt lgkmcnt(0)
	s_and_b32 s0, s0, 0xffff
	s_and_b32 s1, s1, exec_lo
	s_mul_i32 s2, s0, 3
	s_cselect_b32 s5, s9, 0
	s_cselect_b32 s4, s8, 0x10000
	s_lshl_b32 s1, s0, 1
	s_lshl_b32 s16, s0, 2
	s_add_u32 s3, s14, s2
	s_addc_u32 s6, s15, 0
	v_add_co_u32 v7, s3, s3, v0
	s_delay_alu instid0(VALU_DEP_1) | instskip(SKIP_1) | instid1(VALU_DEP_2)
	v_add_co_ci_u32_e64 v8, null, s6, 0, s3
	s_add_u32 s3, s14, s1
	v_add_co_u32 v5, vcc_lo, s10, v7
	s_addc_u32 s6, s15, 0
	v_add_co_u32 v13, s3, s3, v0
	v_add_co_ci_u32_e32 v6, vcc_lo, s11, v8, vcc_lo
	v_add_co_u32 v7, vcc_lo, s12, v7
	v_add_co_ci_u32_e64 v14, null, s6, 0, s3
	v_add_co_ci_u32_e32 v8, vcc_lo, s13, v8, vcc_lo
	v_add_co_u32 v11, vcc_lo, s10, v13
	s_delay_alu instid0(VALU_DEP_3)
	v_add_co_ci_u32_e32 v12, vcc_lo, s11, v14, vcc_lo
	v_add_co_u32 v13, vcc_lo, s12, v13
	v_add_co_ci_u32_e32 v14, vcc_lo, s13, v14, vcc_lo
	v_add_co_u32 v19, vcc_lo, v15, s0
	v_add_co_ci_u32_e32 v20, vcc_lo, 0, v16, vcc_lo
	v_add_co_u32 v9, s2, s2, v0
	s_delay_alu instid0(VALU_DEP_3) | instskip(NEXT) | instid1(VALU_DEP_3)
	v_add_co_u32 v17, vcc_lo, s10, v19
	v_add_co_ci_u32_e32 v18, vcc_lo, s11, v20, vcc_lo
	v_add_co_u32 v15, s1, s1, v0
	v_add_co_u32 v19, vcc_lo, s12, v19
	v_add_co_u32 v21, s0, v0, s0
	v_add_co_ci_u32_e64 v10, null, 0, 0, s2
	v_add_co_ci_u32_e64 v16, null, 0, 0, s1
	v_add_co_ci_u32_e32 v20, vcc_lo, s13, v20, vcc_lo
	v_add_co_ci_u32_e64 v22, null, 0, 0, s0
	s_mov_b64 s[6:7], 0
	s_branch .LBB9_9
.LBB9_8:                                ;   in Loop: Header=BB9_9 Depth=1
	s_or_b32 exec_lo, exec_lo, s0
	s_add_u32 s6, s6, s16
	s_addc_u32 s7, s7, 0
	s_delay_alu instid0(SALU_CYCLE_1) | instskip(SKIP_1) | instid1(VALU_DEP_1)
	v_cmp_ge_i64_e64 s0, s[6:7], s[8:9]
	v_cmp_lt_u64_e64 s1, 0xffff, s[6:7]
	s_or_b32 s0, s0, s1
	s_delay_alu instid0(SALU_CYCLE_1)
	s_and_b32 vcc_lo, exec_lo, s0
	s_cbranch_vccnz .LBB9_25
.LBB9_9:                                ; =>This Inner Loop Header: Depth=1
	s_waitcnt vmcnt(0)
	v_add_co_u32 v25, s0, v0, s6
	s_delay_alu instid0(VALU_DEP_1) | instskip(SKIP_1) | instid1(VALU_DEP_2)
	v_add_co_ci_u32_e64 v26, null, 0, s7, s0
	v_dual_mov_b32 v24, 0 :: v_dual_mov_b32 v23, 0
	v_cmp_gt_u64_e32 vcc_lo, s[4:5], v[25:26]
	v_mov_b32_e32 v25, 0
	s_and_saveexec_b32 s1, vcc_lo
	s_cbranch_execz .LBB9_11
; %bb.10:                               ;   in Loop: Header=BB9_9 Depth=1
	v_add_co_u32 v25, s0, v1, s6
	s_delay_alu instid0(VALU_DEP_1) | instskip(SKIP_1) | instid1(VALU_DEP_1)
	v_add_co_ci_u32_e64 v26, s0, s7, v2, s0
	v_add_co_u32 v27, s0, v3, s6
	v_add_co_ci_u32_e64 v28, s0, s7, v4, s0
	global_load_u8 v23, v[25:26], off
	global_load_u8 v25, v[27:28], off
.LBB9_11:                               ;   in Loop: Header=BB9_9 Depth=1
	s_or_b32 exec_lo, exec_lo, s1
	v_add_co_u32 v26, s0, v21, s6
	s_delay_alu instid0(VALU_DEP_1) | instskip(NEXT) | instid1(VALU_DEP_1)
	v_add_co_ci_u32_e64 v27, s0, s7, v22, s0
	v_cmp_gt_u64_e64 s0, s[4:5], v[26:27]
	s_delay_alu instid0(VALU_DEP_1)
	s_and_saveexec_b32 s2, s0
	s_cbranch_execz .LBB9_13
; %bb.12:                               ;   in Loop: Header=BB9_9 Depth=1
	v_add_co_u32 v26, s1, v17, s6
	s_delay_alu instid0(VALU_DEP_1) | instskip(SKIP_2) | instid1(VALU_DEP_1)
	v_add_co_ci_u32_e64 v27, s1, s7, v18, s1
	global_load_u8 v28, v[26:27], off
	v_add_co_u32 v26, s1, v19, s6
	v_add_co_ci_u32_e64 v27, s1, s7, v20, s1
	global_load_u8 v24, v[26:27], off
	s_waitcnt vmcnt(1)
	v_lshl_or_b32 v23, v28, 8, v23
.LBB9_13:                               ;   in Loop: Header=BB9_9 Depth=1
	s_or_b32 exec_lo, exec_lo, s2
	v_add_co_u32 v26, s1, v15, s6
	s_delay_alu instid0(VALU_DEP_1) | instskip(NEXT) | instid1(VALU_DEP_1)
	v_add_co_ci_u32_e64 v27, s1, s7, v16, s1
	v_cmp_gt_u64_e64 s1, s[4:5], v[26:27]
	v_dual_mov_b32 v26, 0 :: v_dual_mov_b32 v27, 0
	s_delay_alu instid0(VALU_DEP_2)
	s_and_saveexec_b32 s3, s1
	s_cbranch_execz .LBB9_15
; %bb.14:                               ;   in Loop: Header=BB9_9 Depth=1
	v_add_co_u32 v27, s2, v11, s6
	s_delay_alu instid0(VALU_DEP_1) | instskip(SKIP_2) | instid1(VALU_DEP_1)
	v_add_co_ci_u32_e64 v28, s2, s7, v12, s2
	global_load_u8 v29, v[27:28], off
	v_add_co_u32 v27, s2, v13, s6
	v_add_co_ci_u32_e64 v28, s2, s7, v14, s2
	global_load_u8 v27, v[27:28], off
	s_waitcnt vmcnt(1)
	v_lshl_or_b32 v23, v29, 16, v23
.LBB9_15:                               ;   in Loop: Header=BB9_9 Depth=1
	s_or_b32 exec_lo, exec_lo, s3
	v_add_co_u32 v28, s2, v9, s6
	s_delay_alu instid0(VALU_DEP_1) | instskip(NEXT) | instid1(VALU_DEP_1)
	v_add_co_ci_u32_e64 v29, s2, s7, v10, s2
	v_cmp_gt_u64_e64 s2, s[4:5], v[28:29]
	s_delay_alu instid0(VALU_DEP_1)
	s_and_saveexec_b32 s10, s2
	s_cbranch_execnz .LBB9_20
; %bb.16:                               ;   in Loop: Header=BB9_9 Depth=1
	s_or_b32 exec_lo, exec_lo, s10
	s_and_saveexec_b32 s3, vcc_lo
	s_cbranch_execnz .LBB9_21
.LBB9_17:                               ;   in Loop: Header=BB9_9 Depth=1
	s_or_b32 exec_lo, exec_lo, s3
	s_and_saveexec_b32 s3, s0
	s_cbranch_execnz .LBB9_22
.LBB9_18:                               ;   in Loop: Header=BB9_9 Depth=1
	s_or_b32 exec_lo, exec_lo, s3
	s_and_saveexec_b32 s0, s1
	s_cbranch_execnz .LBB9_23
.LBB9_19:                               ;   in Loop: Header=BB9_9 Depth=1
	s_or_b32 exec_lo, exec_lo, s0
	s_and_saveexec_b32 s0, s2
	s_cbranch_execz .LBB9_8
	s_branch .LBB9_24
.LBB9_20:                               ;   in Loop: Header=BB9_9 Depth=1
	v_add_co_u32 v28, s3, v5, s6
	s_delay_alu instid0(VALU_DEP_1) | instskip(SKIP_2) | instid1(VALU_DEP_1)
	v_add_co_ci_u32_e64 v29, s3, s7, v6, s3
	global_load_u8 v30, v[28:29], off
	v_add_co_u32 v28, s3, v7, s6
	v_add_co_ci_u32_e64 v29, s3, s7, v8, s3
	global_load_u8 v26, v[28:29], off
	s_waitcnt vmcnt(1)
	v_lshl_or_b32 v23, v30, 24, v23
	s_or_b32 exec_lo, exec_lo, s10
	s_and_saveexec_b32 s3, vcc_lo
	s_cbranch_execz .LBB9_17
.LBB9_21:                               ;   in Loop: Header=BB9_9 Depth=1
	s_waitcnt vmcnt(0)
	v_and_b32_e32 v25, 0xff, v25
	s_delay_alu instid0(VALU_DEP_1) | instskip(SKIP_4) | instid1(VALU_DEP_2)
	v_cmp_ne_u16_e32 vcc_lo, 0, v25
	s_and_b32 s10, vcc_lo, s18
	v_add_co_u32 v28, vcc_lo, v1, s6
	v_cndmask_b32_e64 v25, 0, 1, s10
	v_add_co_ci_u32_e32 v29, vcc_lo, s7, v2, vcc_lo
	v_or_b32_e32 v25, v23, v25
	global_store_b8 v[28:29], v25, off
	s_or_b32 exec_lo, exec_lo, s3
	s_and_saveexec_b32 s3, s0
	s_cbranch_execz .LBB9_18
.LBB9_22:                               ;   in Loop: Header=BB9_9 Depth=1
	s_waitcnt vmcnt(0)
	v_and_b32_e32 v24, 0xff, v24
	s_delay_alu instid0(VALU_DEP_1) | instskip(SKIP_1) | instid1(SALU_CYCLE_1)
	v_cmp_ne_u16_e32 vcc_lo, 0, v24
	s_and_b32 s0, vcc_lo, s18
	v_cndmask_b32_e64 v24, 0, 0x100, s0
	s_delay_alu instid0(VALU_DEP_1) | instskip(NEXT) | instid1(VALU_DEP_1)
	v_or_b32_e32 v24, v23, v24
	v_lshrrev_b32_e32 v28, 8, v24
	v_add_co_u32 v24, vcc_lo, v17, s6
	v_add_co_ci_u32_e32 v25, vcc_lo, s7, v18, vcc_lo
	global_store_b8 v[24:25], v28, off
	s_or_b32 exec_lo, exec_lo, s3
	s_and_saveexec_b32 s0, s1
	s_cbranch_execz .LBB9_19
.LBB9_23:                               ;   in Loop: Header=BB9_9 Depth=1
	s_waitcnt vmcnt(0)
	v_and_b32_e32 v24, 0xff, v27
	s_delay_alu instid0(VALU_DEP_1) | instskip(SKIP_1) | instid1(SALU_CYCLE_1)
	v_cmp_ne_u16_e32 vcc_lo, 0, v24
	s_and_b32 s1, vcc_lo, s18
	v_cndmask_b32_e64 v24, 0, 0x10000, s1
	s_delay_alu instid0(VALU_DEP_1)
	v_or_b32_e32 v27, v23, v24
	v_add_co_u32 v24, vcc_lo, v11, s6
	v_add_co_ci_u32_e32 v25, vcc_lo, s7, v12, vcc_lo
	global_store_d16_hi_b8 v[24:25], v27, off
	s_or_b32 exec_lo, exec_lo, s0
	s_and_saveexec_b32 s0, s2
	s_cbranch_execz .LBB9_8
.LBB9_24:                               ;   in Loop: Header=BB9_9 Depth=1
	s_waitcnt vmcnt(0)
	v_and_b32_e32 v24, 0xff, v26
	s_delay_alu instid0(VALU_DEP_1) | instskip(SKIP_1) | instid1(SALU_CYCLE_1)
	v_cmp_ne_u16_e32 vcc_lo, 0, v24
	s_and_b32 s1, vcc_lo, s18
	v_cndmask_b32_e64 v24, 0, 0x1000000, s1
	s_delay_alu instid0(VALU_DEP_1) | instskip(NEXT) | instid1(VALU_DEP_1)
	v_or_b32_e32 v23, v24, v23
	v_lshrrev_b32_e32 v25, 24, v23
	v_add_co_u32 v23, vcc_lo, v5, s6
	v_add_co_ci_u32_e32 v24, vcc_lo, s7, v6, vcc_lo
	global_store_b8 v[23:24], v25, off
	s_branch .LBB9_8
.LBB9_25:
	s_nop 0
	s_sendmsg sendmsg(MSG_DEALLOC_VGPRS)
	s_endpgm
	.section	.rodata,"a",@progbits
	.p2align	6, 0x0
	.amdhsa_kernel _ZN2at6native12_GLOBAL__N_125multi_tensor_apply_kernelINS1_18TensorListMetadataILi2EEENS1_24BinaryOpListAlphaFunctorIbLi2ELi2ELi0EEEJSt4plusIbEbEEEvT_T0_DpT1_
		.amdhsa_group_segment_fixed_size 0
		.amdhsa_private_segment_fixed_size 0
		.amdhsa_kernarg_size 3408
		.amdhsa_user_sgpr_count 15
		.amdhsa_user_sgpr_dispatch_ptr 0
		.amdhsa_user_sgpr_queue_ptr 0
		.amdhsa_user_sgpr_kernarg_segment_ptr 1
		.amdhsa_user_sgpr_dispatch_id 0
		.amdhsa_user_sgpr_private_segment_size 0
		.amdhsa_wavefront_size32 1
		.amdhsa_uses_dynamic_stack 0
		.amdhsa_enable_private_segment 0
		.amdhsa_system_sgpr_workgroup_id_x 1
		.amdhsa_system_sgpr_workgroup_id_y 0
		.amdhsa_system_sgpr_workgroup_id_z 0
		.amdhsa_system_sgpr_workgroup_info 0
		.amdhsa_system_vgpr_workitem_id 0
		.amdhsa_next_free_vgpr 31
		.amdhsa_next_free_sgpr 23
		.amdhsa_reserve_vcc 1
		.amdhsa_float_round_mode_32 0
		.amdhsa_float_round_mode_16_64 0
		.amdhsa_float_denorm_mode_32 3
		.amdhsa_float_denorm_mode_16_64 3
		.amdhsa_dx10_clamp 1
		.amdhsa_ieee_mode 1
		.amdhsa_fp16_overflow 0
		.amdhsa_workgroup_processor_mode 1
		.amdhsa_memory_ordered 1
		.amdhsa_forward_progress 0
		.amdhsa_shared_vgpr_count 0
		.amdhsa_exception_fp_ieee_invalid_op 0
		.amdhsa_exception_fp_denorm_src 0
		.amdhsa_exception_fp_ieee_div_zero 0
		.amdhsa_exception_fp_ieee_overflow 0
		.amdhsa_exception_fp_ieee_underflow 0
		.amdhsa_exception_fp_ieee_inexact 0
		.amdhsa_exception_int_div_zero 0
	.end_amdhsa_kernel
	.section	.text._ZN2at6native12_GLOBAL__N_125multi_tensor_apply_kernelINS1_18TensorListMetadataILi2EEENS1_24BinaryOpListAlphaFunctorIbLi2ELi2ELi0EEEJSt4plusIbEbEEEvT_T0_DpT1_,"axG",@progbits,_ZN2at6native12_GLOBAL__N_125multi_tensor_apply_kernelINS1_18TensorListMetadataILi2EEENS1_24BinaryOpListAlphaFunctorIbLi2ELi2ELi0EEEJSt4plusIbEbEEEvT_T0_DpT1_,comdat
.Lfunc_end9:
	.size	_ZN2at6native12_GLOBAL__N_125multi_tensor_apply_kernelINS1_18TensorListMetadataILi2EEENS1_24BinaryOpListAlphaFunctorIbLi2ELi2ELi0EEEJSt4plusIbEbEEEvT_T0_DpT1_, .Lfunc_end9-_ZN2at6native12_GLOBAL__N_125multi_tensor_apply_kernelINS1_18TensorListMetadataILi2EEENS1_24BinaryOpListAlphaFunctorIbLi2ELi2ELi0EEEJSt4plusIbEbEEEvT_T0_DpT1_
                                        ; -- End function
	.section	.AMDGPU.csdata,"",@progbits
; Kernel info:
; codeLenInByte = 1700
; NumSgprs: 25
; NumVgprs: 31
; ScratchSize: 0
; MemoryBound: 0
; FloatMode: 240
; IeeeMode: 1
; LDSByteSize: 0 bytes/workgroup (compile time only)
; SGPRBlocks: 3
; VGPRBlocks: 3
; NumSGPRsForWavesPerEU: 25
; NumVGPRsForWavesPerEU: 31
; Occupancy: 16
; WaveLimiterHint : 0
; COMPUTE_PGM_RSRC2:SCRATCH_EN: 0
; COMPUTE_PGM_RSRC2:USER_SGPR: 15
; COMPUTE_PGM_RSRC2:TRAP_HANDLER: 0
; COMPUTE_PGM_RSRC2:TGID_X_EN: 1
; COMPUTE_PGM_RSRC2:TGID_Y_EN: 0
; COMPUTE_PGM_RSRC2:TGID_Z_EN: 0
; COMPUTE_PGM_RSRC2:TIDIG_COMP_CNT: 0
	.section	.text._ZN2at6native12_GLOBAL__N_125multi_tensor_apply_kernelINS1_18TensorListMetadataILi2EEENS1_24BinaryOpListAlphaFunctorIN3c108BFloat16ELi2ELi2ELi0EEEJSt4plusIfEfEEEvT_T0_DpT1_,"axG",@progbits,_ZN2at6native12_GLOBAL__N_125multi_tensor_apply_kernelINS1_18TensorListMetadataILi2EEENS1_24BinaryOpListAlphaFunctorIN3c108BFloat16ELi2ELi2ELi0EEEJSt4plusIfEfEEEvT_T0_DpT1_,comdat
	.globl	_ZN2at6native12_GLOBAL__N_125multi_tensor_apply_kernelINS1_18TensorListMetadataILi2EEENS1_24BinaryOpListAlphaFunctorIN3c108BFloat16ELi2ELi2ELi0EEEJSt4plusIfEfEEEvT_T0_DpT1_ ; -- Begin function _ZN2at6native12_GLOBAL__N_125multi_tensor_apply_kernelINS1_18TensorListMetadataILi2EEENS1_24BinaryOpListAlphaFunctorIN3c108BFloat16ELi2ELi2ELi0EEEJSt4plusIfEfEEEvT_T0_DpT1_
	.p2align	8
	.type	_ZN2at6native12_GLOBAL__N_125multi_tensor_apply_kernelINS1_18TensorListMetadataILi2EEENS1_24BinaryOpListAlphaFunctorIN3c108BFloat16ELi2ELi2ELi0EEEJSt4plusIfEfEEEvT_T0_DpT1_,@function
_ZN2at6native12_GLOBAL__N_125multi_tensor_apply_kernelINS1_18TensorListMetadataILi2EEENS1_24BinaryOpListAlphaFunctorIN3c108BFloat16ELi2ELi2ELi0EEEJSt4plusIfEfEEEvT_T0_DpT1_: ; @_ZN2at6native12_GLOBAL__N_125multi_tensor_apply_kernelINS1_18TensorListMetadataILi2EEENS1_24BinaryOpListAlphaFunctorIN3c108BFloat16ELi2ELi2ELi0EEEJSt4plusIfEfEEEvT_T0_DpT1_
; %bb.0:
	v_mov_b32_e32 v1, s15
	s_add_u32 s2, s0, s15
	s_mul_hi_u32 s3, s15, 3
	s_mul_i32 s15, s15, 3
	s_addc_u32 s4, s1, 0
	global_load_u8 v1, v1, s[0:1] offset:1536
	s_add_u32 s2, s2, s15
	s_addc_u32 s3, s4, s3
	s_mov_b32 s9, 0
	s_load_b32 s2, s[2:3], 0x740
	s_mov_b32 s19, s9
	s_mov_b32 s17, s9
	s_waitcnt vmcnt(0)
	v_readfirstlane_b32 s3, v1
	s_delay_alu instid0(VALU_DEP_1)
	s_lshl_b32 s3, s3, 3
	s_clause 0x3
	s_load_b64 s[10:11], s[0:1], s3 offset:0x0
	s_load_b64 s[12:13], s[0:1], s3 offset:0x200
	;; [unrolled: 1-line block ×3, first 2 shown]
	s_load_b32 s14, s[0:1], 0xc4c
	s_waitcnt lgkmcnt(0)
	s_ashr_i32 s3, s2, 31
	s_delay_alu instid0(SALU_CYCLE_1) | instskip(SKIP_4) | instid1(SALU_CYCLE_1)
	s_lshl_b64 s[6:7], s[2:3], 17
	s_lshl_b64 s[2:3], s[2:3], 16
	s_and_b32 s8, s10, 7
	s_and_b32 s16, s12, 7
	;; [unrolled: 1-line block ×3, first 2 shown]
	s_or_b64 s[8:9], s[8:9], s[18:19]
	s_delay_alu instid0(SALU_CYCLE_1)
	s_or_b64 s[16:17], s[16:17], s[8:9]
	s_sub_u32 s8, s4, s2
	s_subb_u32 s9, s5, s3
	s_cmp_eq_u64 s[16:17], 0
	s_mov_b32 s2, -1
	s_cbranch_scc0 .LBB10_5
; %bb.1:
	v_dual_mov_b32 v2, 0 :: v_dual_lshlrev_b32 v1, 2, v0
	s_mov_b32 s15, exec_lo
	s_delay_alu instid0(VALU_DEP_1)
	v_cmpx_gt_i64_e64 s[8:9], v[1:2]
	s_cbranch_execz .LBB10_4
; %bb.2:
	s_load_b32 s2, s[0:1], 0xc5c
	v_lshlrev_b32_e32 v1, 3, v0
	s_mov_b32 s16, 0
	s_delay_alu instid0(VALU_DEP_1) | instskip(NEXT) | instid1(VALU_DEP_1)
	v_add_co_u32 v3, s3, s6, v1
	v_add_co_ci_u32_e64 v4, null, s7, 0, s3
	s_waitcnt lgkmcnt(0)
	s_and_b32 s2, s2, 0xffff
	s_delay_alu instid0(SALU_CYCLE_1)
	v_add_lshl_u32 v1, v0, s2, 2
	s_lshl_b32 s17, s2, 3
	s_lshl_b32 s18, s2, 2
.LBB10_3:                               ; =>This Inner Loop Header: Depth=1
	v_add_co_u32 v5, vcc_lo, s10, v3
	v_add_co_ci_u32_e32 v6, vcc_lo, s11, v4, vcc_lo
	v_add_co_u32 v7, vcc_lo, s12, v3
	v_add_co_ci_u32_e32 v8, vcc_lo, s13, v4, vcc_lo
	v_cmp_le_i64_e32 vcc_lo, s[8:9], v[1:2]
	global_load_b64 v[9:10], v[5:6], off
	global_load_b64 v[7:8], v[7:8], off
	v_cmp_lt_u64_e64 s2, 0xffff, v[1:2]
	v_add_co_u32 v3, s3, v3, s17
	s_delay_alu instid0(VALU_DEP_1) | instskip(SKIP_1) | instid1(VALU_DEP_4)
	v_add_co_ci_u32_e64 v4, s3, 0, v4, s3
	v_add_co_u32 v1, s3, v1, s18
	s_or_b32 s2, vcc_lo, s2
	v_add_co_ci_u32_e64 v2, s3, 0, v2, s3
	s_and_b32 s2, exec_lo, s2
	s_delay_alu instid0(SALU_CYCLE_1)
	s_or_b32 s16, s2, s16
	s_waitcnt vmcnt(1)
	v_and_b32_e32 v13, 0xffff0000, v9
	s_waitcnt vmcnt(0)
	v_and_b32_e32 v14, 0xffff0000, v7
	v_lshlrev_b32_e32 v12, 16, v7
	v_alignbit_b32 v7, v8, v7, 16
	v_and_b32_e32 v8, 0xffff0000, v8
	v_lshlrev_b32_e32 v11, 16, v9
	v_alignbit_b32 v9, v10, v9, 16
	v_fmac_f32_e32 v13, s14, v14
	v_and_b32_e32 v7, 0xffff0000, v7
	s_delay_alu instid0(VALU_DEP_3) | instskip(SKIP_1) | instid1(VALU_DEP_4)
	v_and_b32_e32 v9, 0xffff0000, v9
	v_and_b32_e32 v10, 0xffff0000, v10
	v_cmp_o_f32_e64 s4, v13, v13
	s_delay_alu instid0(VALU_DEP_2) | instskip(SKIP_2) | instid1(VALU_DEP_3)
	v_dual_fmac_f32 v9, s14, v7 :: v_dual_fmac_f32 v10, s14, v8
	v_fmac_f32_e32 v11, s14, v12
	v_bfe_u32 v12, v13, 16, 1
	v_bfe_u32 v14, v9, 16, 1
	s_delay_alu instid0(VALU_DEP_4) | instskip(NEXT) | instid1(VALU_DEP_4)
	v_bfe_u32 v7, v10, 16, 1
	v_bfe_u32 v8, v11, 16, 1
	s_delay_alu instid0(VALU_DEP_4)
	v_add3_u32 v12, v13, v12, 0x7fff
	v_cmp_o_f32_e64 s5, v11, v11
	v_add3_u32 v14, v9, v14, 0x7fff
	v_add3_u32 v7, v10, v7, 0x7fff
	;; [unrolled: 1-line block ×3, first 2 shown]
	v_and_b32_e32 v12, 0xffff0000, v12
	s_delay_alu instid0(VALU_DEP_4) | instskip(NEXT) | instid1(VALU_DEP_4)
	v_lshrrev_b32_e32 v11, 16, v14
	v_and_b32_e32 v7, 0xffff0000, v7
	s_delay_alu instid0(VALU_DEP_4) | instskip(NEXT) | instid1(VALU_DEP_4)
	v_lshrrev_b32_e32 v8, 16, v8
	v_cndmask_b32_e64 v12, 0x7fc00000, v12, s4
	v_cmp_o_f32_e64 s4, v10, v10
	s_delay_alu instid0(VALU_DEP_3) | instskip(NEXT) | instid1(VALU_DEP_2)
	v_cndmask_b32_e64 v8, 0x7fc0, v8, s5
	v_cndmask_b32_e64 v7, 0x7fc00000, v7, s4
	v_cmp_o_f32_e64 s4, v9, v9
	s_delay_alu instid0(VALU_DEP_3) | instskip(NEXT) | instid1(VALU_DEP_2)
	v_or_b32_e32 v10, v8, v12
	v_cndmask_b32_e64 v9, 0x7fc0, v11, s4
	s_delay_alu instid0(VALU_DEP_1) | instskip(NEXT) | instid1(VALU_DEP_3)
	v_or3_b32 v8, 0, v9, v7
	v_or3_b32 v7, v10, 0, 0
	global_store_b64 v[5:6], v[7:8], off
	s_and_not1_b32 exec_lo, exec_lo, s16
	s_cbranch_execnz .LBB10_3
.LBB10_4:
	s_or_b32 exec_lo, exec_lo, s15
	s_mov_b32 s2, 0
.LBB10_5:
	s_delay_alu instid0(SALU_CYCLE_1)
	s_and_not1_b32 vcc_lo, exec_lo, s2
	s_cbranch_vccnz .LBB10_25
; %bb.6:
	v_cmp_lt_i64_e64 s2, s[8:9], 1
	s_delay_alu instid0(VALU_DEP_1)
	s_and_b32 vcc_lo, exec_lo, s2
	s_cbranch_vccnz .LBB10_25
; %bb.7:
	s_load_b32 s0, s[0:1], 0xc5c
	v_dual_mov_b32 v2, 0 :: v_dual_lshlrev_b32 v1, 1, v0
	v_cmp_gt_u64_e64 s1, 0x10000, s[8:9]
	s_delay_alu instid0(VALU_DEP_2) | instskip(NEXT) | instid1(VALU_DEP_1)
	v_add_co_u32 v3, s2, s10, v1
	v_add_co_ci_u32_e64 v4, null, s11, 0, s2
	v_add_co_u32 v5, s2, s12, v1
	s_delay_alu instid0(VALU_DEP_1)
	v_add_co_ci_u32_e64 v6, null, s13, 0, s2
	s_waitcnt lgkmcnt(0)
	s_and_b32 s0, s0, 0xffff
	s_and_b32 s1, s1, exec_lo
	v_mad_u64_u32 v[9:10], null, s0, 6, v[1:2]
	s_cselect_b32 s5, s9, 0
	s_cselect_b32 s4, s8, 0x10000
	s_lshl_b32 s15, s0, 2
	s_mul_i32 s2, s0, 3
	v_add_co_u32 v1, s3, s15, v1
	s_delay_alu instid0(VALU_DEP_2) | instskip(NEXT) | instid1(VALU_DEP_3)
	v_add_co_u32 v7, vcc_lo, s10, v9
	v_add_co_ci_u32_e32 v8, vcc_lo, s11, v10, vcc_lo
	v_add_co_u32 v11, s2, s2, v0
	v_add_co_u32 v9, vcc_lo, s12, v9
	v_add_co_ci_u32_e64 v2, null, 0, 0, s3
	v_add_co_ci_u32_e64 v12, null, 0, 0, s2
	v_add_co_u32 v15, s2, v0, s0
	v_add_co_ci_u32_e32 v10, vcc_lo, s13, v10, vcc_lo
	v_add_co_u32 v13, vcc_lo, s10, v1
	v_add_co_ci_u32_e32 v14, vcc_lo, s11, v2, vcc_lo
	v_add_co_u32 v16, vcc_lo, s12, v1
	v_lshlrev_b32_e32 v1, 1, v15
	s_lshl_b32 s1, s0, 1
	v_add_co_ci_u32_e32 v17, vcc_lo, s13, v2, vcc_lo
	v_add_co_u32 v19, s1, s1, v0
	s_delay_alu instid0(VALU_DEP_1) | instskip(SKIP_1) | instid1(VALU_DEP_1)
	v_add_co_ci_u32_e64 v20, null, 0, 0, s1
	v_add_co_u32 v21, s1, s10, v1
	v_add_co_ci_u32_e64 v22, null, s11, 0, s1
	v_add_co_u32 v23, s1, s12, v1
	v_add_co_ci_u32_e64 v18, null, 0, 0, s2
	v_add_co_ci_u32_e64 v24, null, s13, 0, s1
	s_mov_b32 s12, 0
	s_lshl_b32 s13, s0, 3
	s_mov_b64 s[10:11], 0
	s_branch .LBB10_9
.LBB10_8:                               ;   in Loop: Header=BB10_9 Depth=1
	s_or_b32 exec_lo, exec_lo, s0
	v_add_co_u32 v3, vcc_lo, v3, s13
	v_add_co_ci_u32_e32 v4, vcc_lo, 0, v4, vcc_lo
	v_add_co_u32 v5, vcc_lo, v5, s13
	v_add_co_ci_u32_e32 v6, vcc_lo, 0, v6, vcc_lo
	;; [unrolled: 2-line block ×5, first 2 shown]
	s_add_u32 s10, s10, s15
	v_add_co_u32 v16, vcc_lo, v16, s13
	s_addc_u32 s11, s11, 0
	v_add_co_ci_u32_e32 v17, vcc_lo, 0, v17, vcc_lo
	v_cmp_ge_i64_e64 s0, s[10:11], s[8:9]
	v_cmp_lt_u64_e64 s1, 0xffff, s[10:11]
	v_add_co_u32 v21, vcc_lo, v21, s13
	v_add_co_ci_u32_e32 v22, vcc_lo, 0, v22, vcc_lo
	v_add_co_u32 v23, vcc_lo, v23, s13
	v_add_co_ci_u32_e32 v24, vcc_lo, 0, v24, vcc_lo
	s_or_b32 s0, s0, s1
	s_delay_alu instid0(SALU_CYCLE_1)
	s_and_b32 vcc_lo, exec_lo, s0
	s_cbranch_vccnz .LBB10_25
.LBB10_9:                               ; =>This Inner Loop Header: Depth=1
	v_add_co_u32 v1, s0, v0, s10
	s_delay_alu instid0(VALU_DEP_1) | instskip(SKIP_2) | instid1(VALU_DEP_2)
	v_add_co_ci_u32_e64 v2, null, 0, s11, s0
	s_waitcnt vmcnt(0)
	v_mov_b32_e32 v26, 0
	v_cmp_gt_u64_e32 vcc_lo, s[4:5], v[1:2]
	v_mov_b32_e32 v1, 0
	v_mov_b32_e32 v2, 0
	s_and_saveexec_b32 s1, vcc_lo
	s_cbranch_execz .LBB10_11
; %bb.10:                               ;   in Loop: Header=BB10_9 Depth=1
	v_add_co_u32 v1, s0, v3, s6
	s_delay_alu instid0(VALU_DEP_1) | instskip(SKIP_2) | instid1(VALU_DEP_1)
	v_add_co_ci_u32_e64 v2, s0, s7, v4, s0
	global_load_u16 v25, v[1:2], off
	v_add_co_u32 v1, s0, v5, s6
	v_add_co_ci_u32_e64 v2, s0, s7, v6, s0
	global_load_u16 v26, v[1:2], off
	s_waitcnt vmcnt(1)
	v_dual_mov_b32 v2, s12 :: v_dual_and_b32 v1, 0xffff, v25
.LBB10_11:                              ;   in Loop: Header=BB10_9 Depth=1
	s_or_b32 exec_lo, exec_lo, s1
	v_add_co_u32 v27, s0, v15, s10
	s_delay_alu instid0(VALU_DEP_1) | instskip(SKIP_1) | instid1(VALU_DEP_2)
	v_add_co_ci_u32_e64 v28, s0, s11, v18, s0
	v_mov_b32_e32 v25, 0
	v_cmp_gt_u64_e64 s0, s[4:5], v[27:28]
	v_mov_b32_e32 v27, 0
	s_delay_alu instid0(VALU_DEP_2)
	s_and_saveexec_b32 s2, s0
	s_cbranch_execz .LBB10_13
; %bb.12:                               ;   in Loop: Header=BB10_9 Depth=1
	v_add_co_u32 v27, s1, v21, s6
	s_delay_alu instid0(VALU_DEP_1) | instskip(SKIP_2) | instid1(VALU_DEP_1)
	v_add_co_ci_u32_e64 v28, s1, s7, v22, s1
	global_load_u16 v29, v[27:28], off
	v_add_co_u32 v27, s1, v23, s6
	v_add_co_ci_u32_e64 v28, s1, s7, v24, s1
	global_load_u16 v27, v[27:28], off
	s_waitcnt vmcnt(1)
	v_lshl_or_b32 v1, v29, 16, v1
.LBB10_13:                              ;   in Loop: Header=BB10_9 Depth=1
	s_or_b32 exec_lo, exec_lo, s2
	v_add_co_u32 v28, s1, v19, s10
	s_delay_alu instid0(VALU_DEP_1) | instskip(NEXT) | instid1(VALU_DEP_1)
	v_add_co_ci_u32_e64 v29, s1, s11, v20, s1
	v_cmp_gt_u64_e64 s1, s[4:5], v[28:29]
	s_delay_alu instid0(VALU_DEP_1)
	s_and_saveexec_b32 s3, s1
	s_cbranch_execz .LBB10_15
; %bb.14:                               ;   in Loop: Header=BB10_9 Depth=1
	v_add_co_u32 v28, s2, v13, s6
	s_delay_alu instid0(VALU_DEP_1) | instskip(SKIP_2) | instid1(VALU_DEP_1)
	v_add_co_ci_u32_e64 v29, s2, s7, v14, s2
	global_load_u16 v30, v[28:29], off
	v_add_co_u32 v28, s2, v16, s6
	v_add_co_ci_u32_e64 v29, s2, s7, v17, s2
	global_load_u16 v25, v[28:29], off
	s_waitcnt vmcnt(1)
	v_or_b32_e32 v2, v30, v2
.LBB10_15:                              ;   in Loop: Header=BB10_9 Depth=1
	s_or_b32 exec_lo, exec_lo, s3
	v_add_co_u32 v28, s2, v11, s10
	s_delay_alu instid0(VALU_DEP_1) | instskip(NEXT) | instid1(VALU_DEP_1)
	v_add_co_ci_u32_e64 v29, s2, s11, v12, s2
	v_cmp_gt_u64_e64 s2, s[4:5], v[28:29]
	v_mov_b32_e32 v28, 0
	s_delay_alu instid0(VALU_DEP_2)
	s_and_saveexec_b32 s16, s2
	s_cbranch_execnz .LBB10_20
; %bb.16:                               ;   in Loop: Header=BB10_9 Depth=1
	s_or_b32 exec_lo, exec_lo, s16
	s_and_saveexec_b32 s3, vcc_lo
	s_cbranch_execnz .LBB10_21
.LBB10_17:                              ;   in Loop: Header=BB10_9 Depth=1
	s_or_b32 exec_lo, exec_lo, s3
	s_and_saveexec_b32 s3, s0
	s_cbranch_execnz .LBB10_22
.LBB10_18:                              ;   in Loop: Header=BB10_9 Depth=1
	s_or_b32 exec_lo, exec_lo, s3
	s_and_saveexec_b32 s0, s1
	s_cbranch_execnz .LBB10_23
.LBB10_19:                              ;   in Loop: Header=BB10_9 Depth=1
	s_or_b32 exec_lo, exec_lo, s0
	s_and_saveexec_b32 s0, s2
	s_cbranch_execz .LBB10_8
	s_branch .LBB10_24
.LBB10_20:                              ;   in Loop: Header=BB10_9 Depth=1
	v_add_co_u32 v28, s3, v7, s6
	s_delay_alu instid0(VALU_DEP_1) | instskip(SKIP_3) | instid1(VALU_DEP_1)
	v_add_co_ci_u32_e64 v29, s3, s7, v8, s3
	v_mov_b32_e32 v30, 0
	global_load_d16_hi_b16 v30, v[28:29], off
	v_add_co_u32 v28, s3, v9, s6
	v_add_co_ci_u32_e64 v29, s3, s7, v10, s3
	global_load_u16 v28, v[28:29], off
	s_waitcnt vmcnt(1)
	v_or_b32_e32 v2, v30, v2
	s_or_b32 exec_lo, exec_lo, s16
	s_and_saveexec_b32 s3, vcc_lo
	s_cbranch_execz .LBB10_17
.LBB10_21:                              ;   in Loop: Header=BB10_9 Depth=1
	s_waitcnt vmcnt(0)
	v_lshlrev_b32_e32 v26, 16, v26
	v_lshlrev_b32_e32 v31, 16, v1
	v_add_co_u32 v29, vcc_lo, v3, s6
	v_add_co_ci_u32_e32 v30, vcc_lo, s7, v4, vcc_lo
	s_delay_alu instid0(VALU_DEP_3) | instskip(NEXT) | instid1(VALU_DEP_1)
	v_fmac_f32_e32 v31, s14, v26
	v_bfe_u32 v26, v31, 16, 1
	v_cmp_o_f32_e32 vcc_lo, v31, v31
	s_delay_alu instid0(VALU_DEP_2) | instskip(NEXT) | instid1(VALU_DEP_1)
	v_add3_u32 v26, v31, v26, 0x7fff
	v_lshrrev_b32_e32 v26, 16, v26
	s_delay_alu instid0(VALU_DEP_1)
	v_cndmask_b32_e32 v26, 0x7fc0, v26, vcc_lo
	global_store_b16 v[29:30], v26, off
	s_or_b32 exec_lo, exec_lo, s3
	s_and_saveexec_b32 s3, s0
	s_cbranch_execz .LBB10_18
.LBB10_22:                              ;   in Loop: Header=BB10_9 Depth=1
	s_waitcnt vmcnt(0)
	v_and_b32_e32 v26, 0xffff0000, v1
	v_lshlrev_b32_e32 v27, 16, v27
	s_delay_alu instid0(VALU_DEP_1) | instskip(NEXT) | instid1(VALU_DEP_1)
	v_fmac_f32_e32 v26, s14, v27
	v_bfe_u32 v27, v26, 16, 1
	v_cmp_o_f32_e32 vcc_lo, v26, v26
	s_delay_alu instid0(VALU_DEP_2) | instskip(NEXT) | instid1(VALU_DEP_1)
	v_add3_u32 v27, v26, v27, 0x7fff
	v_lshrrev_b32_e32 v27, 16, v27
	s_delay_alu instid0(VALU_DEP_1)
	v_cndmask_b32_e32 v29, 0x7fc0, v27, vcc_lo
	v_add_co_u32 v26, vcc_lo, v21, s6
	v_add_co_ci_u32_e32 v27, vcc_lo, s7, v22, vcc_lo
	global_store_b16 v[26:27], v29, off
	s_or_b32 exec_lo, exec_lo, s3
	s_and_saveexec_b32 s0, s1
	s_cbranch_execz .LBB10_19
.LBB10_23:                              ;   in Loop: Header=BB10_9 Depth=1
	v_alignbit_b32 v1, v2, v1, 16
	s_waitcnt vmcnt(0)
	v_lshlrev_b32_e32 v25, 16, v25
	s_delay_alu instid0(VALU_DEP_2) | instskip(NEXT) | instid1(VALU_DEP_1)
	v_and_b32_e32 v1, 0xffff0000, v1
	v_fmac_f32_e32 v1, s14, v25
	s_delay_alu instid0(VALU_DEP_1) | instskip(SKIP_1) | instid1(VALU_DEP_2)
	v_bfe_u32 v25, v1, 16, 1
	v_cmp_o_f32_e32 vcc_lo, v1, v1
	v_add3_u32 v25, v1, v25, 0x7fff
	s_delay_alu instid0(VALU_DEP_1) | instskip(NEXT) | instid1(VALU_DEP_1)
	v_lshrrev_b32_e32 v25, 16, v25
	v_cndmask_b32_e32 v1, 0x7fc0, v25, vcc_lo
	v_add_co_u32 v25, vcc_lo, v13, s6
	v_add_co_ci_u32_e32 v26, vcc_lo, s7, v14, vcc_lo
	global_store_b16 v[25:26], v1, off
	s_or_b32 exec_lo, exec_lo, s0
	s_and_saveexec_b32 s0, s2
	s_cbranch_execz .LBB10_8
.LBB10_24:                              ;   in Loop: Header=BB10_9 Depth=1
	v_and_b32_e32 v1, 0xffff0000, v2
	s_waitcnt vmcnt(0)
	v_lshlrev_b32_e32 v2, 16, v28
	s_delay_alu instid0(VALU_DEP_1) | instskip(NEXT) | instid1(VALU_DEP_1)
	v_fmac_f32_e32 v1, s14, v2
	v_bfe_u32 v2, v1, 16, 1
	v_cmp_o_f32_e32 vcc_lo, v1, v1
	s_delay_alu instid0(VALU_DEP_2) | instskip(NEXT) | instid1(VALU_DEP_1)
	v_add3_u32 v2, v1, v2, 0x7fff
	v_lshrrev_b32_e32 v2, 16, v2
	s_delay_alu instid0(VALU_DEP_1)
	v_cndmask_b32_e32 v25, 0x7fc0, v2, vcc_lo
	v_add_co_u32 v1, vcc_lo, v7, s6
	v_add_co_ci_u32_e32 v2, vcc_lo, s7, v8, vcc_lo
	global_store_b16 v[1:2], v25, off
	s_branch .LBB10_8
.LBB10_25:
	s_nop 0
	s_sendmsg sendmsg(MSG_DEALLOC_VGPRS)
	s_endpgm
	.section	.rodata,"a",@progbits
	.p2align	6, 0x0
	.amdhsa_kernel _ZN2at6native12_GLOBAL__N_125multi_tensor_apply_kernelINS1_18TensorListMetadataILi2EEENS1_24BinaryOpListAlphaFunctorIN3c108BFloat16ELi2ELi2ELi0EEEJSt4plusIfEfEEEvT_T0_DpT1_
		.amdhsa_group_segment_fixed_size 0
		.amdhsa_private_segment_fixed_size 0
		.amdhsa_kernarg_size 3408
		.amdhsa_user_sgpr_count 15
		.amdhsa_user_sgpr_dispatch_ptr 0
		.amdhsa_user_sgpr_queue_ptr 0
		.amdhsa_user_sgpr_kernarg_segment_ptr 1
		.amdhsa_user_sgpr_dispatch_id 0
		.amdhsa_user_sgpr_private_segment_size 0
		.amdhsa_wavefront_size32 1
		.amdhsa_uses_dynamic_stack 0
		.amdhsa_enable_private_segment 0
		.amdhsa_system_sgpr_workgroup_id_x 1
		.amdhsa_system_sgpr_workgroup_id_y 0
		.amdhsa_system_sgpr_workgroup_id_z 0
		.amdhsa_system_sgpr_workgroup_info 0
		.amdhsa_system_vgpr_workitem_id 0
		.amdhsa_next_free_vgpr 32
		.amdhsa_next_free_sgpr 20
		.amdhsa_reserve_vcc 1
		.amdhsa_float_round_mode_32 0
		.amdhsa_float_round_mode_16_64 0
		.amdhsa_float_denorm_mode_32 3
		.amdhsa_float_denorm_mode_16_64 3
		.amdhsa_dx10_clamp 1
		.amdhsa_ieee_mode 1
		.amdhsa_fp16_overflow 0
		.amdhsa_workgroup_processor_mode 1
		.amdhsa_memory_ordered 1
		.amdhsa_forward_progress 0
		.amdhsa_shared_vgpr_count 0
		.amdhsa_exception_fp_ieee_invalid_op 0
		.amdhsa_exception_fp_denorm_src 0
		.amdhsa_exception_fp_ieee_div_zero 0
		.amdhsa_exception_fp_ieee_overflow 0
		.amdhsa_exception_fp_ieee_underflow 0
		.amdhsa_exception_fp_ieee_inexact 0
		.amdhsa_exception_int_div_zero 0
	.end_amdhsa_kernel
	.section	.text._ZN2at6native12_GLOBAL__N_125multi_tensor_apply_kernelINS1_18TensorListMetadataILi2EEENS1_24BinaryOpListAlphaFunctorIN3c108BFloat16ELi2ELi2ELi0EEEJSt4plusIfEfEEEvT_T0_DpT1_,"axG",@progbits,_ZN2at6native12_GLOBAL__N_125multi_tensor_apply_kernelINS1_18TensorListMetadataILi2EEENS1_24BinaryOpListAlphaFunctorIN3c108BFloat16ELi2ELi2ELi0EEEJSt4plusIfEfEEEvT_T0_DpT1_,comdat
.Lfunc_end10:
	.size	_ZN2at6native12_GLOBAL__N_125multi_tensor_apply_kernelINS1_18TensorListMetadataILi2EEENS1_24BinaryOpListAlphaFunctorIN3c108BFloat16ELi2ELi2ELi0EEEJSt4plusIfEfEEEvT_T0_DpT1_, .Lfunc_end10-_ZN2at6native12_GLOBAL__N_125multi_tensor_apply_kernelINS1_18TensorListMetadataILi2EEENS1_24BinaryOpListAlphaFunctorIN3c108BFloat16ELi2ELi2ELi0EEEJSt4plusIfEfEEEvT_T0_DpT1_
                                        ; -- End function
	.section	.AMDGPU.csdata,"",@progbits
; Kernel info:
; codeLenInByte = 2120
; NumSgprs: 22
; NumVgprs: 32
; ScratchSize: 0
; MemoryBound: 0
; FloatMode: 240
; IeeeMode: 1
; LDSByteSize: 0 bytes/workgroup (compile time only)
; SGPRBlocks: 2
; VGPRBlocks: 3
; NumSGPRsForWavesPerEU: 22
; NumVGPRsForWavesPerEU: 32
; Occupancy: 16
; WaveLimiterHint : 0
; COMPUTE_PGM_RSRC2:SCRATCH_EN: 0
; COMPUTE_PGM_RSRC2:USER_SGPR: 15
; COMPUTE_PGM_RSRC2:TRAP_HANDLER: 0
; COMPUTE_PGM_RSRC2:TGID_X_EN: 1
; COMPUTE_PGM_RSRC2:TGID_Y_EN: 0
; COMPUTE_PGM_RSRC2:TGID_Z_EN: 0
; COMPUTE_PGM_RSRC2:TIDIG_COMP_CNT: 0
	.section	.text._ZN2at6native12_GLOBAL__N_125multi_tensor_apply_kernelINS1_18TensorListMetadataILi2EEENS1_24BinaryOpListAlphaFunctorIN3c104HalfELi2ELi2ELi0EEEJSt4plusIfEfEEEvT_T0_DpT1_,"axG",@progbits,_ZN2at6native12_GLOBAL__N_125multi_tensor_apply_kernelINS1_18TensorListMetadataILi2EEENS1_24BinaryOpListAlphaFunctorIN3c104HalfELi2ELi2ELi0EEEJSt4plusIfEfEEEvT_T0_DpT1_,comdat
	.globl	_ZN2at6native12_GLOBAL__N_125multi_tensor_apply_kernelINS1_18TensorListMetadataILi2EEENS1_24BinaryOpListAlphaFunctorIN3c104HalfELi2ELi2ELi0EEEJSt4plusIfEfEEEvT_T0_DpT1_ ; -- Begin function _ZN2at6native12_GLOBAL__N_125multi_tensor_apply_kernelINS1_18TensorListMetadataILi2EEENS1_24BinaryOpListAlphaFunctorIN3c104HalfELi2ELi2ELi0EEEJSt4plusIfEfEEEvT_T0_DpT1_
	.p2align	8
	.type	_ZN2at6native12_GLOBAL__N_125multi_tensor_apply_kernelINS1_18TensorListMetadataILi2EEENS1_24BinaryOpListAlphaFunctorIN3c104HalfELi2ELi2ELi0EEEJSt4plusIfEfEEEvT_T0_DpT1_,@function
_ZN2at6native12_GLOBAL__N_125multi_tensor_apply_kernelINS1_18TensorListMetadataILi2EEENS1_24BinaryOpListAlphaFunctorIN3c104HalfELi2ELi2ELi0EEEJSt4plusIfEfEEEvT_T0_DpT1_: ; @_ZN2at6native12_GLOBAL__N_125multi_tensor_apply_kernelINS1_18TensorListMetadataILi2EEENS1_24BinaryOpListAlphaFunctorIN3c104HalfELi2ELi2ELi0EEEJSt4plusIfEfEEEvT_T0_DpT1_
; %bb.0:
	v_mov_b32_e32 v1, s15
	s_add_u32 s2, s0, s15
	s_mul_hi_u32 s3, s15, 3
	s_mul_i32 s15, s15, 3
	s_addc_u32 s4, s1, 0
	global_load_u8 v1, v1, s[0:1] offset:1536
	s_add_u32 s2, s2, s15
	s_addc_u32 s3, s4, s3
	s_mov_b32 s19, 0
	s_load_b32 s2, s[2:3], 0x740
	s_mov_b32 s21, s19
	s_mov_b32 s23, s19
	s_waitcnt vmcnt(0)
	v_readfirstlane_b32 s3, v1
	s_delay_alu instid0(VALU_DEP_1)
	s_lshl_b32 s3, s3, 3
	s_clause 0x3
	s_load_b64 s[10:11], s[0:1], s3 offset:0x0
	s_load_b64 s[12:13], s[0:1], s3 offset:0x200
	;; [unrolled: 1-line block ×3, first 2 shown]
	s_load_b32 s14, s[0:1], 0xc4c
	s_waitcnt lgkmcnt(0)
	s_ashr_i32 s3, s2, 31
	s_delay_alu instid0(SALU_CYCLE_1) | instskip(NEXT) | instid1(SALU_CYCLE_1)
	s_lshl_b64 s[4:5], s[2:3], 17
	s_add_u32 s8, s10, s4
	s_addc_u32 s9, s11, s5
	s_and_b32 s18, s8, 7
	s_add_u32 s15, s12, s4
	s_addc_u32 s16, s13, s5
	s_and_b32 s20, s6, 3
	s_and_b32 s22, s15, 7
	s_or_b64 s[18:19], s[18:19], s[20:21]
	s_lshl_b64 s[2:3], s[2:3], 16
	s_or_b64 s[18:19], s[22:23], s[18:19]
	s_sub_u32 s6, s6, s2
	s_subb_u32 s7, s7, s3
	s_cmp_eq_u64 s[18:19], 0
	s_mov_b32 s2, -1
	s_cbranch_scc0 .LBB11_5
; %bb.1:
	v_dual_mov_b32 v2, 0 :: v_dual_lshlrev_b32 v1, 2, v0
	s_mov_b32 s17, exec_lo
	s_delay_alu instid0(VALU_DEP_1)
	v_cmpx_gt_i64_e64 s[6:7], v[1:2]
	s_cbranch_execz .LBB11_4
; %bb.2:
	s_load_b32 s2, s[0:1], 0xc5c
	v_lshlrev_b32_e32 v3, 3, v0
	s_mov_b32 s18, 0
	s_waitcnt lgkmcnt(0)
	s_and_b32 s2, s2, 0xffff
	s_delay_alu instid0(SALU_CYCLE_1)
	v_add_lshl_u32 v1, v0, s2, 2
	s_lshl_b32 s19, s2, 2
	s_lshl_b32 s20, s2, 3
	s_set_inst_prefetch_distance 0x1
	.p2align	6
.LBB11_3:                               ; =>This Inner Loop Header: Depth=1
	v_add_co_u32 v4, s2, s8, v3
	s_delay_alu instid0(VALU_DEP_1) | instskip(SKIP_1) | instid1(VALU_DEP_1)
	v_add_co_ci_u32_e64 v5, null, s9, 0, s2
	v_add_co_u32 v6, s2, s15, v3
	v_add_co_ci_u32_e64 v7, null, s16, 0, s2
	global_load_b64 v[8:9], v[4:5], off
	global_load_b64 v[6:7], v[6:7], off
	v_cmp_le_i64_e32 vcc_lo, s[6:7], v[1:2]
	v_cmp_lt_u64_e64 s2, 0xffff, v[1:2]
	v_add_co_u32 v1, s3, v1, s19
	s_delay_alu instid0(VALU_DEP_1) | instskip(NEXT) | instid1(VALU_DEP_3)
	v_add_co_ci_u32_e64 v2, s3, 0, v2, s3
	s_or_b32 s2, vcc_lo, s2
	s_add_u32 s8, s8, s20
	s_addc_u32 s9, s9, 0
	s_add_u32 s15, s15, s20
	s_addc_u32 s16, s16, 0
	s_and_b32 s2, exec_lo, s2
	s_delay_alu instid0(SALU_CYCLE_1) | instskip(SKIP_3) | instid1(VALU_DEP_2)
	s_or_b32 s18, s2, s18
	s_waitcnt vmcnt(0)
	v_fma_mixlo_f16 v11, v7, s14, v9 op_sel_hi:[1,0,1]
	v_fma_mixlo_f16 v10, v6, s14, v8 op_sel_hi:[1,0,1]
	v_fma_mixhi_f16 v11, v7, s14, v9 op_sel:[1,0,1] op_sel_hi:[1,0,1]
	s_delay_alu instid0(VALU_DEP_2)
	v_fma_mixhi_f16 v10, v6, s14, v8 op_sel:[1,0,1] op_sel_hi:[1,0,1]
	global_store_b64 v[4:5], v[10:11], off
	s_and_not1_b32 exec_lo, exec_lo, s18
	s_cbranch_execnz .LBB11_3
.LBB11_4:
	s_set_inst_prefetch_distance 0x2
	s_or_b32 exec_lo, exec_lo, s17
	s_mov_b32 s2, 0
.LBB11_5:
	s_delay_alu instid0(SALU_CYCLE_1)
	s_and_not1_b32 vcc_lo, exec_lo, s2
	s_cbranch_vccnz .LBB11_25
; %bb.6:
	v_cmp_lt_i64_e64 s2, s[6:7], 1
	s_delay_alu instid0(VALU_DEP_1)
	s_and_b32 vcc_lo, exec_lo, s2
	s_cbranch_vccnz .LBB11_25
; %bb.7:
	s_load_b32 s0, s[0:1], 0xc5c
	v_dual_mov_b32 v10, 0 :: v_dual_lshlrev_b32 v9, 1, v0
	v_cmp_gt_u64_e64 s1, 0x10000, s[6:7]
	s_delay_alu instid0(VALU_DEP_2) | instskip(NEXT) | instid1(VALU_DEP_1)
	v_add_co_u32 v1, s2, s10, v9
	v_add_co_ci_u32_e64 v2, null, s11, 0, s2
	v_add_co_u32 v3, s2, s12, v9
	s_delay_alu instid0(VALU_DEP_1)
	v_add_co_ci_u32_e64 v4, null, s13, 0, s2
	s_waitcnt lgkmcnt(0)
	s_and_b32 s0, s0, 0xffff
	s_and_b32 s1, s1, exec_lo
	v_mad_u64_u32 v[7:8], null, s0, 6, v[9:10]
	s_cselect_b32 s9, s7, 0
	s_cselect_b32 s8, s6, 0x10000
	s_mul_i32 s2, s0, 3
	s_lshl_b32 s15, s0, 2
	s_lshl_b32 s1, s0, 1
	v_add_co_u32 v14, s3, s15, v9
	v_add_co_u32 v9, s2, s2, v0
	s_delay_alu instid0(VALU_DEP_1) | instskip(SKIP_3) | instid1(VALU_DEP_3)
	v_add_co_ci_u32_e64 v10, null, 0, 0, s2
	v_add_co_u32 v13, s2, v0, s0
	v_add_co_u32 v5, vcc_lo, s10, v7
	v_add_co_ci_u32_e32 v6, vcc_lo, s11, v8, vcc_lo
	v_lshlrev_b32_e32 v21, 1, v13
	v_add_co_u32 v7, vcc_lo, s12, v7
	v_add_co_ci_u32_e64 v15, null, 0, 0, s3
	v_add_co_ci_u32_e32 v8, vcc_lo, s13, v8, vcc_lo
	v_add_co_u32 v17, s1, s1, v0
	v_add_co_u32 v11, vcc_lo, s10, v14
	v_add_co_ci_u32_e64 v18, null, 0, 0, s1
	v_add_co_u32 v19, s1, s10, v21
	v_add_co_ci_u32_e32 v12, vcc_lo, s11, v15, vcc_lo
	v_add_co_u32 v14, vcc_lo, s12, v14
	v_add_co_ci_u32_e64 v20, null, s11, 0, s1
	v_add_co_u32 v21, s1, s12, v21
	v_add_co_ci_u32_e32 v15, vcc_lo, s13, v15, vcc_lo
	v_add_co_ci_u32_e64 v16, null, 0, 0, s2
	v_add_co_ci_u32_e64 v22, null, s13, 0, s1
	s_lshl_b32 s12, s0, 3
	s_mov_b64 s[10:11], 0
	s_branch .LBB11_9
.LBB11_8:                               ;   in Loop: Header=BB11_9 Depth=1
	s_or_b32 exec_lo, exec_lo, s0
	v_add_co_u32 v1, vcc_lo, v1, s12
	v_add_co_ci_u32_e32 v2, vcc_lo, 0, v2, vcc_lo
	v_add_co_u32 v3, vcc_lo, v3, s12
	v_add_co_ci_u32_e32 v4, vcc_lo, 0, v4, vcc_lo
	;; [unrolled: 2-line block ×5, first 2 shown]
	s_add_u32 s10, s10, s15
	v_add_co_u32 v14, vcc_lo, v14, s12
	s_addc_u32 s11, s11, 0
	v_add_co_ci_u32_e32 v15, vcc_lo, 0, v15, vcc_lo
	v_cmp_ge_i64_e64 s0, s[10:11], s[6:7]
	v_cmp_lt_u64_e64 s1, 0xffff, s[10:11]
	v_add_co_u32 v19, vcc_lo, v19, s12
	v_add_co_ci_u32_e32 v20, vcc_lo, 0, v20, vcc_lo
	v_add_co_u32 v21, vcc_lo, v21, s12
	v_add_co_ci_u32_e32 v22, vcc_lo, 0, v22, vcc_lo
	s_or_b32 s0, s0, s1
	s_delay_alu instid0(SALU_CYCLE_1)
	s_and_b32 vcc_lo, exec_lo, s0
	s_cbranch_vccnz .LBB11_25
.LBB11_9:                               ; =>This Inner Loop Header: Depth=1
	s_waitcnt vmcnt(1)
	v_add_co_u32 v23, s0, v0, s10
	s_waitcnt vmcnt(0)
	v_add_co_ci_u32_e64 v24, null, 0, s11, s0
	s_delay_alu instid0(VALU_DEP_1)
	v_cmp_gt_u64_e32 vcc_lo, s[8:9], v[23:24]
	v_dual_mov_b32 v23, 0 :: v_dual_mov_b32 v24, 0
	s_and_saveexec_b32 s1, vcc_lo
	s_cbranch_execz .LBB11_11
; %bb.10:                               ;   in Loop: Header=BB11_9 Depth=1
	v_add_co_u32 v23, s0, v1, s4
	s_delay_alu instid0(VALU_DEP_1) | instskip(SKIP_1) | instid1(VALU_DEP_1)
	v_add_co_ci_u32_e64 v24, s0, s5, v2, s0
	v_add_co_u32 v25, s0, v3, s4
	v_add_co_ci_u32_e64 v26, s0, s5, v4, s0
	global_load_u16 v23, v[23:24], off
	global_load_u16 v24, v[25:26], off
.LBB11_11:                              ;   in Loop: Header=BB11_9 Depth=1
	s_or_b32 exec_lo, exec_lo, s1
	v_add_co_u32 v26, s0, v13, s10
	s_delay_alu instid0(VALU_DEP_1) | instskip(SKIP_1) | instid1(VALU_DEP_2)
	v_add_co_ci_u32_e64 v27, s0, s11, v16, s0
	v_mov_b32_e32 v25, 0
	v_cmp_gt_u64_e64 s0, s[8:9], v[26:27]
	v_dual_mov_b32 v26, 0 :: v_dual_mov_b32 v27, 0
	s_delay_alu instid0(VALU_DEP_2)
	s_and_saveexec_b32 s2, s0
	s_cbranch_execz .LBB11_13
; %bb.12:                               ;   in Loop: Header=BB11_9 Depth=1
	v_add_co_u32 v26, s1, v19, s4
	s_delay_alu instid0(VALU_DEP_1) | instskip(SKIP_1) | instid1(VALU_DEP_1)
	v_add_co_ci_u32_e64 v27, s1, s5, v20, s1
	v_add_co_u32 v28, s1, v21, s4
	v_add_co_ci_u32_e64 v29, s1, s5, v22, s1
	global_load_u16 v26, v[26:27], off
	global_load_u16 v27, v[28:29], off
.LBB11_13:                              ;   in Loop: Header=BB11_9 Depth=1
	s_or_b32 exec_lo, exec_lo, s2
	v_add_co_u32 v28, s1, v17, s10
	s_delay_alu instid0(VALU_DEP_1) | instskip(NEXT) | instid1(VALU_DEP_1)
	v_add_co_ci_u32_e64 v29, s1, s11, v18, s1
	v_cmp_gt_u64_e64 s1, s[8:9], v[28:29]
	v_mov_b32_e32 v28, 0
	s_delay_alu instid0(VALU_DEP_2)
	s_and_saveexec_b32 s3, s1
	s_cbranch_execz .LBB11_15
; %bb.14:                               ;   in Loop: Header=BB11_9 Depth=1
	v_add_co_u32 v28, s2, v11, s4
	s_delay_alu instid0(VALU_DEP_1) | instskip(SKIP_1) | instid1(VALU_DEP_1)
	v_add_co_ci_u32_e64 v29, s2, s5, v12, s2
	v_add_co_u32 v30, s2, v14, s4
	v_add_co_ci_u32_e64 v31, s2, s5, v15, s2
	global_load_u16 v25, v[28:29], off
	global_load_u16 v28, v[30:31], off
.LBB11_15:                              ;   in Loop: Header=BB11_9 Depth=1
	s_or_b32 exec_lo, exec_lo, s3
	v_add_co_u32 v29, s2, v9, s10
	s_delay_alu instid0(VALU_DEP_1) | instskip(NEXT) | instid1(VALU_DEP_1)
	v_add_co_ci_u32_e64 v30, s2, s11, v10, s2
	v_cmp_gt_u64_e64 s2, s[8:9], v[29:30]
	v_dual_mov_b32 v29, 0 :: v_dual_mov_b32 v30, 0
	s_delay_alu instid0(VALU_DEP_2)
	s_and_saveexec_b32 s13, s2
	s_cbranch_execnz .LBB11_20
; %bb.16:                               ;   in Loop: Header=BB11_9 Depth=1
	s_or_b32 exec_lo, exec_lo, s13
	s_and_saveexec_b32 s3, vcc_lo
	s_cbranch_execnz .LBB11_21
.LBB11_17:                              ;   in Loop: Header=BB11_9 Depth=1
	s_or_b32 exec_lo, exec_lo, s3
	s_and_saveexec_b32 s3, s0
	s_cbranch_execnz .LBB11_22
.LBB11_18:                              ;   in Loop: Header=BB11_9 Depth=1
	s_or_b32 exec_lo, exec_lo, s3
	s_and_saveexec_b32 s0, s1
	s_cbranch_execnz .LBB11_23
.LBB11_19:                              ;   in Loop: Header=BB11_9 Depth=1
	s_or_b32 exec_lo, exec_lo, s0
	s_and_saveexec_b32 s0, s2
	s_cbranch_execz .LBB11_8
	s_branch .LBB11_24
.LBB11_20:                              ;   in Loop: Header=BB11_9 Depth=1
	v_add_co_u32 v29, s3, v5, s4
	s_delay_alu instid0(VALU_DEP_1) | instskip(SKIP_1) | instid1(VALU_DEP_1)
	v_add_co_ci_u32_e64 v30, s3, s5, v6, s3
	v_add_co_u32 v31, s3, v7, s4
	v_add_co_ci_u32_e64 v32, s3, s5, v8, s3
	global_load_u16 v29, v[29:30], off
	global_load_u16 v30, v[31:32], off
	s_or_b32 exec_lo, exec_lo, s13
	s_and_saveexec_b32 s3, vcc_lo
	s_cbranch_execz .LBB11_17
.LBB11_21:                              ;   in Loop: Header=BB11_9 Depth=1
	v_add_co_u32 v31, vcc_lo, v1, s4
	v_add_co_ci_u32_e32 v32, vcc_lo, s5, v2, vcc_lo
	s_waitcnt vmcnt(0)
	v_fma_mixlo_f16 v23, v24, s14, v23 op_sel_hi:[1,0,1]
	global_store_b16 v[31:32], v23, off
	s_or_b32 exec_lo, exec_lo, s3
	s_and_saveexec_b32 s3, s0
	s_cbranch_execz .LBB11_18
.LBB11_22:                              ;   in Loop: Header=BB11_9 Depth=1
	s_waitcnt vmcnt(1)
	v_add_co_u32 v23, vcc_lo, v19, s4
	s_waitcnt vmcnt(0)
	v_fma_mixlo_f16 v26, v27, s14, v26 op_sel_hi:[1,0,1]
	v_add_co_ci_u32_e32 v24, vcc_lo, s5, v20, vcc_lo
	global_store_b16 v[23:24], v26, off
	s_or_b32 exec_lo, exec_lo, s3
	s_and_saveexec_b32 s0, s1
	s_cbranch_execz .LBB11_19
.LBB11_23:                              ;   in Loop: Header=BB11_9 Depth=1
	s_waitcnt vmcnt(1)
	v_add_co_u32 v23, vcc_lo, v11, s4
	s_waitcnt vmcnt(0)
	v_fma_mixlo_f16 v25, v28, s14, v25 op_sel_hi:[1,0,1]
	v_add_co_ci_u32_e32 v24, vcc_lo, s5, v12, vcc_lo
	global_store_b16 v[23:24], v25, off
	s_or_b32 exec_lo, exec_lo, s0
	s_and_saveexec_b32 s0, s2
	s_cbranch_execz .LBB11_8
.LBB11_24:                              ;   in Loop: Header=BB11_9 Depth=1
	s_waitcnt vmcnt(1)
	v_add_co_u32 v23, vcc_lo, v5, s4
	s_waitcnt vmcnt(0)
	v_fma_mixlo_f16 v25, v30, s14, v29 op_sel_hi:[1,0,1]
	v_add_co_ci_u32_e32 v24, vcc_lo, s5, v6, vcc_lo
	global_store_b16 v[23:24], v25, off
	s_branch .LBB11_8
.LBB11_25:
	s_nop 0
	s_sendmsg sendmsg(MSG_DEALLOC_VGPRS)
	s_endpgm
	.section	.rodata,"a",@progbits
	.p2align	6, 0x0
	.amdhsa_kernel _ZN2at6native12_GLOBAL__N_125multi_tensor_apply_kernelINS1_18TensorListMetadataILi2EEENS1_24BinaryOpListAlphaFunctorIN3c104HalfELi2ELi2ELi0EEEJSt4plusIfEfEEEvT_T0_DpT1_
		.amdhsa_group_segment_fixed_size 0
		.amdhsa_private_segment_fixed_size 0
		.amdhsa_kernarg_size 3408
		.amdhsa_user_sgpr_count 15
		.amdhsa_user_sgpr_dispatch_ptr 0
		.amdhsa_user_sgpr_queue_ptr 0
		.amdhsa_user_sgpr_kernarg_segment_ptr 1
		.amdhsa_user_sgpr_dispatch_id 0
		.amdhsa_user_sgpr_private_segment_size 0
		.amdhsa_wavefront_size32 1
		.amdhsa_uses_dynamic_stack 0
		.amdhsa_enable_private_segment 0
		.amdhsa_system_sgpr_workgroup_id_x 1
		.amdhsa_system_sgpr_workgroup_id_y 0
		.amdhsa_system_sgpr_workgroup_id_z 0
		.amdhsa_system_sgpr_workgroup_info 0
		.amdhsa_system_vgpr_workitem_id 0
		.amdhsa_next_free_vgpr 33
		.amdhsa_next_free_sgpr 24
		.amdhsa_reserve_vcc 1
		.amdhsa_float_round_mode_32 0
		.amdhsa_float_round_mode_16_64 0
		.amdhsa_float_denorm_mode_32 3
		.amdhsa_float_denorm_mode_16_64 3
		.amdhsa_dx10_clamp 1
		.amdhsa_ieee_mode 1
		.amdhsa_fp16_overflow 0
		.amdhsa_workgroup_processor_mode 1
		.amdhsa_memory_ordered 1
		.amdhsa_forward_progress 0
		.amdhsa_shared_vgpr_count 0
		.amdhsa_exception_fp_ieee_invalid_op 0
		.amdhsa_exception_fp_denorm_src 0
		.amdhsa_exception_fp_ieee_div_zero 0
		.amdhsa_exception_fp_ieee_overflow 0
		.amdhsa_exception_fp_ieee_underflow 0
		.amdhsa_exception_fp_ieee_inexact 0
		.amdhsa_exception_int_div_zero 0
	.end_amdhsa_kernel
	.section	.text._ZN2at6native12_GLOBAL__N_125multi_tensor_apply_kernelINS1_18TensorListMetadataILi2EEENS1_24BinaryOpListAlphaFunctorIN3c104HalfELi2ELi2ELi0EEEJSt4plusIfEfEEEvT_T0_DpT1_,"axG",@progbits,_ZN2at6native12_GLOBAL__N_125multi_tensor_apply_kernelINS1_18TensorListMetadataILi2EEENS1_24BinaryOpListAlphaFunctorIN3c104HalfELi2ELi2ELi0EEEJSt4plusIfEfEEEvT_T0_DpT1_,comdat
.Lfunc_end11:
	.size	_ZN2at6native12_GLOBAL__N_125multi_tensor_apply_kernelINS1_18TensorListMetadataILi2EEENS1_24BinaryOpListAlphaFunctorIN3c104HalfELi2ELi2ELi0EEEJSt4plusIfEfEEEvT_T0_DpT1_, .Lfunc_end11-_ZN2at6native12_GLOBAL__N_125multi_tensor_apply_kernelINS1_18TensorListMetadataILi2EEENS1_24BinaryOpListAlphaFunctorIN3c104HalfELi2ELi2ELi0EEEJSt4plusIfEfEEEvT_T0_DpT1_
                                        ; -- End function
	.section	.AMDGPU.csdata,"",@progbits
; Kernel info:
; codeLenInByte = 1576
; NumSgprs: 26
; NumVgprs: 33
; ScratchSize: 0
; MemoryBound: 0
; FloatMode: 240
; IeeeMode: 1
; LDSByteSize: 0 bytes/workgroup (compile time only)
; SGPRBlocks: 3
; VGPRBlocks: 4
; NumSGPRsForWavesPerEU: 26
; NumVGPRsForWavesPerEU: 33
; Occupancy: 16
; WaveLimiterHint : 0
; COMPUTE_PGM_RSRC2:SCRATCH_EN: 0
; COMPUTE_PGM_RSRC2:USER_SGPR: 15
; COMPUTE_PGM_RSRC2:TRAP_HANDLER: 0
; COMPUTE_PGM_RSRC2:TGID_X_EN: 1
; COMPUTE_PGM_RSRC2:TGID_Y_EN: 0
; COMPUTE_PGM_RSRC2:TGID_Z_EN: 0
; COMPUTE_PGM_RSRC2:TIDIG_COMP_CNT: 0
	.section	.text._ZN2at6native12_GLOBAL__N_125multi_tensor_apply_kernelINS1_18TensorListMetadataILi3EEENS1_24BinaryOpListAlphaFunctorIhLi3ELi2ELi2EEEJSt4plusIhEhEEEvT_T0_DpT1_,"axG",@progbits,_ZN2at6native12_GLOBAL__N_125multi_tensor_apply_kernelINS1_18TensorListMetadataILi3EEENS1_24BinaryOpListAlphaFunctorIhLi3ELi2ELi2EEEJSt4plusIhEhEEEvT_T0_DpT1_,comdat
	.globl	_ZN2at6native12_GLOBAL__N_125multi_tensor_apply_kernelINS1_18TensorListMetadataILi3EEENS1_24BinaryOpListAlphaFunctorIhLi3ELi2ELi2EEEJSt4plusIhEhEEEvT_T0_DpT1_ ; -- Begin function _ZN2at6native12_GLOBAL__N_125multi_tensor_apply_kernelINS1_18TensorListMetadataILi3EEENS1_24BinaryOpListAlphaFunctorIhLi3ELi2ELi2EEEJSt4plusIhEhEEEvT_T0_DpT1_
	.p2align	8
	.type	_ZN2at6native12_GLOBAL__N_125multi_tensor_apply_kernelINS1_18TensorListMetadataILi3EEENS1_24BinaryOpListAlphaFunctorIhLi3ELi2ELi2EEEJSt4plusIhEhEEEvT_T0_DpT1_,@function
_ZN2at6native12_GLOBAL__N_125multi_tensor_apply_kernelINS1_18TensorListMetadataILi3EEENS1_24BinaryOpListAlphaFunctorIhLi3ELi2ELi2EEEJSt4plusIhEhEEEvT_T0_DpT1_: ; @_ZN2at6native12_GLOBAL__N_125multi_tensor_apply_kernelINS1_18TensorListMetadataILi3EEENS1_24BinaryOpListAlphaFunctorIhLi3ELi2ELi2EEEJSt4plusIhEhEEEvT_T0_DpT1_
; %bb.0:
	v_mov_b32_e32 v1, s15
	s_add_u32 s2, s0, s15
	s_mul_hi_u32 s3, s15, 3
	s_mul_i32 s15, s15, 3
	s_addc_u32 s4, s1, 0
	global_load_u8 v1, v1, s[0:1] offset:1536
	s_add_u32 s2, s2, s15
	s_addc_u32 s3, s4, s3
	s_load_b32 s2, s[2:3], 0x740
	s_waitcnt vmcnt(0)
	v_readfirstlane_b32 s3, v1
	s_delay_alu instid0(VALU_DEP_1)
	s_lshl_b32 s3, s3, 3
	s_clause 0x3
	s_load_b64 s[8:9], s[0:1], s3 offset:0x0
	s_load_b64 s[10:11], s[0:1], s3 offset:0x180
	;; [unrolled: 1-line block ×4, first 2 shown]
	s_waitcnt lgkmcnt(0)
	s_ashr_i32 s3, s2, 31
	s_delay_alu instid0(SALU_CYCLE_1)
	s_lshl_b64 s[14:15], s[2:3], 16
	s_load_b32 s3, s[0:1], 0xc48
	s_add_u32 s6, s8, s14
	s_addc_u32 s7, s9, s15
	s_add_u32 s16, s10, s14
	s_addc_u32 s17, s11, s15
	;; [unrolled: 2-line block ×3, first 2 shown]
	s_or_b32 s2, s18, s16
	s_delay_alu instid0(SALU_CYCLE_1) | instskip(NEXT) | instid1(SALU_CYCLE_1)
	s_and_b32 s2, s2, 3
	s_cmp_lg_u32 s2, 0
	s_cselect_b32 s2, -1, 0
	s_sub_u32 s4, s20, s14
	s_subb_u32 s5, s21, s15
	s_or_b64 s[20:21], s[20:21], s[6:7]
	s_mov_b32 s21, 0
	s_and_b32 s20, s20, 3
	s_delay_alu instid0(SALU_CYCLE_1) | instskip(SKIP_1) | instid1(SALU_CYCLE_1)
	s_cmp_lg_u64 s[20:21], 0
	s_cselect_b32 s20, -1, 0
	s_or_b32 s2, s2, s20
	s_delay_alu instid0(SALU_CYCLE_1)
	s_and_not1_b32 vcc_lo, exec_lo, s2
	s_mov_b32 s2, -1
	s_cbranch_vccz .LBB12_5
; %bb.1:
	v_dual_mov_b32 v2, 0 :: v_dual_lshlrev_b32 v1, 2, v0
	s_mov_b32 s20, exec_lo
	s_delay_alu instid0(VALU_DEP_1)
	v_cmpx_gt_i64_e64 s[4:5], v[1:2]
	s_cbranch_execz .LBB12_4
; %bb.2:
	s_load_b32 s2, s[0:1], 0xc5c
	s_waitcnt lgkmcnt(0)
	s_lshr_b32 s23, s3, 16
	s_and_b32 s2, s2, 0xffff
	s_delay_alu instid0(SALU_CYCLE_1)
	s_lshl_b32 s22, s2, 2
.LBB12_3:                               ; =>This Inner Loop Header: Depth=1
	v_add_co_u32 v3, vcc_lo, s6, v1
	v_add_co_ci_u32_e32 v4, vcc_lo, s7, v2, vcc_lo
	v_add_co_u32 v5, vcc_lo, s16, v1
	v_add_co_ci_u32_e32 v6, vcc_lo, s17, v2, vcc_lo
	global_load_b32 v7, v[3:4], off
	global_load_b32 v5, v[5:6], off
	v_add_co_u32 v3, vcc_lo, s18, v1
	v_add_co_ci_u32_e32 v4, vcc_lo, s19, v2, vcc_lo
	v_add_co_u32 v1, vcc_lo, s22, v1
	v_add_co_ci_u32_e32 v2, vcc_lo, 0, v2, vcc_lo
	s_delay_alu instid0(VALU_DEP_1) | instskip(SKIP_1) | instid1(VALU_DEP_1)
	v_cmp_le_i64_e32 vcc_lo, s[4:5], v[1:2]
	v_cmp_lt_u64_e64 s2, 0xffff, v[1:2]
	s_or_b32 s2, vcc_lo, s2
	s_delay_alu instid0(SALU_CYCLE_1) | instskip(NEXT) | instid1(SALU_CYCLE_1)
	s_and_b32 s2, exec_lo, s2
	s_or_b32 s21, s2, s21
	s_waitcnt vmcnt(1)
	v_lshrrev_b32_e32 v6, 8, v7
	s_waitcnt vmcnt(0)
	v_lshrrev_b32_e32 v8, 8, v5
	v_lshrrev_b32_e32 v9, 16, v7
	;; [unrolled: 1-line block ×5, first 2 shown]
	v_mad_u16 v6, v8, s23, v6
	v_mad_u16 v5, v5, s23, v7
	;; [unrolled: 1-line block ×3, first 2 shown]
	s_delay_alu instid0(VALU_DEP_4) | instskip(NEXT) | instid1(VALU_DEP_4)
	v_mad_u16 v7, v12, s23, v11
	v_and_b32_e32 v6, 0xff, v6
	s_delay_alu instid0(VALU_DEP_3) | instskip(NEXT) | instid1(VALU_DEP_3)
	v_and_b32_e32 v8, 0xff, v8
	v_lshlrev_b32_e32 v7, 24, v7
	s_delay_alu instid0(VALU_DEP_3) | instskip(NEXT) | instid1(VALU_DEP_3)
	v_perm_b32 v5, v6, v5, 0x6050400
	v_lshlrev_b32_e32 v6, 16, v8
	s_delay_alu instid0(VALU_DEP_1)
	v_or3_b32 v5, v5, v6, v7
	global_store_b32 v[3:4], v5, off
	s_and_not1_b32 exec_lo, exec_lo, s21
	s_cbranch_execnz .LBB12_3
.LBB12_4:
	s_or_b32 exec_lo, exec_lo, s20
	s_mov_b32 s2, 0
.LBB12_5:
	s_delay_alu instid0(SALU_CYCLE_1)
	s_and_not1_b32 vcc_lo, exec_lo, s2
	s_cbranch_vccnz .LBB12_25
; %bb.6:
	v_cmp_lt_i64_e64 s2, s[4:5], 1
	s_delay_alu instid0(VALU_DEP_1)
	s_and_b32 vcc_lo, exec_lo, s2
	s_cbranch_vccnz .LBB12_25
; %bb.7:
	s_load_b32 s0, s[0:1], 0xc5c
	v_add_co_u32 v21, s1, s14, v0
	s_delay_alu instid0(VALU_DEP_1) | instskip(SKIP_1) | instid1(VALU_DEP_3)
	v_add_co_ci_u32_e64 v22, null, s15, 0, s1
	v_cmp_gt_u64_e64 s1, 0x10000, s[4:5]
	v_add_co_u32 v1, vcc_lo, s8, v21
	s_delay_alu instid0(VALU_DEP_3)
	v_add_co_ci_u32_e32 v2, vcc_lo, s9, v22, vcc_lo
	v_add_co_u32 v3, vcc_lo, s10, v21
	v_add_co_ci_u32_e32 v4, vcc_lo, s11, v22, vcc_lo
	v_add_co_u32 v5, vcc_lo, s12, v21
	v_add_co_ci_u32_e32 v6, vcc_lo, s13, v22, vcc_lo
	s_waitcnt lgkmcnt(0)
	s_and_b32 s0, s0, 0xffff
	s_and_b32 s1, s1, exec_lo
	s_mul_i32 s2, s0, 3
	s_cselect_b32 s7, s5, 0
	s_cselect_b32 s6, s4, 0x10000
	s_lshl_b32 s1, s0, 1
	s_lshl_b32 s16, s0, 2
	s_add_u32 s17, s14, s2
	s_addc_u32 s18, s15, 0
	v_add_co_u32 v11, s17, s17, v0
	s_delay_alu instid0(VALU_DEP_1) | instskip(SKIP_1) | instid1(VALU_DEP_2)
	v_add_co_ci_u32_e64 v12, null, s18, 0, s17
	s_add_u32 s14, s14, s1
	v_add_co_u32 v7, vcc_lo, s8, v11
	s_delay_alu instid0(VALU_DEP_2)
	v_add_co_ci_u32_e32 v8, vcc_lo, s9, v12, vcc_lo
	v_add_co_u32 v9, vcc_lo, s10, v11
	s_addc_u32 s15, s15, 0
	v_add_co_u32 v19, s14, s14, v0
	v_add_co_ci_u32_e32 v10, vcc_lo, s11, v12, vcc_lo
	v_add_co_u32 v11, vcc_lo, s12, v11
	v_add_co_ci_u32_e64 v20, null, s15, 0, s14
	v_add_co_ci_u32_e32 v12, vcc_lo, s13, v12, vcc_lo
	v_add_co_u32 v15, vcc_lo, s8, v19
	s_delay_alu instid0(VALU_DEP_3)
	v_add_co_ci_u32_e32 v16, vcc_lo, s9, v20, vcc_lo
	v_add_co_u32 v17, vcc_lo, s10, v19
	v_add_co_ci_u32_e32 v18, vcc_lo, s11, v20, vcc_lo
	v_add_co_u32 v19, vcc_lo, s12, v19
	;; [unrolled: 2-line block ×3, first 2 shown]
	v_add_co_ci_u32_e32 v28, vcc_lo, 0, v22, vcc_lo
	v_add_co_u32 v13, s2, s2, v0
	s_delay_alu instid0(VALU_DEP_3) | instskip(NEXT) | instid1(VALU_DEP_3)
	v_add_co_u32 v23, vcc_lo, s8, v27
	v_add_co_ci_u32_e32 v24, vcc_lo, s9, v28, vcc_lo
	v_add_co_u32 v25, vcc_lo, s10, v27
	v_add_co_ci_u32_e32 v26, vcc_lo, s11, v28, vcc_lo
	v_add_co_u32 v21, s1, s1, v0
	v_add_co_u32 v27, vcc_lo, s12, v27
	v_add_co_u32 v29, s0, v0, s0
	v_add_co_ci_u32_e64 v14, null, 0, 0, s2
	v_add_co_ci_u32_e64 v22, null, 0, 0, s1
	v_add_co_ci_u32_e32 v28, vcc_lo, s13, v28, vcc_lo
	v_add_co_ci_u32_e64 v30, null, 0, 0, s0
	s_mov_b64 s[8:9], 0
	s_lshr_b32 s10, s3, 16
	s_branch .LBB12_9
.LBB12_8:                               ;   in Loop: Header=BB12_9 Depth=1
	s_or_b32 exec_lo, exec_lo, s0
	s_add_u32 s8, s8, s16
	s_addc_u32 s9, s9, 0
	s_delay_alu instid0(SALU_CYCLE_1) | instskip(SKIP_1) | instid1(VALU_DEP_1)
	v_cmp_ge_i64_e64 s0, s[8:9], s[4:5]
	v_cmp_lt_u64_e64 s1, 0xffff, s[8:9]
	s_or_b32 s0, s0, s1
	s_delay_alu instid0(SALU_CYCLE_1)
	s_and_b32 vcc_lo, exec_lo, s0
	s_cbranch_vccnz .LBB12_25
.LBB12_9:                               ; =>This Inner Loop Header: Depth=1
	s_waitcnt vmcnt(0)
	v_add_co_u32 v33, s0, v0, s8
	s_delay_alu instid0(VALU_DEP_1) | instskip(SKIP_1) | instid1(VALU_DEP_2)
	v_add_co_ci_u32_e64 v34, null, 0, s9, s0
	v_dual_mov_b32 v32, 0 :: v_dual_mov_b32 v31, 0
	v_cmp_gt_u64_e32 vcc_lo, s[6:7], v[33:34]
	v_mov_b32_e32 v33, 0
	s_and_saveexec_b32 s1, vcc_lo
	s_cbranch_execz .LBB12_11
; %bb.10:                               ;   in Loop: Header=BB12_9 Depth=1
	v_add_co_u32 v33, s0, v1, s8
	s_delay_alu instid0(VALU_DEP_1) | instskip(SKIP_1) | instid1(VALU_DEP_1)
	v_add_co_ci_u32_e64 v34, s0, s9, v2, s0
	v_add_co_u32 v35, s0, v3, s8
	v_add_co_ci_u32_e64 v36, s0, s9, v4, s0
	global_load_u8 v31, v[33:34], off
	global_load_u8 v33, v[35:36], off
.LBB12_11:                              ;   in Loop: Header=BB12_9 Depth=1
	s_or_b32 exec_lo, exec_lo, s1
	v_add_co_u32 v34, s0, v29, s8
	s_delay_alu instid0(VALU_DEP_1) | instskip(NEXT) | instid1(VALU_DEP_1)
	v_add_co_ci_u32_e64 v35, s0, s9, v30, s0
	v_cmp_gt_u64_e64 s0, s[6:7], v[34:35]
	s_delay_alu instid0(VALU_DEP_1)
	s_and_saveexec_b32 s2, s0
	s_cbranch_execz .LBB12_13
; %bb.12:                               ;   in Loop: Header=BB12_9 Depth=1
	v_add_co_u32 v34, s1, v23, s8
	s_delay_alu instid0(VALU_DEP_1) | instskip(SKIP_2) | instid1(VALU_DEP_1)
	v_add_co_ci_u32_e64 v35, s1, s9, v24, s1
	global_load_u8 v36, v[34:35], off
	v_add_co_u32 v34, s1, v25, s8
	v_add_co_ci_u32_e64 v35, s1, s9, v26, s1
	global_load_u8 v32, v[34:35], off
	s_waitcnt vmcnt(1)
	v_lshl_or_b32 v31, v36, 8, v31
.LBB12_13:                              ;   in Loop: Header=BB12_9 Depth=1
	s_or_b32 exec_lo, exec_lo, s2
	v_add_co_u32 v34, s1, v21, s8
	s_delay_alu instid0(VALU_DEP_1) | instskip(NEXT) | instid1(VALU_DEP_1)
	v_add_co_ci_u32_e64 v35, s1, s9, v22, s1
	v_cmp_gt_u64_e64 s1, s[6:7], v[34:35]
	v_dual_mov_b32 v34, 0 :: v_dual_mov_b32 v35, 0
	s_delay_alu instid0(VALU_DEP_2)
	s_and_saveexec_b32 s3, s1
	s_cbranch_execz .LBB12_15
; %bb.14:                               ;   in Loop: Header=BB12_9 Depth=1
	v_add_co_u32 v35, s2, v15, s8
	s_delay_alu instid0(VALU_DEP_1) | instskip(SKIP_2) | instid1(VALU_DEP_1)
	v_add_co_ci_u32_e64 v36, s2, s9, v16, s2
	global_load_u8 v37, v[35:36], off
	v_add_co_u32 v35, s2, v17, s8
	v_add_co_ci_u32_e64 v36, s2, s9, v18, s2
	global_load_u8 v35, v[35:36], off
	s_waitcnt vmcnt(1)
	v_lshl_or_b32 v31, v37, 16, v31
.LBB12_15:                              ;   in Loop: Header=BB12_9 Depth=1
	s_or_b32 exec_lo, exec_lo, s3
	v_add_co_u32 v36, s2, v13, s8
	s_delay_alu instid0(VALU_DEP_1) | instskip(NEXT) | instid1(VALU_DEP_1)
	v_add_co_ci_u32_e64 v37, s2, s9, v14, s2
	v_cmp_gt_u64_e64 s2, s[6:7], v[36:37]
	s_delay_alu instid0(VALU_DEP_1)
	s_and_saveexec_b32 s11, s2
	s_cbranch_execnz .LBB12_20
; %bb.16:                               ;   in Loop: Header=BB12_9 Depth=1
	s_or_b32 exec_lo, exec_lo, s11
	s_and_saveexec_b32 s3, vcc_lo
	s_cbranch_execnz .LBB12_21
.LBB12_17:                              ;   in Loop: Header=BB12_9 Depth=1
	s_or_b32 exec_lo, exec_lo, s3
	s_and_saveexec_b32 s3, s0
	s_cbranch_execnz .LBB12_22
.LBB12_18:                              ;   in Loop: Header=BB12_9 Depth=1
	s_or_b32 exec_lo, exec_lo, s3
	s_and_saveexec_b32 s0, s1
	s_cbranch_execnz .LBB12_23
.LBB12_19:                              ;   in Loop: Header=BB12_9 Depth=1
	s_or_b32 exec_lo, exec_lo, s0
	s_and_saveexec_b32 s0, s2
	s_cbranch_execz .LBB12_8
	s_branch .LBB12_24
.LBB12_20:                              ;   in Loop: Header=BB12_9 Depth=1
	v_add_co_u32 v36, s3, v7, s8
	s_delay_alu instid0(VALU_DEP_1) | instskip(SKIP_2) | instid1(VALU_DEP_1)
	v_add_co_ci_u32_e64 v37, s3, s9, v8, s3
	global_load_u8 v38, v[36:37], off
	v_add_co_u32 v36, s3, v9, s8
	v_add_co_ci_u32_e64 v37, s3, s9, v10, s3
	global_load_u8 v34, v[36:37], off
	s_waitcnt vmcnt(1)
	v_lshl_or_b32 v31, v38, 24, v31
	s_or_b32 exec_lo, exec_lo, s11
	s_and_saveexec_b32 s3, vcc_lo
	s_cbranch_execz .LBB12_17
.LBB12_21:                              ;   in Loop: Header=BB12_9 Depth=1
	v_add_co_u32 v36, vcc_lo, v5, s8
	v_add_co_ci_u32_e32 v37, vcc_lo, s9, v6, vcc_lo
	s_waitcnt vmcnt(0)
	v_mad_u16 v33, v33, s10, v31
	global_store_b8 v[36:37], v33, off
	s_or_b32 exec_lo, exec_lo, s3
	s_and_saveexec_b32 s3, s0
	s_cbranch_execz .LBB12_18
.LBB12_22:                              ;   in Loop: Header=BB12_9 Depth=1
	s_waitcnt vmcnt(0)
	v_lshrrev_b32_e32 v33, 8, v31
	s_delay_alu instid0(VALU_DEP_1)
	v_mad_u16 v36, v32, s10, v33
	v_add_co_u32 v32, vcc_lo, v27, s8
	v_add_co_ci_u32_e32 v33, vcc_lo, s9, v28, vcc_lo
	global_store_b8 v[32:33], v36, off
	s_or_b32 exec_lo, exec_lo, s3
	s_and_saveexec_b32 s0, s1
	s_cbranch_execz .LBB12_19
.LBB12_23:                              ;   in Loop: Header=BB12_9 Depth=1
	s_waitcnt vmcnt(0)
	v_lshrrev_b32_e32 v32, 16, v31
	s_delay_alu instid0(VALU_DEP_1)
	v_mad_u16 v35, v35, s10, v32
	v_add_co_u32 v32, vcc_lo, v19, s8
	v_add_co_ci_u32_e32 v33, vcc_lo, s9, v20, vcc_lo
	global_store_b8 v[32:33], v35, off
	s_or_b32 exec_lo, exec_lo, s0
	s_and_saveexec_b32 s0, s2
	s_cbranch_execz .LBB12_8
.LBB12_24:                              ;   in Loop: Header=BB12_9 Depth=1
	s_waitcnt vmcnt(1)
	v_lshrrev_b32_e32 v31, 24, v31
	s_waitcnt vmcnt(0)
	s_delay_alu instid0(VALU_DEP_1)
	v_mad_u16 v33, v34, s10, v31
	v_add_co_u32 v31, vcc_lo, v11, s8
	v_add_co_ci_u32_e32 v32, vcc_lo, s9, v12, vcc_lo
	global_store_b8 v[31:32], v33, off
	s_branch .LBB12_8
.LBB12_25:
	s_nop 0
	s_sendmsg sendmsg(MSG_DEALLOC_VGPRS)
	s_endpgm
	.section	.rodata,"a",@progbits
	.p2align	6, 0x0
	.amdhsa_kernel _ZN2at6native12_GLOBAL__N_125multi_tensor_apply_kernelINS1_18TensorListMetadataILi3EEENS1_24BinaryOpListAlphaFunctorIhLi3ELi2ELi2EEEJSt4plusIhEhEEEvT_T0_DpT1_
		.amdhsa_group_segment_fixed_size 0
		.amdhsa_private_segment_fixed_size 0
		.amdhsa_kernarg_size 3408
		.amdhsa_user_sgpr_count 15
		.amdhsa_user_sgpr_dispatch_ptr 0
		.amdhsa_user_sgpr_queue_ptr 0
		.amdhsa_user_sgpr_kernarg_segment_ptr 1
		.amdhsa_user_sgpr_dispatch_id 0
		.amdhsa_user_sgpr_private_segment_size 0
		.amdhsa_wavefront_size32 1
		.amdhsa_uses_dynamic_stack 0
		.amdhsa_enable_private_segment 0
		.amdhsa_system_sgpr_workgroup_id_x 1
		.amdhsa_system_sgpr_workgroup_id_y 0
		.amdhsa_system_sgpr_workgroup_id_z 0
		.amdhsa_system_sgpr_workgroup_info 0
		.amdhsa_system_vgpr_workitem_id 0
		.amdhsa_next_free_vgpr 39
		.amdhsa_next_free_sgpr 24
		.amdhsa_reserve_vcc 1
		.amdhsa_float_round_mode_32 0
		.amdhsa_float_round_mode_16_64 0
		.amdhsa_float_denorm_mode_32 3
		.amdhsa_float_denorm_mode_16_64 3
		.amdhsa_dx10_clamp 1
		.amdhsa_ieee_mode 1
		.amdhsa_fp16_overflow 0
		.amdhsa_workgroup_processor_mode 1
		.amdhsa_memory_ordered 1
		.amdhsa_forward_progress 0
		.amdhsa_shared_vgpr_count 0
		.amdhsa_exception_fp_ieee_invalid_op 0
		.amdhsa_exception_fp_denorm_src 0
		.amdhsa_exception_fp_ieee_div_zero 0
		.amdhsa_exception_fp_ieee_overflow 0
		.amdhsa_exception_fp_ieee_underflow 0
		.amdhsa_exception_fp_ieee_inexact 0
		.amdhsa_exception_int_div_zero 0
	.end_amdhsa_kernel
	.section	.text._ZN2at6native12_GLOBAL__N_125multi_tensor_apply_kernelINS1_18TensorListMetadataILi3EEENS1_24BinaryOpListAlphaFunctorIhLi3ELi2ELi2EEEJSt4plusIhEhEEEvT_T0_DpT1_,"axG",@progbits,_ZN2at6native12_GLOBAL__N_125multi_tensor_apply_kernelINS1_18TensorListMetadataILi3EEENS1_24BinaryOpListAlphaFunctorIhLi3ELi2ELi2EEEJSt4plusIhEhEEEvT_T0_DpT1_,comdat
.Lfunc_end12:
	.size	_ZN2at6native12_GLOBAL__N_125multi_tensor_apply_kernelINS1_18TensorListMetadataILi3EEENS1_24BinaryOpListAlphaFunctorIhLi3ELi2ELi2EEEJSt4plusIhEhEEEvT_T0_DpT1_, .Lfunc_end12-_ZN2at6native12_GLOBAL__N_125multi_tensor_apply_kernelINS1_18TensorListMetadataILi3EEENS1_24BinaryOpListAlphaFunctorIhLi3ELi2ELi2EEEJSt4plusIhEhEEEvT_T0_DpT1_
                                        ; -- End function
	.section	.AMDGPU.csdata,"",@progbits
; Kernel info:
; codeLenInByte = 1676
; NumSgprs: 26
; NumVgprs: 39
; ScratchSize: 0
; MemoryBound: 0
; FloatMode: 240
; IeeeMode: 1
; LDSByteSize: 0 bytes/workgroup (compile time only)
; SGPRBlocks: 3
; VGPRBlocks: 4
; NumSGPRsForWavesPerEU: 26
; NumVGPRsForWavesPerEU: 39
; Occupancy: 16
; WaveLimiterHint : 0
; COMPUTE_PGM_RSRC2:SCRATCH_EN: 0
; COMPUTE_PGM_RSRC2:USER_SGPR: 15
; COMPUTE_PGM_RSRC2:TRAP_HANDLER: 0
; COMPUTE_PGM_RSRC2:TGID_X_EN: 1
; COMPUTE_PGM_RSRC2:TGID_Y_EN: 0
; COMPUTE_PGM_RSRC2:TGID_Z_EN: 0
; COMPUTE_PGM_RSRC2:TIDIG_COMP_CNT: 0
	.section	.text._ZN2at6native12_GLOBAL__N_125multi_tensor_apply_kernelINS1_18TensorListMetadataILi3EEENS1_24BinaryOpListAlphaFunctorIaLi3ELi2ELi2EEEJSt4plusIaEaEEEvT_T0_DpT1_,"axG",@progbits,_ZN2at6native12_GLOBAL__N_125multi_tensor_apply_kernelINS1_18TensorListMetadataILi3EEENS1_24BinaryOpListAlphaFunctorIaLi3ELi2ELi2EEEJSt4plusIaEaEEEvT_T0_DpT1_,comdat
	.globl	_ZN2at6native12_GLOBAL__N_125multi_tensor_apply_kernelINS1_18TensorListMetadataILi3EEENS1_24BinaryOpListAlphaFunctorIaLi3ELi2ELi2EEEJSt4plusIaEaEEEvT_T0_DpT1_ ; -- Begin function _ZN2at6native12_GLOBAL__N_125multi_tensor_apply_kernelINS1_18TensorListMetadataILi3EEENS1_24BinaryOpListAlphaFunctorIaLi3ELi2ELi2EEEJSt4plusIaEaEEEvT_T0_DpT1_
	.p2align	8
	.type	_ZN2at6native12_GLOBAL__N_125multi_tensor_apply_kernelINS1_18TensorListMetadataILi3EEENS1_24BinaryOpListAlphaFunctorIaLi3ELi2ELi2EEEJSt4plusIaEaEEEvT_T0_DpT1_,@function
_ZN2at6native12_GLOBAL__N_125multi_tensor_apply_kernelINS1_18TensorListMetadataILi3EEENS1_24BinaryOpListAlphaFunctorIaLi3ELi2ELi2EEEJSt4plusIaEaEEEvT_T0_DpT1_: ; @_ZN2at6native12_GLOBAL__N_125multi_tensor_apply_kernelINS1_18TensorListMetadataILi3EEENS1_24BinaryOpListAlphaFunctorIaLi3ELi2ELi2EEEJSt4plusIaEaEEEvT_T0_DpT1_
; %bb.0:
	v_mov_b32_e32 v1, s15
	s_add_u32 s2, s0, s15
	s_mul_hi_u32 s3, s15, 3
	s_mul_i32 s15, s15, 3
	s_addc_u32 s4, s1, 0
	global_load_u8 v1, v1, s[0:1] offset:1536
	s_add_u32 s2, s2, s15
	s_addc_u32 s3, s4, s3
	s_load_b32 s2, s[2:3], 0x740
	s_waitcnt vmcnt(0)
	v_readfirstlane_b32 s3, v1
	s_delay_alu instid0(VALU_DEP_1)
	s_lshl_b32 s3, s3, 3
	s_clause 0x3
	s_load_b64 s[8:9], s[0:1], s3 offset:0x0
	s_load_b64 s[10:11], s[0:1], s3 offset:0x180
	;; [unrolled: 1-line block ×4, first 2 shown]
	s_waitcnt lgkmcnt(0)
	s_ashr_i32 s3, s2, 31
	s_delay_alu instid0(SALU_CYCLE_1)
	s_lshl_b64 s[14:15], s[2:3], 16
	s_load_b32 s3, s[0:1], 0xc48
	s_add_u32 s6, s8, s14
	s_addc_u32 s7, s9, s15
	s_add_u32 s16, s10, s14
	s_addc_u32 s17, s11, s15
	;; [unrolled: 2-line block ×3, first 2 shown]
	s_or_b32 s2, s18, s16
	s_delay_alu instid0(SALU_CYCLE_1) | instskip(NEXT) | instid1(SALU_CYCLE_1)
	s_and_b32 s2, s2, 3
	s_cmp_lg_u32 s2, 0
	s_cselect_b32 s2, -1, 0
	s_sub_u32 s4, s20, s14
	s_subb_u32 s5, s21, s15
	s_or_b64 s[20:21], s[20:21], s[6:7]
	s_mov_b32 s21, 0
	s_and_b32 s20, s20, 3
	s_delay_alu instid0(SALU_CYCLE_1) | instskip(SKIP_1) | instid1(SALU_CYCLE_1)
	s_cmp_lg_u64 s[20:21], 0
	s_cselect_b32 s20, -1, 0
	s_or_b32 s2, s2, s20
	s_delay_alu instid0(SALU_CYCLE_1)
	s_and_not1_b32 vcc_lo, exec_lo, s2
	s_mov_b32 s2, -1
	s_cbranch_vccz .LBB13_5
; %bb.1:
	v_dual_mov_b32 v2, 0 :: v_dual_lshlrev_b32 v1, 2, v0
	s_mov_b32 s20, exec_lo
	s_delay_alu instid0(VALU_DEP_1)
	v_cmpx_gt_i64_e64 s[4:5], v[1:2]
	s_cbranch_execz .LBB13_4
; %bb.2:
	s_load_b32 s2, s[0:1], 0xc5c
	s_waitcnt lgkmcnt(0)
	s_lshr_b32 s23, s3, 16
	s_and_b32 s2, s2, 0xffff
	s_delay_alu instid0(SALU_CYCLE_1)
	s_lshl_b32 s22, s2, 2
.LBB13_3:                               ; =>This Inner Loop Header: Depth=1
	v_add_co_u32 v3, vcc_lo, s6, v1
	v_add_co_ci_u32_e32 v4, vcc_lo, s7, v2, vcc_lo
	v_add_co_u32 v5, vcc_lo, s16, v1
	v_add_co_ci_u32_e32 v6, vcc_lo, s17, v2, vcc_lo
	global_load_b32 v7, v[3:4], off
	global_load_b32 v5, v[5:6], off
	v_add_co_u32 v3, vcc_lo, s18, v1
	v_add_co_ci_u32_e32 v4, vcc_lo, s19, v2, vcc_lo
	v_add_co_u32 v1, vcc_lo, s22, v1
	v_add_co_ci_u32_e32 v2, vcc_lo, 0, v2, vcc_lo
	s_delay_alu instid0(VALU_DEP_1) | instskip(SKIP_1) | instid1(VALU_DEP_1)
	v_cmp_le_i64_e32 vcc_lo, s[4:5], v[1:2]
	v_cmp_lt_u64_e64 s2, 0xffff, v[1:2]
	s_or_b32 s2, vcc_lo, s2
	s_delay_alu instid0(SALU_CYCLE_1) | instskip(NEXT) | instid1(SALU_CYCLE_1)
	s_and_b32 s2, exec_lo, s2
	s_or_b32 s21, s2, s21
	s_waitcnt vmcnt(1)
	v_lshrrev_b32_e32 v6, 8, v7
	s_waitcnt vmcnt(0)
	v_lshrrev_b32_e32 v8, 8, v5
	v_lshrrev_b32_e32 v9, 16, v7
	;; [unrolled: 1-line block ×5, first 2 shown]
	v_mad_u16 v6, v8, s23, v6
	v_mad_u16 v5, v5, s23, v7
	;; [unrolled: 1-line block ×3, first 2 shown]
	s_delay_alu instid0(VALU_DEP_4) | instskip(NEXT) | instid1(VALU_DEP_4)
	v_mad_u16 v7, v12, s23, v11
	v_and_b32_e32 v6, 0xff, v6
	s_delay_alu instid0(VALU_DEP_3) | instskip(NEXT) | instid1(VALU_DEP_3)
	v_and_b32_e32 v8, 0xff, v8
	v_lshlrev_b32_e32 v7, 24, v7
	s_delay_alu instid0(VALU_DEP_3) | instskip(NEXT) | instid1(VALU_DEP_3)
	v_perm_b32 v5, v6, v5, 0x6050400
	v_lshlrev_b32_e32 v6, 16, v8
	s_delay_alu instid0(VALU_DEP_1)
	v_or3_b32 v5, v5, v6, v7
	global_store_b32 v[3:4], v5, off
	s_and_not1_b32 exec_lo, exec_lo, s21
	s_cbranch_execnz .LBB13_3
.LBB13_4:
	s_or_b32 exec_lo, exec_lo, s20
	s_mov_b32 s2, 0
.LBB13_5:
	s_delay_alu instid0(SALU_CYCLE_1)
	s_and_not1_b32 vcc_lo, exec_lo, s2
	s_cbranch_vccnz .LBB13_25
; %bb.6:
	v_cmp_lt_i64_e64 s2, s[4:5], 1
	s_delay_alu instid0(VALU_DEP_1)
	s_and_b32 vcc_lo, exec_lo, s2
	s_cbranch_vccnz .LBB13_25
; %bb.7:
	s_load_b32 s0, s[0:1], 0xc5c
	v_add_co_u32 v21, s1, s14, v0
	s_delay_alu instid0(VALU_DEP_1) | instskip(SKIP_1) | instid1(VALU_DEP_3)
	v_add_co_ci_u32_e64 v22, null, s15, 0, s1
	v_cmp_gt_u64_e64 s1, 0x10000, s[4:5]
	v_add_co_u32 v1, vcc_lo, s8, v21
	s_delay_alu instid0(VALU_DEP_3)
	v_add_co_ci_u32_e32 v2, vcc_lo, s9, v22, vcc_lo
	v_add_co_u32 v3, vcc_lo, s10, v21
	v_add_co_ci_u32_e32 v4, vcc_lo, s11, v22, vcc_lo
	v_add_co_u32 v5, vcc_lo, s12, v21
	v_add_co_ci_u32_e32 v6, vcc_lo, s13, v22, vcc_lo
	s_waitcnt lgkmcnt(0)
	s_and_b32 s0, s0, 0xffff
	s_and_b32 s1, s1, exec_lo
	s_mul_i32 s2, s0, 3
	s_cselect_b32 s7, s5, 0
	s_cselect_b32 s6, s4, 0x10000
	s_lshl_b32 s1, s0, 1
	s_lshl_b32 s16, s0, 2
	s_add_u32 s17, s14, s2
	s_addc_u32 s18, s15, 0
	v_add_co_u32 v11, s17, s17, v0
	s_delay_alu instid0(VALU_DEP_1) | instskip(SKIP_1) | instid1(VALU_DEP_2)
	v_add_co_ci_u32_e64 v12, null, s18, 0, s17
	s_add_u32 s14, s14, s1
	v_add_co_u32 v7, vcc_lo, s8, v11
	s_delay_alu instid0(VALU_DEP_2)
	v_add_co_ci_u32_e32 v8, vcc_lo, s9, v12, vcc_lo
	v_add_co_u32 v9, vcc_lo, s10, v11
	s_addc_u32 s15, s15, 0
	v_add_co_u32 v19, s14, s14, v0
	v_add_co_ci_u32_e32 v10, vcc_lo, s11, v12, vcc_lo
	v_add_co_u32 v11, vcc_lo, s12, v11
	v_add_co_ci_u32_e64 v20, null, s15, 0, s14
	v_add_co_ci_u32_e32 v12, vcc_lo, s13, v12, vcc_lo
	v_add_co_u32 v15, vcc_lo, s8, v19
	s_delay_alu instid0(VALU_DEP_3)
	v_add_co_ci_u32_e32 v16, vcc_lo, s9, v20, vcc_lo
	v_add_co_u32 v17, vcc_lo, s10, v19
	v_add_co_ci_u32_e32 v18, vcc_lo, s11, v20, vcc_lo
	v_add_co_u32 v19, vcc_lo, s12, v19
	v_add_co_ci_u32_e32 v20, vcc_lo, s13, v20, vcc_lo
	v_add_co_u32 v27, vcc_lo, v21, s0
	v_add_co_ci_u32_e32 v28, vcc_lo, 0, v22, vcc_lo
	v_add_co_u32 v13, s2, s2, v0
	s_delay_alu instid0(VALU_DEP_3) | instskip(NEXT) | instid1(VALU_DEP_3)
	v_add_co_u32 v23, vcc_lo, s8, v27
	v_add_co_ci_u32_e32 v24, vcc_lo, s9, v28, vcc_lo
	v_add_co_u32 v25, vcc_lo, s10, v27
	v_add_co_ci_u32_e32 v26, vcc_lo, s11, v28, vcc_lo
	v_add_co_u32 v21, s1, s1, v0
	v_add_co_u32 v27, vcc_lo, s12, v27
	v_add_co_u32 v29, s0, v0, s0
	v_add_co_ci_u32_e64 v14, null, 0, 0, s2
	v_add_co_ci_u32_e64 v22, null, 0, 0, s1
	v_add_co_ci_u32_e32 v28, vcc_lo, s13, v28, vcc_lo
	v_add_co_ci_u32_e64 v30, null, 0, 0, s0
	s_mov_b64 s[8:9], 0
	s_lshr_b32 s10, s3, 16
	s_branch .LBB13_9
.LBB13_8:                               ;   in Loop: Header=BB13_9 Depth=1
	s_or_b32 exec_lo, exec_lo, s0
	s_add_u32 s8, s8, s16
	s_addc_u32 s9, s9, 0
	s_delay_alu instid0(SALU_CYCLE_1) | instskip(SKIP_1) | instid1(VALU_DEP_1)
	v_cmp_ge_i64_e64 s0, s[8:9], s[4:5]
	v_cmp_lt_u64_e64 s1, 0xffff, s[8:9]
	s_or_b32 s0, s0, s1
	s_delay_alu instid0(SALU_CYCLE_1)
	s_and_b32 vcc_lo, exec_lo, s0
	s_cbranch_vccnz .LBB13_25
.LBB13_9:                               ; =>This Inner Loop Header: Depth=1
	s_waitcnt vmcnt(0)
	v_add_co_u32 v33, s0, v0, s8
	s_delay_alu instid0(VALU_DEP_1) | instskip(SKIP_1) | instid1(VALU_DEP_2)
	v_add_co_ci_u32_e64 v34, null, 0, s9, s0
	v_dual_mov_b32 v32, 0 :: v_dual_mov_b32 v31, 0
	v_cmp_gt_u64_e32 vcc_lo, s[6:7], v[33:34]
	v_mov_b32_e32 v33, 0
	s_and_saveexec_b32 s1, vcc_lo
	s_cbranch_execz .LBB13_11
; %bb.10:                               ;   in Loop: Header=BB13_9 Depth=1
	v_add_co_u32 v33, s0, v1, s8
	s_delay_alu instid0(VALU_DEP_1) | instskip(SKIP_1) | instid1(VALU_DEP_1)
	v_add_co_ci_u32_e64 v34, s0, s9, v2, s0
	v_add_co_u32 v35, s0, v3, s8
	v_add_co_ci_u32_e64 v36, s0, s9, v4, s0
	global_load_u8 v31, v[33:34], off
	global_load_u8 v33, v[35:36], off
.LBB13_11:                              ;   in Loop: Header=BB13_9 Depth=1
	s_or_b32 exec_lo, exec_lo, s1
	v_add_co_u32 v34, s0, v29, s8
	s_delay_alu instid0(VALU_DEP_1) | instskip(NEXT) | instid1(VALU_DEP_1)
	v_add_co_ci_u32_e64 v35, s0, s9, v30, s0
	v_cmp_gt_u64_e64 s0, s[6:7], v[34:35]
	s_delay_alu instid0(VALU_DEP_1)
	s_and_saveexec_b32 s2, s0
	s_cbranch_execz .LBB13_13
; %bb.12:                               ;   in Loop: Header=BB13_9 Depth=1
	v_add_co_u32 v34, s1, v23, s8
	s_delay_alu instid0(VALU_DEP_1) | instskip(SKIP_2) | instid1(VALU_DEP_1)
	v_add_co_ci_u32_e64 v35, s1, s9, v24, s1
	global_load_u8 v36, v[34:35], off
	v_add_co_u32 v34, s1, v25, s8
	v_add_co_ci_u32_e64 v35, s1, s9, v26, s1
	global_load_u8 v32, v[34:35], off
	s_waitcnt vmcnt(1)
	v_lshl_or_b32 v31, v36, 8, v31
.LBB13_13:                              ;   in Loop: Header=BB13_9 Depth=1
	s_or_b32 exec_lo, exec_lo, s2
	v_add_co_u32 v34, s1, v21, s8
	s_delay_alu instid0(VALU_DEP_1) | instskip(NEXT) | instid1(VALU_DEP_1)
	v_add_co_ci_u32_e64 v35, s1, s9, v22, s1
	v_cmp_gt_u64_e64 s1, s[6:7], v[34:35]
	v_dual_mov_b32 v34, 0 :: v_dual_mov_b32 v35, 0
	s_delay_alu instid0(VALU_DEP_2)
	s_and_saveexec_b32 s3, s1
	s_cbranch_execz .LBB13_15
; %bb.14:                               ;   in Loop: Header=BB13_9 Depth=1
	v_add_co_u32 v35, s2, v15, s8
	s_delay_alu instid0(VALU_DEP_1) | instskip(SKIP_2) | instid1(VALU_DEP_1)
	v_add_co_ci_u32_e64 v36, s2, s9, v16, s2
	global_load_u8 v37, v[35:36], off
	v_add_co_u32 v35, s2, v17, s8
	v_add_co_ci_u32_e64 v36, s2, s9, v18, s2
	global_load_u8 v35, v[35:36], off
	s_waitcnt vmcnt(1)
	v_lshl_or_b32 v31, v37, 16, v31
.LBB13_15:                              ;   in Loop: Header=BB13_9 Depth=1
	s_or_b32 exec_lo, exec_lo, s3
	v_add_co_u32 v36, s2, v13, s8
	s_delay_alu instid0(VALU_DEP_1) | instskip(NEXT) | instid1(VALU_DEP_1)
	v_add_co_ci_u32_e64 v37, s2, s9, v14, s2
	v_cmp_gt_u64_e64 s2, s[6:7], v[36:37]
	s_delay_alu instid0(VALU_DEP_1)
	s_and_saveexec_b32 s11, s2
	s_cbranch_execnz .LBB13_20
; %bb.16:                               ;   in Loop: Header=BB13_9 Depth=1
	s_or_b32 exec_lo, exec_lo, s11
	s_and_saveexec_b32 s3, vcc_lo
	s_cbranch_execnz .LBB13_21
.LBB13_17:                              ;   in Loop: Header=BB13_9 Depth=1
	s_or_b32 exec_lo, exec_lo, s3
	s_and_saveexec_b32 s3, s0
	s_cbranch_execnz .LBB13_22
.LBB13_18:                              ;   in Loop: Header=BB13_9 Depth=1
	s_or_b32 exec_lo, exec_lo, s3
	s_and_saveexec_b32 s0, s1
	s_cbranch_execnz .LBB13_23
.LBB13_19:                              ;   in Loop: Header=BB13_9 Depth=1
	s_or_b32 exec_lo, exec_lo, s0
	s_and_saveexec_b32 s0, s2
	s_cbranch_execz .LBB13_8
	s_branch .LBB13_24
.LBB13_20:                              ;   in Loop: Header=BB13_9 Depth=1
	v_add_co_u32 v36, s3, v7, s8
	s_delay_alu instid0(VALU_DEP_1) | instskip(SKIP_2) | instid1(VALU_DEP_1)
	v_add_co_ci_u32_e64 v37, s3, s9, v8, s3
	global_load_u8 v38, v[36:37], off
	v_add_co_u32 v36, s3, v9, s8
	v_add_co_ci_u32_e64 v37, s3, s9, v10, s3
	global_load_u8 v34, v[36:37], off
	s_waitcnt vmcnt(1)
	v_lshl_or_b32 v31, v38, 24, v31
	s_or_b32 exec_lo, exec_lo, s11
	s_and_saveexec_b32 s3, vcc_lo
	s_cbranch_execz .LBB13_17
.LBB13_21:                              ;   in Loop: Header=BB13_9 Depth=1
	v_add_co_u32 v36, vcc_lo, v5, s8
	v_add_co_ci_u32_e32 v37, vcc_lo, s9, v6, vcc_lo
	s_waitcnt vmcnt(0)
	v_mad_u16 v33, v33, s10, v31
	global_store_b8 v[36:37], v33, off
	s_or_b32 exec_lo, exec_lo, s3
	s_and_saveexec_b32 s3, s0
	s_cbranch_execz .LBB13_18
.LBB13_22:                              ;   in Loop: Header=BB13_9 Depth=1
	s_waitcnt vmcnt(0)
	v_lshrrev_b32_e32 v33, 8, v31
	s_delay_alu instid0(VALU_DEP_1)
	v_mad_u16 v36, v32, s10, v33
	v_add_co_u32 v32, vcc_lo, v27, s8
	v_add_co_ci_u32_e32 v33, vcc_lo, s9, v28, vcc_lo
	global_store_b8 v[32:33], v36, off
	s_or_b32 exec_lo, exec_lo, s3
	s_and_saveexec_b32 s0, s1
	s_cbranch_execz .LBB13_19
.LBB13_23:                              ;   in Loop: Header=BB13_9 Depth=1
	s_waitcnt vmcnt(0)
	v_lshrrev_b32_e32 v32, 16, v31
	s_delay_alu instid0(VALU_DEP_1)
	v_mad_u16 v35, v35, s10, v32
	v_add_co_u32 v32, vcc_lo, v19, s8
	v_add_co_ci_u32_e32 v33, vcc_lo, s9, v20, vcc_lo
	global_store_b8 v[32:33], v35, off
	s_or_b32 exec_lo, exec_lo, s0
	s_and_saveexec_b32 s0, s2
	s_cbranch_execz .LBB13_8
.LBB13_24:                              ;   in Loop: Header=BB13_9 Depth=1
	s_waitcnt vmcnt(1)
	v_lshrrev_b32_e32 v31, 24, v31
	s_waitcnt vmcnt(0)
	s_delay_alu instid0(VALU_DEP_1)
	v_mad_u16 v33, v34, s10, v31
	v_add_co_u32 v31, vcc_lo, v11, s8
	v_add_co_ci_u32_e32 v32, vcc_lo, s9, v12, vcc_lo
	global_store_b8 v[31:32], v33, off
	s_branch .LBB13_8
.LBB13_25:
	s_nop 0
	s_sendmsg sendmsg(MSG_DEALLOC_VGPRS)
	s_endpgm
	.section	.rodata,"a",@progbits
	.p2align	6, 0x0
	.amdhsa_kernel _ZN2at6native12_GLOBAL__N_125multi_tensor_apply_kernelINS1_18TensorListMetadataILi3EEENS1_24BinaryOpListAlphaFunctorIaLi3ELi2ELi2EEEJSt4plusIaEaEEEvT_T0_DpT1_
		.amdhsa_group_segment_fixed_size 0
		.amdhsa_private_segment_fixed_size 0
		.amdhsa_kernarg_size 3408
		.amdhsa_user_sgpr_count 15
		.amdhsa_user_sgpr_dispatch_ptr 0
		.amdhsa_user_sgpr_queue_ptr 0
		.amdhsa_user_sgpr_kernarg_segment_ptr 1
		.amdhsa_user_sgpr_dispatch_id 0
		.amdhsa_user_sgpr_private_segment_size 0
		.amdhsa_wavefront_size32 1
		.amdhsa_uses_dynamic_stack 0
		.amdhsa_enable_private_segment 0
		.amdhsa_system_sgpr_workgroup_id_x 1
		.amdhsa_system_sgpr_workgroup_id_y 0
		.amdhsa_system_sgpr_workgroup_id_z 0
		.amdhsa_system_sgpr_workgroup_info 0
		.amdhsa_system_vgpr_workitem_id 0
		.amdhsa_next_free_vgpr 39
		.amdhsa_next_free_sgpr 24
		.amdhsa_reserve_vcc 1
		.amdhsa_float_round_mode_32 0
		.amdhsa_float_round_mode_16_64 0
		.amdhsa_float_denorm_mode_32 3
		.amdhsa_float_denorm_mode_16_64 3
		.amdhsa_dx10_clamp 1
		.amdhsa_ieee_mode 1
		.amdhsa_fp16_overflow 0
		.amdhsa_workgroup_processor_mode 1
		.amdhsa_memory_ordered 1
		.amdhsa_forward_progress 0
		.amdhsa_shared_vgpr_count 0
		.amdhsa_exception_fp_ieee_invalid_op 0
		.amdhsa_exception_fp_denorm_src 0
		.amdhsa_exception_fp_ieee_div_zero 0
		.amdhsa_exception_fp_ieee_overflow 0
		.amdhsa_exception_fp_ieee_underflow 0
		.amdhsa_exception_fp_ieee_inexact 0
		.amdhsa_exception_int_div_zero 0
	.end_amdhsa_kernel
	.section	.text._ZN2at6native12_GLOBAL__N_125multi_tensor_apply_kernelINS1_18TensorListMetadataILi3EEENS1_24BinaryOpListAlphaFunctorIaLi3ELi2ELi2EEEJSt4plusIaEaEEEvT_T0_DpT1_,"axG",@progbits,_ZN2at6native12_GLOBAL__N_125multi_tensor_apply_kernelINS1_18TensorListMetadataILi3EEENS1_24BinaryOpListAlphaFunctorIaLi3ELi2ELi2EEEJSt4plusIaEaEEEvT_T0_DpT1_,comdat
.Lfunc_end13:
	.size	_ZN2at6native12_GLOBAL__N_125multi_tensor_apply_kernelINS1_18TensorListMetadataILi3EEENS1_24BinaryOpListAlphaFunctorIaLi3ELi2ELi2EEEJSt4plusIaEaEEEvT_T0_DpT1_, .Lfunc_end13-_ZN2at6native12_GLOBAL__N_125multi_tensor_apply_kernelINS1_18TensorListMetadataILi3EEENS1_24BinaryOpListAlphaFunctorIaLi3ELi2ELi2EEEJSt4plusIaEaEEEvT_T0_DpT1_
                                        ; -- End function
	.section	.AMDGPU.csdata,"",@progbits
; Kernel info:
; codeLenInByte = 1676
; NumSgprs: 26
; NumVgprs: 39
; ScratchSize: 0
; MemoryBound: 0
; FloatMode: 240
; IeeeMode: 1
; LDSByteSize: 0 bytes/workgroup (compile time only)
; SGPRBlocks: 3
; VGPRBlocks: 4
; NumSGPRsForWavesPerEU: 26
; NumVGPRsForWavesPerEU: 39
; Occupancy: 16
; WaveLimiterHint : 0
; COMPUTE_PGM_RSRC2:SCRATCH_EN: 0
; COMPUTE_PGM_RSRC2:USER_SGPR: 15
; COMPUTE_PGM_RSRC2:TRAP_HANDLER: 0
; COMPUTE_PGM_RSRC2:TGID_X_EN: 1
; COMPUTE_PGM_RSRC2:TGID_Y_EN: 0
; COMPUTE_PGM_RSRC2:TGID_Z_EN: 0
; COMPUTE_PGM_RSRC2:TIDIG_COMP_CNT: 0
	.section	.text._ZN2at6native12_GLOBAL__N_125multi_tensor_apply_kernelINS1_18TensorListMetadataILi3EEENS1_24BinaryOpListAlphaFunctorIiLi3ELi2ELi2EEEJSt4plusIiEiEEEvT_T0_DpT1_,"axG",@progbits,_ZN2at6native12_GLOBAL__N_125multi_tensor_apply_kernelINS1_18TensorListMetadataILi3EEENS1_24BinaryOpListAlphaFunctorIiLi3ELi2ELi2EEEJSt4plusIiEiEEEvT_T0_DpT1_,comdat
	.globl	_ZN2at6native12_GLOBAL__N_125multi_tensor_apply_kernelINS1_18TensorListMetadataILi3EEENS1_24BinaryOpListAlphaFunctorIiLi3ELi2ELi2EEEJSt4plusIiEiEEEvT_T0_DpT1_ ; -- Begin function _ZN2at6native12_GLOBAL__N_125multi_tensor_apply_kernelINS1_18TensorListMetadataILi3EEENS1_24BinaryOpListAlphaFunctorIiLi3ELi2ELi2EEEJSt4plusIiEiEEEvT_T0_DpT1_
	.p2align	8
	.type	_ZN2at6native12_GLOBAL__N_125multi_tensor_apply_kernelINS1_18TensorListMetadataILi3EEENS1_24BinaryOpListAlphaFunctorIiLi3ELi2ELi2EEEJSt4plusIiEiEEEvT_T0_DpT1_,@function
_ZN2at6native12_GLOBAL__N_125multi_tensor_apply_kernelINS1_18TensorListMetadataILi3EEENS1_24BinaryOpListAlphaFunctorIiLi3ELi2ELi2EEEJSt4plusIiEiEEEvT_T0_DpT1_: ; @_ZN2at6native12_GLOBAL__N_125multi_tensor_apply_kernelINS1_18TensorListMetadataILi3EEENS1_24BinaryOpListAlphaFunctorIiLi3ELi2ELi2EEEJSt4plusIiEiEEEvT_T0_DpT1_
; %bb.0:
	v_mov_b32_e32 v1, s15
	s_add_u32 s2, s0, s15
	s_mul_hi_u32 s3, s15, 3
	s_mul_i32 s15, s15, 3
	s_addc_u32 s4, s1, 0
	global_load_u8 v1, v1, s[0:1] offset:1536
	s_load_b32 s16, s[0:1], 0xc4c
	s_add_u32 s2, s2, s15
	s_addc_u32 s3, s4, s3
	s_mov_b32 s25, 0
	s_load_b32 s2, s[2:3], 0x740
	s_mov_b32 s27, s25
	s_waitcnt vmcnt(0)
	v_readfirstlane_b32 s3, v1
	s_delay_alu instid0(VALU_DEP_1)
	s_lshl_b32 s3, s3, 3
	s_clause 0x3
	s_load_b64 s[10:11], s[0:1], s3 offset:0x0
	s_load_b64 s[12:13], s[0:1], s3 offset:0x180
	;; [unrolled: 1-line block ×4, first 2 shown]
	s_waitcnt lgkmcnt(0)
	s_ashr_i32 s3, s2, 31
	s_delay_alu instid0(SALU_CYCLE_1) | instskip(NEXT) | instid1(SALU_CYCLE_1)
	s_lshl_b64 s[4:5], s[2:3], 18
	s_add_u32 s8, s10, s4
	s_addc_u32 s9, s11, s5
	s_and_b32 s24, s8, 15
	s_add_u32 s17, s12, s4
	s_addc_u32 s18, s13, s5
	s_add_u32 s19, s14, s4
	s_addc_u32 s20, s15, s5
	s_or_b32 s6, s19, s17
	s_delay_alu instid0(SALU_CYCLE_1) | instskip(NEXT) | instid1(SALU_CYCLE_1)
	s_and_b32 s6, s6, 15
	s_cmp_lg_u32 s6, 0
	s_cselect_b32 s21, -1, 0
	s_lshl_b64 s[2:3], s[2:3], 16
	s_delay_alu instid0(SALU_CYCLE_1) | instskip(SKIP_2) | instid1(SALU_CYCLE_1)
	s_sub_u32 s6, s22, s2
	s_subb_u32 s7, s23, s3
	s_and_b32 s26, s22, 3
	s_or_b64 s[2:3], s[24:25], s[26:27]
	s_delay_alu instid0(SALU_CYCLE_1) | instskip(SKIP_1) | instid1(SALU_CYCLE_1)
	s_cmp_lg_u64 s[2:3], 0
	s_cselect_b32 s2, -1, 0
	s_or_b32 s2, s21, s2
	s_delay_alu instid0(SALU_CYCLE_1)
	s_and_not1_b32 vcc_lo, exec_lo, s2
	s_mov_b32 s2, -1
	s_cbranch_vccz .LBB14_5
; %bb.1:
	v_dual_mov_b32 v2, 0 :: v_dual_lshlrev_b32 v1, 2, v0
	s_mov_b32 s21, exec_lo
	s_delay_alu instid0(VALU_DEP_1)
	v_cmpx_gt_i64_e64 s[6:7], v[1:2]
	s_cbranch_execz .LBB14_4
; %bb.2:
	s_load_b32 s2, s[0:1], 0xc5c
	v_lshlrev_b32_e32 v3, 4, v0
	s_mov_b32 s22, 0
	s_waitcnt lgkmcnt(0)
	s_and_b32 s2, s2, 0xffff
	s_delay_alu instid0(SALU_CYCLE_1)
	v_add_lshl_u32 v1, v0, s2, 2
	s_lshl_b32 s23, s2, 2
	s_lshl_b32 s24, s2, 4
	s_set_inst_prefetch_distance 0x1
	.p2align	6
.LBB14_3:                               ; =>This Inner Loop Header: Depth=1
	v_add_co_u32 v4, s2, s8, v3
	s_delay_alu instid0(VALU_DEP_1) | instskip(SKIP_1) | instid1(VALU_DEP_1)
	v_add_co_ci_u32_e64 v5, null, s9, 0, s2
	v_add_co_u32 v8, s2, s17, v3
	v_add_co_ci_u32_e64 v9, null, s18, 0, s2
	global_load_b128 v[4:7], v[4:5], off
	global_load_b128 v[8:11], v[8:9], off
	v_cmp_le_i64_e32 vcc_lo, s[6:7], v[1:2]
	v_cmp_lt_u64_e64 s2, 0xffff, v[1:2]
	v_add_co_u32 v15, s3, s19, v3
	s_delay_alu instid0(VALU_DEP_1) | instskip(SKIP_1) | instid1(VALU_DEP_4)
	v_add_co_ci_u32_e64 v16, null, s20, 0, s3
	v_add_co_u32 v1, s3, v1, s23
	s_or_b32 s2, vcc_lo, s2
	s_add_u32 s8, s8, s24
	s_addc_u32 s9, s9, 0
	s_add_u32 s19, s19, s24
	s_addc_u32 s20, s20, 0
	s_add_u32 s17, s17, s24
	v_add_co_ci_u32_e64 v2, s3, 0, v2, s3
	s_addc_u32 s18, s18, 0
	s_and_b32 s2, exec_lo, s2
	s_delay_alu instid0(SALU_CYCLE_1) | instskip(SKIP_3) | instid1(VALU_DEP_1)
	s_or_b32 s22, s2, s22
	s_waitcnt vmcnt(1)
	v_mov_b32_e32 v12, v7
	s_waitcnt vmcnt(0)
	v_mad_u64_u32 v[17:18], null, v11, s16, v[12:13]
	v_mad_u64_u32 v[11:12], null, v8, s16, v[4:5]
	;; [unrolled: 1-line block ×4, first 2 shown]
	s_delay_alu instid0(VALU_DEP_4)
	v_mov_b32_e32 v14, v17
	global_store_b128 v[15:16], v[11:14], off
	s_and_not1_b32 exec_lo, exec_lo, s22
	s_cbranch_execnz .LBB14_3
.LBB14_4:
	s_set_inst_prefetch_distance 0x2
	s_or_b32 exec_lo, exec_lo, s21
	s_mov_b32 s2, 0
.LBB14_5:
	s_delay_alu instid0(SALU_CYCLE_1)
	s_and_not1_b32 vcc_lo, exec_lo, s2
	s_cbranch_vccnz .LBB14_25
; %bb.6:
	v_cmp_lt_i64_e64 s2, s[6:7], 1
	s_delay_alu instid0(VALU_DEP_1)
	s_and_b32 vcc_lo, exec_lo, s2
	s_cbranch_vccnz .LBB14_25
; %bb.7:
	s_load_b32 s0, s[0:1], 0xc5c
	v_dual_mov_b32 v2, 0 :: v_dual_lshlrev_b32 v1, 2, v0
	v_cmp_gt_u64_e64 s1, 0x10000, s[6:7]
	s_delay_alu instid0(VALU_DEP_2) | instskip(NEXT) | instid1(VALU_DEP_1)
	v_add_co_u32 v5, s2, s10, v1
	v_add_co_ci_u32_e64 v6, null, s11, 0, s2
	v_add_co_u32 v7, s2, s12, v1
	s_delay_alu instid0(VALU_DEP_1) | instskip(SKIP_1) | instid1(VALU_DEP_1)
	v_add_co_ci_u32_e64 v8, null, s13, 0, s2
	v_add_co_u32 v9, s2, s14, v1
	v_add_co_ci_u32_e64 v10, null, s15, 0, s2
	s_waitcnt lgkmcnt(0)
	s_and_b32 s0, s0, 0xffff
	s_and_b32 s1, s1, exec_lo
	v_mad_u64_u32 v[3:4], null, s0, 12, v[1:2]
	s_cselect_b32 s9, s7, 0
	s_cselect_b32 s8, s6, 0x10000
	s_lshl_b32 s3, s0, 3
	s_mul_i32 s2, s0, 3
	v_add_co_u32 v1, s3, s3, v1
	s_delay_alu instid0(VALU_DEP_2) | instskip(NEXT) | instid1(VALU_DEP_3)
	v_add_co_u32 v11, vcc_lo, s10, v3
	v_add_co_ci_u32_e32 v12, vcc_lo, s11, v4, vcc_lo
	v_add_co_u32 v13, vcc_lo, s12, v3
	v_add_co_ci_u32_e32 v14, vcc_lo, s13, v4, vcc_lo
	v_add_co_u32 v15, vcc_lo, s14, v3
	v_add_co_ci_u32_e64 v2, null, 0, 0, s3
	v_add_co_ci_u32_e32 v16, vcc_lo, s15, v4, vcc_lo
	v_add_co_u32 v17, s2, s2, v0
	v_add_co_u32 v19, vcc_lo, s10, v1
	v_add_co_ci_u32_e64 v18, null, 0, 0, s2
	v_add_co_u32 v23, s2, v0, s0
	v_add_co_ci_u32_e32 v20, vcc_lo, s11, v2, vcc_lo
	v_add_co_u32 v21, vcc_lo, s12, v1
	v_add_co_ci_u32_e32 v22, vcc_lo, s13, v2, vcc_lo
	v_add_co_u32 v24, vcc_lo, s14, v1
	v_lshlrev_b32_e32 v1, 2, v23
	s_lshl_b32 s1, s0, 1
	v_add_co_ci_u32_e32 v25, vcc_lo, s15, v2, vcc_lo
	v_add_co_u32 v27, s1, s1, v0
	s_delay_alu instid0(VALU_DEP_1) | instskip(SKIP_1) | instid1(VALU_DEP_1)
	v_add_co_ci_u32_e64 v28, null, 0, 0, s1
	v_add_co_u32 v29, s1, s10, v1
	v_add_co_ci_u32_e64 v30, null, s11, 0, s1
	v_add_co_u32 v31, s1, s12, v1
	s_delay_alu instid0(VALU_DEP_1)
	v_add_co_ci_u32_e64 v32, null, s13, 0, s1
	v_add_co_u32 v33, s1, s14, v1
	v_add_co_ci_u32_e64 v26, null, 0, 0, s2
	v_add_co_ci_u32_e64 v34, null, s15, 0, s1
	s_lshl_b32 s12, s0, 2
	s_lshl_b32 s13, s0, 4
	s_mov_b64 s[10:11], 0
	s_branch .LBB14_9
.LBB14_8:                               ;   in Loop: Header=BB14_9 Depth=1
	s_or_b32 exec_lo, exec_lo, s0
	v_add_co_u32 v5, vcc_lo, v5, s13
	v_add_co_ci_u32_e32 v6, vcc_lo, 0, v6, vcc_lo
	v_add_co_u32 v7, vcc_lo, v7, s13
	v_add_co_ci_u32_e32 v8, vcc_lo, 0, v8, vcc_lo
	;; [unrolled: 2-line block ×9, first 2 shown]
	s_add_u32 s10, s10, s12
	v_add_co_u32 v29, vcc_lo, v29, s13
	s_addc_u32 s11, s11, 0
	v_add_co_ci_u32_e32 v30, vcc_lo, 0, v30, vcc_lo
	v_cmp_ge_i64_e64 s0, s[10:11], s[6:7]
	v_cmp_lt_u64_e64 s1, 0xffff, s[10:11]
	v_add_co_u32 v31, vcc_lo, v31, s13
	v_add_co_ci_u32_e32 v32, vcc_lo, 0, v32, vcc_lo
	v_add_co_u32 v33, vcc_lo, v33, s13
	v_add_co_ci_u32_e32 v34, vcc_lo, 0, v34, vcc_lo
	s_or_b32 s0, s0, s1
	s_delay_alu instid0(SALU_CYCLE_1)
	s_and_b32 vcc_lo, exec_lo, s0
	s_cbranch_vccnz .LBB14_25
.LBB14_9:                               ; =>This Inner Loop Header: Depth=1
	s_waitcnt vmcnt(1)
	v_add_co_u32 v1, s0, v0, s10
	s_delay_alu instid0(VALU_DEP_1) | instskip(SKIP_2) | instid1(VALU_DEP_2)
	v_add_co_ci_u32_e64 v2, null, 0, s11, s0
	s_waitcnt vmcnt(0)
	v_mov_b32_e32 v35, 0
	v_cmp_gt_u64_e32 vcc_lo, s[8:9], v[1:2]
	v_mov_b32_e32 v1, 0
	s_and_saveexec_b32 s1, vcc_lo
	s_cbranch_execz .LBB14_11
; %bb.10:                               ;   in Loop: Header=BB14_9 Depth=1
	v_add_co_u32 v1, s0, v5, s4
	s_delay_alu instid0(VALU_DEP_1) | instskip(SKIP_1) | instid1(VALU_DEP_1)
	v_add_co_ci_u32_e64 v2, s0, s5, v6, s0
	v_add_co_u32 v3, s0, v7, s4
	v_add_co_ci_u32_e64 v4, s0, s5, v8, s0
	global_load_b32 v1, v[1:2], off
	global_load_b32 v35, v[3:4], off
.LBB14_11:                              ;   in Loop: Header=BB14_9 Depth=1
	s_or_b32 exec_lo, exec_lo, s1
	v_add_co_u32 v3, s0, v23, s10
	s_delay_alu instid0(VALU_DEP_1) | instskip(SKIP_2) | instid1(VALU_DEP_3)
	v_add_co_ci_u32_e64 v4, s0, s11, v26, s0
	v_mov_b32_e32 v2, 0
	v_mov_b32_e32 v36, 0
	v_cmp_gt_u64_e64 s0, s[8:9], v[3:4]
	v_mov_b32_e32 v3, 0
	s_delay_alu instid0(VALU_DEP_2)
	s_and_saveexec_b32 s2, s0
	s_cbranch_execz .LBB14_13
; %bb.12:                               ;   in Loop: Header=BB14_9 Depth=1
	v_add_co_u32 v3, s1, v29, s4
	s_delay_alu instid0(VALU_DEP_1) | instskip(SKIP_1) | instid1(VALU_DEP_1)
	v_add_co_ci_u32_e64 v4, s1, s5, v30, s1
	v_add_co_u32 v36, s1, v31, s4
	v_add_co_ci_u32_e64 v37, s1, s5, v32, s1
	global_load_b32 v3, v[3:4], off
	global_load_b32 v36, v[36:37], off
.LBB14_13:                              ;   in Loop: Header=BB14_9 Depth=1
	s_or_b32 exec_lo, exec_lo, s2
	v_add_co_u32 v37, s1, v27, s10
	s_delay_alu instid0(VALU_DEP_1) | instskip(NEXT) | instid1(VALU_DEP_1)
	v_add_co_ci_u32_e64 v38, s1, s11, v28, s1
	v_cmp_gt_u64_e64 s1, s[8:9], v[37:38]
	v_mov_b32_e32 v37, 0
	s_delay_alu instid0(VALU_DEP_2)
	s_and_saveexec_b32 s3, s1
	s_cbranch_execz .LBB14_15
; %bb.14:                               ;   in Loop: Header=BB14_9 Depth=1
	v_add_co_u32 v37, s2, v19, s4
	s_delay_alu instid0(VALU_DEP_1) | instskip(SKIP_1) | instid1(VALU_DEP_1)
	v_add_co_ci_u32_e64 v38, s2, s5, v20, s2
	v_add_co_u32 v39, s2, v21, s4
	v_add_co_ci_u32_e64 v40, s2, s5, v22, s2
	global_load_b32 v2, v[37:38], off
	global_load_b32 v37, v[39:40], off
.LBB14_15:                              ;   in Loop: Header=BB14_9 Depth=1
	s_or_b32 exec_lo, exec_lo, s3
	v_add_co_u32 v38, s2, v17, s10
	s_delay_alu instid0(VALU_DEP_1) | instskip(SKIP_1) | instid1(VALU_DEP_2)
	v_add_co_ci_u32_e64 v39, s2, s11, v18, s2
	v_mov_b32_e32 v4, 0
	v_cmp_gt_u64_e64 s2, s[8:9], v[38:39]
	v_mov_b32_e32 v38, 0
	s_delay_alu instid0(VALU_DEP_2)
	s_and_saveexec_b32 s14, s2
	s_cbranch_execnz .LBB14_20
; %bb.16:                               ;   in Loop: Header=BB14_9 Depth=1
	s_or_b32 exec_lo, exec_lo, s14
	s_and_saveexec_b32 s3, vcc_lo
	s_cbranch_execnz .LBB14_21
.LBB14_17:                              ;   in Loop: Header=BB14_9 Depth=1
	s_or_b32 exec_lo, exec_lo, s3
	s_and_saveexec_b32 s3, s0
	s_cbranch_execnz .LBB14_22
.LBB14_18:                              ;   in Loop: Header=BB14_9 Depth=1
	s_or_b32 exec_lo, exec_lo, s3
	s_and_saveexec_b32 s0, s1
	s_cbranch_execnz .LBB14_23
.LBB14_19:                              ;   in Loop: Header=BB14_9 Depth=1
	s_or_b32 exec_lo, exec_lo, s0
	s_and_saveexec_b32 s0, s2
	s_cbranch_execz .LBB14_8
	s_branch .LBB14_24
.LBB14_20:                              ;   in Loop: Header=BB14_9 Depth=1
	v_add_co_u32 v38, s3, v11, s4
	s_delay_alu instid0(VALU_DEP_1) | instskip(SKIP_1) | instid1(VALU_DEP_1)
	v_add_co_ci_u32_e64 v39, s3, s5, v12, s3
	v_add_co_u32 v40, s3, v13, s4
	v_add_co_ci_u32_e64 v41, s3, s5, v14, s3
	global_load_b32 v4, v[38:39], off
	global_load_b32 v38, v[40:41], off
	s_or_b32 exec_lo, exec_lo, s14
	s_and_saveexec_b32 s3, vcc_lo
	s_cbranch_execz .LBB14_17
.LBB14_21:                              ;   in Loop: Header=BB14_9 Depth=1
	s_waitcnt vmcnt(0)
	v_mad_u64_u32 v[39:40], null, v35, s16, v[1:2]
	v_add_co_u32 v40, vcc_lo, v9, s4
	v_add_co_ci_u32_e32 v41, vcc_lo, s5, v10, vcc_lo
	global_store_b32 v[40:41], v39, off
	s_or_b32 exec_lo, exec_lo, s3
	s_and_saveexec_b32 s3, s0
	s_cbranch_execz .LBB14_18
.LBB14_22:                              ;   in Loop: Header=BB14_9 Depth=1
	s_waitcnt vmcnt(0)
	v_mad_u64_u32 v[39:40], null, v36, s16, v[3:4]
	v_add_co_u32 v35, vcc_lo, v33, s4
	v_add_co_ci_u32_e32 v36, vcc_lo, s5, v34, vcc_lo
	global_store_b32 v[35:36], v39, off
	s_or_b32 exec_lo, exec_lo, s3
	s_and_saveexec_b32 s0, s1
	s_cbranch_execz .LBB14_19
.LBB14_23:                              ;   in Loop: Header=BB14_9 Depth=1
	s_waitcnt vmcnt(0)
	v_mad_u64_u32 v[35:36], null, v37, s16, v[2:3]
	v_add_co_u32 v1, vcc_lo, v24, s4
	v_add_co_ci_u32_e32 v2, vcc_lo, s5, v25, vcc_lo
	global_store_b32 v[1:2], v35, off
	s_or_b32 exec_lo, exec_lo, s0
	s_and_saveexec_b32 s0, s2
	s_cbranch_execz .LBB14_8
.LBB14_24:                              ;   in Loop: Header=BB14_9 Depth=1
	s_waitcnt vmcnt(0)
	v_mad_u64_u32 v[1:2], null, v38, s16, v[4:5]
	v_add_co_u32 v2, vcc_lo, v15, s4
	v_add_co_ci_u32_e32 v3, vcc_lo, s5, v16, vcc_lo
	global_store_b32 v[2:3], v1, off
	s_branch .LBB14_8
.LBB14_25:
	s_nop 0
	s_sendmsg sendmsg(MSG_DEALLOC_VGPRS)
	s_endpgm
	.section	.rodata,"a",@progbits
	.p2align	6, 0x0
	.amdhsa_kernel _ZN2at6native12_GLOBAL__N_125multi_tensor_apply_kernelINS1_18TensorListMetadataILi3EEENS1_24BinaryOpListAlphaFunctorIiLi3ELi2ELi2EEEJSt4plusIiEiEEEvT_T0_DpT1_
		.amdhsa_group_segment_fixed_size 0
		.amdhsa_private_segment_fixed_size 0
		.amdhsa_kernarg_size 3408
		.amdhsa_user_sgpr_count 15
		.amdhsa_user_sgpr_dispatch_ptr 0
		.amdhsa_user_sgpr_queue_ptr 0
		.amdhsa_user_sgpr_kernarg_segment_ptr 1
		.amdhsa_user_sgpr_dispatch_id 0
		.amdhsa_user_sgpr_private_segment_size 0
		.amdhsa_wavefront_size32 1
		.amdhsa_uses_dynamic_stack 0
		.amdhsa_enable_private_segment 0
		.amdhsa_system_sgpr_workgroup_id_x 1
		.amdhsa_system_sgpr_workgroup_id_y 0
		.amdhsa_system_sgpr_workgroup_id_z 0
		.amdhsa_system_sgpr_workgroup_info 0
		.amdhsa_system_vgpr_workitem_id 0
		.amdhsa_next_free_vgpr 42
		.amdhsa_next_free_sgpr 28
		.amdhsa_reserve_vcc 1
		.amdhsa_float_round_mode_32 0
		.amdhsa_float_round_mode_16_64 0
		.amdhsa_float_denorm_mode_32 3
		.amdhsa_float_denorm_mode_16_64 3
		.amdhsa_dx10_clamp 1
		.amdhsa_ieee_mode 1
		.amdhsa_fp16_overflow 0
		.amdhsa_workgroup_processor_mode 1
		.amdhsa_memory_ordered 1
		.amdhsa_forward_progress 0
		.amdhsa_shared_vgpr_count 0
		.amdhsa_exception_fp_ieee_invalid_op 0
		.amdhsa_exception_fp_denorm_src 0
		.amdhsa_exception_fp_ieee_div_zero 0
		.amdhsa_exception_fp_ieee_overflow 0
		.amdhsa_exception_fp_ieee_underflow 0
		.amdhsa_exception_fp_ieee_inexact 0
		.amdhsa_exception_int_div_zero 0
	.end_amdhsa_kernel
	.section	.text._ZN2at6native12_GLOBAL__N_125multi_tensor_apply_kernelINS1_18TensorListMetadataILi3EEENS1_24BinaryOpListAlphaFunctorIiLi3ELi2ELi2EEEJSt4plusIiEiEEEvT_T0_DpT1_,"axG",@progbits,_ZN2at6native12_GLOBAL__N_125multi_tensor_apply_kernelINS1_18TensorListMetadataILi3EEENS1_24BinaryOpListAlphaFunctorIiLi3ELi2ELi2EEEJSt4plusIiEiEEEvT_T0_DpT1_,comdat
.Lfunc_end14:
	.size	_ZN2at6native12_GLOBAL__N_125multi_tensor_apply_kernelINS1_18TensorListMetadataILi3EEENS1_24BinaryOpListAlphaFunctorIiLi3ELi2ELi2EEEJSt4plusIiEiEEEvT_T0_DpT1_, .Lfunc_end14-_ZN2at6native12_GLOBAL__N_125multi_tensor_apply_kernelINS1_18TensorListMetadataILi3EEENS1_24BinaryOpListAlphaFunctorIiLi3ELi2ELi2EEEJSt4plusIiEiEEEvT_T0_DpT1_
                                        ; -- End function
	.section	.AMDGPU.csdata,"",@progbits
; Kernel info:
; codeLenInByte = 1764
; NumSgprs: 30
; NumVgprs: 42
; ScratchSize: 0
; MemoryBound: 0
; FloatMode: 240
; IeeeMode: 1
; LDSByteSize: 0 bytes/workgroup (compile time only)
; SGPRBlocks: 3
; VGPRBlocks: 5
; NumSGPRsForWavesPerEU: 30
; NumVGPRsForWavesPerEU: 42
; Occupancy: 16
; WaveLimiterHint : 0
; COMPUTE_PGM_RSRC2:SCRATCH_EN: 0
; COMPUTE_PGM_RSRC2:USER_SGPR: 15
; COMPUTE_PGM_RSRC2:TRAP_HANDLER: 0
; COMPUTE_PGM_RSRC2:TGID_X_EN: 1
; COMPUTE_PGM_RSRC2:TGID_Y_EN: 0
; COMPUTE_PGM_RSRC2:TGID_Z_EN: 0
; COMPUTE_PGM_RSRC2:TIDIG_COMP_CNT: 0
	.section	.text._ZN2at6native12_GLOBAL__N_125multi_tensor_apply_kernelINS1_18TensorListMetadataILi3EEENS1_24BinaryOpListAlphaFunctorIlLi3ELi2ELi2EEEJSt4plusIlElEEEvT_T0_DpT1_,"axG",@progbits,_ZN2at6native12_GLOBAL__N_125multi_tensor_apply_kernelINS1_18TensorListMetadataILi3EEENS1_24BinaryOpListAlphaFunctorIlLi3ELi2ELi2EEEJSt4plusIlElEEEvT_T0_DpT1_,comdat
	.globl	_ZN2at6native12_GLOBAL__N_125multi_tensor_apply_kernelINS1_18TensorListMetadataILi3EEENS1_24BinaryOpListAlphaFunctorIlLi3ELi2ELi2EEEJSt4plusIlElEEEvT_T0_DpT1_ ; -- Begin function _ZN2at6native12_GLOBAL__N_125multi_tensor_apply_kernelINS1_18TensorListMetadataILi3EEENS1_24BinaryOpListAlphaFunctorIlLi3ELi2ELi2EEEJSt4plusIlElEEEvT_T0_DpT1_
	.p2align	8
	.type	_ZN2at6native12_GLOBAL__N_125multi_tensor_apply_kernelINS1_18TensorListMetadataILi3EEENS1_24BinaryOpListAlphaFunctorIlLi3ELi2ELi2EEEJSt4plusIlElEEEvT_T0_DpT1_,@function
_ZN2at6native12_GLOBAL__N_125multi_tensor_apply_kernelINS1_18TensorListMetadataILi3EEENS1_24BinaryOpListAlphaFunctorIlLi3ELi2ELi2EEEJSt4plusIlElEEEvT_T0_DpT1_: ; @_ZN2at6native12_GLOBAL__N_125multi_tensor_apply_kernelINS1_18TensorListMetadataILi3EEENS1_24BinaryOpListAlphaFunctorIlLi3ELi2ELi2EEEJSt4plusIlElEEEvT_T0_DpT1_
; %bb.0:
	v_mov_b32_e32 v1, s15
	s_add_u32 s2, s0, s15
	s_mul_hi_u32 s3, s15, 3
	s_mul_i32 s15, s15, 3
	s_addc_u32 s4, s1, 0
	global_load_u8 v1, v1, s[0:1] offset:1536
	s_add_u32 s2, s2, s15
	s_addc_u32 s3, s4, s3
	s_mov_b32 s23, 0
	s_load_b32 s2, s[2:3], 0x740
	s_mov_b32 s25, s23
	s_waitcnt vmcnt(0)
	v_readfirstlane_b32 s3, v1
	s_delay_alu instid0(VALU_DEP_1)
	s_lshl_b32 s3, s3, 3
	s_clause 0x3
	s_load_b64 s[12:13], s[0:1], s3 offset:0x0
	s_load_b64 s[14:15], s[0:1], s3 offset:0x180
	;; [unrolled: 1-line block ×4, first 2 shown]
	s_waitcnt lgkmcnt(0)
	s_ashr_i32 s3, s2, 31
	s_delay_alu instid0(SALU_CYCLE_1) | instskip(NEXT) | instid1(SALU_CYCLE_1)
	s_lshl_b64 s[4:5], s[2:3], 19
	s_add_u32 s10, s12, s4
	s_addc_u32 s11, s13, s5
	s_and_b32 s22, s10, 31
	s_add_u32 s18, s14, s4
	s_addc_u32 s19, s15, s5
	s_add_u32 s20, s16, s4
	s_addc_u32 s21, s17, s5
	s_or_b32 s6, s20, s18
	s_delay_alu instid0(SALU_CYCLE_1) | instskip(NEXT) | instid1(SALU_CYCLE_1)
	s_and_b32 s6, s6, 31
	s_cmp_lg_u32 s6, 0
	s_cselect_b32 s26, -1, 0
	s_lshl_b64 s[2:3], s[2:3], 16
	s_delay_alu instid0(SALU_CYCLE_1) | instskip(SKIP_4) | instid1(SALU_CYCLE_1)
	s_sub_u32 s6, s8, s2
	s_subb_u32 s7, s9, s3
	s_and_b32 s24, s8, 3
	s_load_b64 s[8:9], s[0:1], 0xc50
	s_or_b64 s[2:3], s[22:23], s[24:25]
	s_cmp_lg_u64 s[2:3], 0
	s_cselect_b32 s2, -1, 0
	s_delay_alu instid0(SALU_CYCLE_1) | instskip(NEXT) | instid1(SALU_CYCLE_1)
	s_or_b32 s2, s26, s2
	s_and_not1_b32 vcc_lo, exec_lo, s2
	s_mov_b32 s2, -1
	s_cbranch_vccz .LBB15_5
; %bb.1:
	v_dual_mov_b32 v2, 0 :: v_dual_lshlrev_b32 v1, 2, v0
	s_mov_b32 s22, exec_lo
	s_delay_alu instid0(VALU_DEP_1)
	v_cmpx_gt_i64_e64 s[6:7], v[1:2]
	s_cbranch_execz .LBB15_4
; %bb.2:
	s_load_b32 s2, s[0:1], 0xc64
	v_lshlrev_b32_e32 v3, 5, v0
	s_waitcnt lgkmcnt(0)
	s_and_b32 s2, s2, 0xffff
	s_delay_alu instid0(SALU_CYCLE_1)
	v_add_lshl_u32 v1, v0, s2, 2
	s_lshl_b32 s24, s2, 2
	s_lshl_b32 s25, s2, 5
.LBB15_3:                               ; =>This Inner Loop Header: Depth=1
	v_add_co_u32 v12, s2, s10, v3
	s_delay_alu instid0(VALU_DEP_1) | instskip(SKIP_1) | instid1(VALU_DEP_1)
	v_add_co_ci_u32_e64 v13, null, s11, 0, s2
	v_add_co_u32 v16, s2, s18, v3
	v_add_co_ci_u32_e64 v17, null, s19, 0, s2
	global_load_b128 v[4:7], v[12:13], off
	global_load_b128 v[8:11], v[16:17], off
	global_load_b128 v[12:15], v[12:13], off offset:16
	global_load_b128 v[16:19], v[16:17], off offset:16
	v_cmp_le_i64_e32 vcc_lo, s[6:7], v[1:2]
	v_cmp_lt_u64_e64 s2, 0xffff, v[1:2]
	v_add_co_u32 v24, s3, s20, v3
	s_delay_alu instid0(VALU_DEP_1) | instskip(SKIP_1) | instid1(VALU_DEP_4)
	v_add_co_ci_u32_e64 v25, null, s21, 0, s3
	v_add_co_u32 v1, s3, v1, s24
	s_or_b32 s2, vcc_lo, s2
	s_add_u32 s10, s10, s25
	s_addc_u32 s11, s11, 0
	s_add_u32 s20, s20, s25
	s_addc_u32 s21, s21, 0
	s_add_u32 s18, s18, s25
	v_add_co_ci_u32_e64 v2, s3, 0, v2, s3
	s_addc_u32 s19, s19, 0
	s_and_b32 s2, exec_lo, s2
	s_delay_alu instid0(SALU_CYCLE_1)
	s_or_b32 s23, s2, s23
	s_waitcnt vmcnt(2)
	v_mad_u64_u32 v[20:21], null, v8, s8, v[4:5]
	v_mul_lo_u32 v8, v8, s9
	v_mul_lo_u32 v9, v9, s8
	v_mad_u64_u32 v[22:23], null, v10, s8, v[6:7]
	v_mul_lo_u32 v10, v10, s9
	v_mul_lo_u32 v11, v11, s8
	s_waitcnt vmcnt(0)
	v_mad_u64_u32 v[4:5], null, v16, s8, v[12:13]
	v_mul_lo_u32 v12, v16, s9
	v_mul_lo_u32 v13, v17, s8
	v_mad_u64_u32 v[6:7], null, v18, s8, v[14:15]
	v_mul_lo_u32 v14, v18, s9
	v_mul_lo_u32 v15, v19, s8
	v_add3_u32 v21, v9, v21, v8
	v_add3_u32 v23, v11, v23, v10
	v_add3_u32 v5, v13, v5, v12
	s_delay_alu instid0(VALU_DEP_4)
	v_add3_u32 v7, v15, v7, v14
	s_clause 0x1
	global_store_b128 v[24:25], v[20:23], off
	global_store_b128 v[24:25], v[4:7], off offset:16
	s_and_not1_b32 exec_lo, exec_lo, s23
	s_cbranch_execnz .LBB15_3
.LBB15_4:
	s_or_b32 exec_lo, exec_lo, s22
	s_mov_b32 s2, 0
.LBB15_5:
	s_delay_alu instid0(SALU_CYCLE_1)
	s_and_not1_b32 vcc_lo, exec_lo, s2
	s_cbranch_vccnz .LBB15_25
; %bb.6:
	v_cmp_lt_i64_e64 s2, s[6:7], 1
	s_delay_alu instid0(VALU_DEP_1)
	s_and_b32 vcc_lo, exec_lo, s2
	s_cbranch_vccnz .LBB15_25
; %bb.7:
	s_load_b32 s0, s[0:1], 0xc64
	v_dual_mov_b32 v2, 0 :: v_dual_lshlrev_b32 v1, 3, v0
	v_cmp_gt_u64_e64 s1, 0x10000, s[6:7]
	s_delay_alu instid0(VALU_DEP_2) | instskip(NEXT) | instid1(VALU_DEP_1)
	v_add_co_u32 v17, s2, s12, v1
	v_add_co_ci_u32_e64 v18, null, s13, 0, s2
	v_add_co_u32 v19, s2, s14, v1
	s_delay_alu instid0(VALU_DEP_1) | instskip(SKIP_1) | instid1(VALU_DEP_1)
	v_add_co_ci_u32_e64 v20, null, s15, 0, s2
	v_add_co_u32 v21, s2, s16, v1
	v_add_co_ci_u32_e64 v22, null, s17, 0, s2
	s_waitcnt lgkmcnt(0)
	s_and_b32 s0, s0, 0xffff
	s_and_b32 s1, s1, exec_lo
	v_mad_u64_u32 v[3:4], null, s0, 24, v[1:2]
	s_cselect_b32 s11, s7, 0
	s_cselect_b32 s10, s6, 0x10000
	s_lshl_b32 s3, s0, 4
	s_mul_i32 s2, s0, 3
	v_add_co_u32 v1, s3, s3, v1
	s_delay_alu instid0(VALU_DEP_2) | instskip(NEXT) | instid1(VALU_DEP_3)
	v_add_co_u32 v23, vcc_lo, s12, v3
	v_add_co_ci_u32_e32 v24, vcc_lo, s13, v4, vcc_lo
	v_add_co_u32 v25, vcc_lo, s14, v3
	v_add_co_ci_u32_e32 v26, vcc_lo, s15, v4, vcc_lo
	v_add_co_u32 v27, vcc_lo, s16, v3
	v_add_co_ci_u32_e64 v2, null, 0, 0, s3
	v_add_co_ci_u32_e32 v28, vcc_lo, s17, v4, vcc_lo
	v_add_co_u32 v29, s2, s2, v0
	v_add_co_u32 v31, vcc_lo, s12, v1
	v_add_co_ci_u32_e64 v30, null, 0, 0, s2
	v_add_co_u32 v35, s2, v0, s0
	v_add_co_ci_u32_e32 v32, vcc_lo, s13, v2, vcc_lo
	v_add_co_u32 v33, vcc_lo, s14, v1
	v_add_co_ci_u32_e32 v34, vcc_lo, s15, v2, vcc_lo
	v_add_co_u32 v36, vcc_lo, s16, v1
	v_lshlrev_b32_e32 v1, 3, v35
	s_lshl_b32 s1, s0, 1
	v_add_co_ci_u32_e32 v37, vcc_lo, s17, v2, vcc_lo
	v_add_co_u32 v39, s1, s1, v0
	s_delay_alu instid0(VALU_DEP_1) | instskip(SKIP_1) | instid1(VALU_DEP_1)
	v_add_co_ci_u32_e64 v40, null, 0, 0, s1
	v_add_co_u32 v41, s1, s12, v1
	v_add_co_ci_u32_e64 v42, null, s13, 0, s1
	v_add_co_u32 v43, s1, s14, v1
	s_delay_alu instid0(VALU_DEP_1)
	v_add_co_ci_u32_e64 v44, null, s15, 0, s1
	v_add_co_u32 v45, s1, s16, v1
	v_add_co_ci_u32_e64 v38, null, 0, 0, s2
	v_add_co_ci_u32_e64 v46, null, s17, 0, s1
	s_lshl_b32 s14, s0, 2
	s_lshl_b32 s15, s0, 5
	s_mov_b64 s[12:13], 0
	s_branch .LBB15_9
.LBB15_8:                               ;   in Loop: Header=BB15_9 Depth=1
	s_or_b32 exec_lo, exec_lo, s0
	v_add_co_u32 v17, vcc_lo, v17, s15
	v_add_co_ci_u32_e32 v18, vcc_lo, 0, v18, vcc_lo
	v_add_co_u32 v19, vcc_lo, v19, s15
	v_add_co_ci_u32_e32 v20, vcc_lo, 0, v20, vcc_lo
	;; [unrolled: 2-line block ×9, first 2 shown]
	s_add_u32 s12, s12, s14
	v_add_co_u32 v41, vcc_lo, v41, s15
	s_addc_u32 s13, s13, 0
	v_add_co_ci_u32_e32 v42, vcc_lo, 0, v42, vcc_lo
	v_cmp_ge_i64_e64 s0, s[12:13], s[6:7]
	v_cmp_lt_u64_e64 s1, 0xffff, s[12:13]
	v_add_co_u32 v43, vcc_lo, v43, s15
	v_add_co_ci_u32_e32 v44, vcc_lo, 0, v44, vcc_lo
	v_add_co_u32 v45, vcc_lo, v45, s15
	v_add_co_ci_u32_e32 v46, vcc_lo, 0, v46, vcc_lo
	s_or_b32 s0, s0, s1
	s_delay_alu instid0(SALU_CYCLE_1)
	s_and_b32 vcc_lo, exec_lo, s0
	s_cbranch_vccnz .LBB15_25
.LBB15_9:                               ; =>This Inner Loop Header: Depth=1
	s_waitcnt vmcnt(1)
	v_add_co_u32 v3, s0, v0, s12
	s_delay_alu instid0(VALU_DEP_1) | instskip(SKIP_2) | instid1(VALU_DEP_3)
	v_add_co_ci_u32_e64 v4, null, 0, s13, s0
	v_mov_b32_e32 v1, 0
	v_mov_b32_e32 v2, 0
	v_cmp_gt_u64_e32 vcc_lo, s[10:11], v[3:4]
	s_delay_alu instid0(VALU_DEP_2)
	v_dual_mov_b32 v4, v2 :: v_dual_mov_b32 v3, v1
	s_waitcnt vmcnt(0)
	v_dual_mov_b32 v6, v2 :: v_dual_mov_b32 v5, v1
	s_and_saveexec_b32 s1, vcc_lo
	s_cbranch_execz .LBB15_11
; %bb.10:                               ;   in Loop: Header=BB15_9 Depth=1
	v_add_co_u32 v3, s0, v17, s4
	s_delay_alu instid0(VALU_DEP_1) | instskip(SKIP_1) | instid1(VALU_DEP_1)
	v_add_co_ci_u32_e64 v4, s0, s5, v18, s0
	v_add_co_u32 v5, s0, v19, s4
	v_add_co_ci_u32_e64 v6, s0, s5, v20, s0
	global_load_b64 v[3:4], v[3:4], off
	global_load_b64 v[5:6], v[5:6], off
.LBB15_11:                              ;   in Loop: Header=BB15_9 Depth=1
	s_or_b32 exec_lo, exec_lo, s1
	v_add_co_u32 v7, s0, v35, s12
	s_delay_alu instid0(VALU_DEP_1) | instskip(SKIP_1) | instid1(VALU_DEP_2)
	v_add_co_ci_u32_e64 v8, s0, s13, v38, s0
	v_dual_mov_b32 v10, v2 :: v_dual_mov_b32 v9, v1
	v_cmp_gt_u64_e64 s0, s[10:11], v[7:8]
	s_delay_alu instid0(VALU_DEP_1)
	s_and_saveexec_b32 s2, s0
	s_cbranch_execz .LBB15_13
; %bb.12:                               ;   in Loop: Header=BB15_9 Depth=1
	v_add_co_u32 v1, s1, v41, s4
	s_delay_alu instid0(VALU_DEP_1) | instskip(SKIP_1) | instid1(VALU_DEP_1)
	v_add_co_ci_u32_e64 v2, s1, s5, v42, s1
	v_add_co_u32 v7, s1, v43, s4
	v_add_co_ci_u32_e64 v8, s1, s5, v44, s1
	global_load_b64 v[1:2], v[1:2], off
	global_load_b64 v[9:10], v[7:8], off
.LBB15_13:                              ;   in Loop: Header=BB15_9 Depth=1
	s_or_b32 exec_lo, exec_lo, s2
	v_add_co_u32 v11, s1, v39, s12
	s_delay_alu instid0(VALU_DEP_1) | instskip(SKIP_2) | instid1(VALU_DEP_3)
	v_add_co_ci_u32_e64 v12, s1, s13, v40, s1
	v_mov_b32_e32 v7, 0
	v_mov_b32_e32 v8, 0
	v_cmp_gt_u64_e64 s1, s[10:11], v[11:12]
	s_delay_alu instid0(VALU_DEP_2) | instskip(SKIP_1) | instid1(VALU_DEP_3)
	v_dual_mov_b32 v12, v8 :: v_dual_mov_b32 v11, v7
	v_dual_mov_b32 v14, v8 :: v_dual_mov_b32 v13, v7
	s_and_saveexec_b32 s3, s1
	s_cbranch_execz .LBB15_15
; %bb.14:                               ;   in Loop: Header=BB15_9 Depth=1
	v_add_co_u32 v11, s2, v31, s4
	s_delay_alu instid0(VALU_DEP_1) | instskip(SKIP_1) | instid1(VALU_DEP_1)
	v_add_co_ci_u32_e64 v12, s2, s5, v32, s2
	v_add_co_u32 v13, s2, v33, s4
	v_add_co_ci_u32_e64 v14, s2, s5, v34, s2
	global_load_b64 v[11:12], v[11:12], off
	global_load_b64 v[13:14], v[13:14], off
.LBB15_15:                              ;   in Loop: Header=BB15_9 Depth=1
	s_or_b32 exec_lo, exec_lo, s3
	v_add_co_u32 v15, s2, v29, s12
	s_delay_alu instid0(VALU_DEP_1) | instskip(NEXT) | instid1(VALU_DEP_1)
	v_add_co_ci_u32_e64 v16, s2, s13, v30, s2
	v_cmp_gt_u64_e64 s2, s[10:11], v[15:16]
	v_dual_mov_b32 v16, v8 :: v_dual_mov_b32 v15, v7
	s_delay_alu instid0(VALU_DEP_2)
	s_and_saveexec_b32 s16, s2
	s_cbranch_execnz .LBB15_20
; %bb.16:                               ;   in Loop: Header=BB15_9 Depth=1
	s_or_b32 exec_lo, exec_lo, s16
	s_and_saveexec_b32 s3, vcc_lo
	s_cbranch_execnz .LBB15_21
.LBB15_17:                              ;   in Loop: Header=BB15_9 Depth=1
	s_or_b32 exec_lo, exec_lo, s3
	s_and_saveexec_b32 s3, s0
	s_cbranch_execnz .LBB15_22
.LBB15_18:                              ;   in Loop: Header=BB15_9 Depth=1
	s_or_b32 exec_lo, exec_lo, s3
	s_and_saveexec_b32 s0, s1
	s_cbranch_execnz .LBB15_23
.LBB15_19:                              ;   in Loop: Header=BB15_9 Depth=1
	s_or_b32 exec_lo, exec_lo, s0
	s_and_saveexec_b32 s0, s2
	s_cbranch_execz .LBB15_8
	s_branch .LBB15_24
.LBB15_20:                              ;   in Loop: Header=BB15_9 Depth=1
	v_add_co_u32 v7, s3, v23, s4
	s_delay_alu instid0(VALU_DEP_1) | instskip(SKIP_1) | instid1(VALU_DEP_1)
	v_add_co_ci_u32_e64 v8, s3, s5, v24, s3
	v_add_co_u32 v15, s3, v25, s4
	v_add_co_ci_u32_e64 v16, s3, s5, v26, s3
	global_load_b64 v[7:8], v[7:8], off
	global_load_b64 v[15:16], v[15:16], off
	s_or_b32 exec_lo, exec_lo, s16
	s_and_saveexec_b32 s3, vcc_lo
	s_cbranch_execz .LBB15_17
.LBB15_21:                              ;   in Loop: Header=BB15_9 Depth=1
	s_waitcnt vmcnt(0)
	v_mad_u64_u32 v[47:48], null, v5, s8, v[3:4]
	v_mul_lo_u32 v3, v5, s9
	v_mul_lo_u32 v4, v6, s8
	s_delay_alu instid0(VALU_DEP_1)
	v_add3_u32 v48, v4, v48, v3
	v_add_co_u32 v3, vcc_lo, v21, s4
	v_add_co_ci_u32_e32 v4, vcc_lo, s5, v22, vcc_lo
	global_store_b64 v[3:4], v[47:48], off
	s_or_b32 exec_lo, exec_lo, s3
	s_and_saveexec_b32 s3, s0
	s_cbranch_execz .LBB15_18
.LBB15_22:                              ;   in Loop: Header=BB15_9 Depth=1
	s_waitcnt vmcnt(0)
	v_mad_u64_u32 v[3:4], null, v9, s8, v[1:2]
	v_mul_lo_u32 v1, v9, s9
	v_mul_lo_u32 v2, v10, s8
	s_delay_alu instid0(VALU_DEP_1)
	v_add3_u32 v4, v2, v4, v1
	v_add_co_u32 v1, vcc_lo, v45, s4
	v_add_co_ci_u32_e32 v2, vcc_lo, s5, v46, vcc_lo
	global_store_b64 v[1:2], v[3:4], off
	s_or_b32 exec_lo, exec_lo, s3
	s_and_saveexec_b32 s0, s1
	s_cbranch_execz .LBB15_19
.LBB15_23:                              ;   in Loop: Header=BB15_9 Depth=1
	s_waitcnt vmcnt(0)
	v_mad_u64_u32 v[1:2], null, v13, s8, v[11:12]
	v_mul_lo_u32 v3, v13, s9
	v_mul_lo_u32 v4, v14, s8
	s_delay_alu instid0(VALU_DEP_1)
	v_add3_u32 v2, v4, v2, v3
	v_add_co_u32 v3, vcc_lo, v36, s4
	v_add_co_ci_u32_e32 v4, vcc_lo, s5, v37, vcc_lo
	global_store_b64 v[3:4], v[1:2], off
	s_or_b32 exec_lo, exec_lo, s0
	s_and_saveexec_b32 s0, s2
	s_cbranch_execz .LBB15_8
.LBB15_24:                              ;   in Loop: Header=BB15_9 Depth=1
	s_waitcnt vmcnt(0)
	v_mad_u64_u32 v[1:2], null, v15, s8, v[7:8]
	v_mul_lo_u32 v3, v15, s9
	v_mul_lo_u32 v4, v16, s8
	s_delay_alu instid0(VALU_DEP_1)
	v_add3_u32 v2, v4, v2, v3
	v_add_co_u32 v3, vcc_lo, v27, s4
	v_add_co_ci_u32_e32 v4, vcc_lo, s5, v28, vcc_lo
	global_store_b64 v[3:4], v[1:2], off
	s_branch .LBB15_8
.LBB15_25:
	s_nop 0
	s_sendmsg sendmsg(MSG_DEALLOC_VGPRS)
	s_endpgm
	.section	.rodata,"a",@progbits
	.p2align	6, 0x0
	.amdhsa_kernel _ZN2at6native12_GLOBAL__N_125multi_tensor_apply_kernelINS1_18TensorListMetadataILi3EEENS1_24BinaryOpListAlphaFunctorIlLi3ELi2ELi2EEEJSt4plusIlElEEEvT_T0_DpT1_
		.amdhsa_group_segment_fixed_size 0
		.amdhsa_private_segment_fixed_size 0
		.amdhsa_kernarg_size 3416
		.amdhsa_user_sgpr_count 15
		.amdhsa_user_sgpr_dispatch_ptr 0
		.amdhsa_user_sgpr_queue_ptr 0
		.amdhsa_user_sgpr_kernarg_segment_ptr 1
		.amdhsa_user_sgpr_dispatch_id 0
		.amdhsa_user_sgpr_private_segment_size 0
		.amdhsa_wavefront_size32 1
		.amdhsa_uses_dynamic_stack 0
		.amdhsa_enable_private_segment 0
		.amdhsa_system_sgpr_workgroup_id_x 1
		.amdhsa_system_sgpr_workgroup_id_y 0
		.amdhsa_system_sgpr_workgroup_id_z 0
		.amdhsa_system_sgpr_workgroup_info 0
		.amdhsa_system_vgpr_workitem_id 0
		.amdhsa_next_free_vgpr 49
		.amdhsa_next_free_sgpr 27
		.amdhsa_reserve_vcc 1
		.amdhsa_float_round_mode_32 0
		.amdhsa_float_round_mode_16_64 0
		.amdhsa_float_denorm_mode_32 3
		.amdhsa_float_denorm_mode_16_64 3
		.amdhsa_dx10_clamp 1
		.amdhsa_ieee_mode 1
		.amdhsa_fp16_overflow 0
		.amdhsa_workgroup_processor_mode 1
		.amdhsa_memory_ordered 1
		.amdhsa_forward_progress 0
		.amdhsa_shared_vgpr_count 0
		.amdhsa_exception_fp_ieee_invalid_op 0
		.amdhsa_exception_fp_denorm_src 0
		.amdhsa_exception_fp_ieee_div_zero 0
		.amdhsa_exception_fp_ieee_overflow 0
		.amdhsa_exception_fp_ieee_underflow 0
		.amdhsa_exception_fp_ieee_inexact 0
		.amdhsa_exception_int_div_zero 0
	.end_amdhsa_kernel
	.section	.text._ZN2at6native12_GLOBAL__N_125multi_tensor_apply_kernelINS1_18TensorListMetadataILi3EEENS1_24BinaryOpListAlphaFunctorIlLi3ELi2ELi2EEEJSt4plusIlElEEEvT_T0_DpT1_,"axG",@progbits,_ZN2at6native12_GLOBAL__N_125multi_tensor_apply_kernelINS1_18TensorListMetadataILi3EEENS1_24BinaryOpListAlphaFunctorIlLi3ELi2ELi2EEEJSt4plusIlElEEEvT_T0_DpT1_,comdat
.Lfunc_end15:
	.size	_ZN2at6native12_GLOBAL__N_125multi_tensor_apply_kernelINS1_18TensorListMetadataILi3EEENS1_24BinaryOpListAlphaFunctorIlLi3ELi2ELi2EEEJSt4plusIlElEEEvT_T0_DpT1_, .Lfunc_end15-_ZN2at6native12_GLOBAL__N_125multi_tensor_apply_kernelINS1_18TensorListMetadataILi3EEENS1_24BinaryOpListAlphaFunctorIlLi3ELi2ELi2EEEJSt4plusIlElEEEvT_T0_DpT1_
                                        ; -- End function
	.section	.AMDGPU.csdata,"",@progbits
; Kernel info:
; codeLenInByte = 2012
; NumSgprs: 29
; NumVgprs: 49
; ScratchSize: 0
; MemoryBound: 0
; FloatMode: 240
; IeeeMode: 1
; LDSByteSize: 0 bytes/workgroup (compile time only)
; SGPRBlocks: 3
; VGPRBlocks: 6
; NumSGPRsForWavesPerEU: 29
; NumVGPRsForWavesPerEU: 49
; Occupancy: 16
; WaveLimiterHint : 0
; COMPUTE_PGM_RSRC2:SCRATCH_EN: 0
; COMPUTE_PGM_RSRC2:USER_SGPR: 15
; COMPUTE_PGM_RSRC2:TRAP_HANDLER: 0
; COMPUTE_PGM_RSRC2:TGID_X_EN: 1
; COMPUTE_PGM_RSRC2:TGID_Y_EN: 0
; COMPUTE_PGM_RSRC2:TGID_Z_EN: 0
; COMPUTE_PGM_RSRC2:TIDIG_COMP_CNT: 0
	.section	.text._ZN2at6native12_GLOBAL__N_125multi_tensor_apply_kernelINS1_18TensorListMetadataILi3EEENS1_24BinaryOpListAlphaFunctorIsLi3ELi2ELi2EEEJSt4plusIsEsEEEvT_T0_DpT1_,"axG",@progbits,_ZN2at6native12_GLOBAL__N_125multi_tensor_apply_kernelINS1_18TensorListMetadataILi3EEENS1_24BinaryOpListAlphaFunctorIsLi3ELi2ELi2EEEJSt4plusIsEsEEEvT_T0_DpT1_,comdat
	.globl	_ZN2at6native12_GLOBAL__N_125multi_tensor_apply_kernelINS1_18TensorListMetadataILi3EEENS1_24BinaryOpListAlphaFunctorIsLi3ELi2ELi2EEEJSt4plusIsEsEEEvT_T0_DpT1_ ; -- Begin function _ZN2at6native12_GLOBAL__N_125multi_tensor_apply_kernelINS1_18TensorListMetadataILi3EEENS1_24BinaryOpListAlphaFunctorIsLi3ELi2ELi2EEEJSt4plusIsEsEEEvT_T0_DpT1_
	.p2align	8
	.type	_ZN2at6native12_GLOBAL__N_125multi_tensor_apply_kernelINS1_18TensorListMetadataILi3EEENS1_24BinaryOpListAlphaFunctorIsLi3ELi2ELi2EEEJSt4plusIsEsEEEvT_T0_DpT1_,@function
_ZN2at6native12_GLOBAL__N_125multi_tensor_apply_kernelINS1_18TensorListMetadataILi3EEENS1_24BinaryOpListAlphaFunctorIsLi3ELi2ELi2EEEJSt4plusIsEsEEEvT_T0_DpT1_: ; @_ZN2at6native12_GLOBAL__N_125multi_tensor_apply_kernelINS1_18TensorListMetadataILi3EEENS1_24BinaryOpListAlphaFunctorIsLi3ELi2ELi2EEEJSt4plusIsEsEEEvT_T0_DpT1_
; %bb.0:
	v_mov_b32_e32 v1, s15
	s_mul_i32 s4, s15, 3
	s_mul_hi_u32 s3, s15, 3
	s_mov_b32 s19, 0
	s_load_b32 s2, s[0:1], 0xc48
	global_load_u8 v1, v1, s[0:1] offset:1536
	s_mov_b32 s21, s19
	s_waitcnt lgkmcnt(0)
	s_lshr_b32 s16, s2, 16
	s_add_u32 s2, s0, s15
	s_addc_u32 s5, s1, 0
	s_add_u32 s2, s2, s4
	s_addc_u32 s3, s5, s3
	s_load_b32 s2, s[2:3], 0x740
	s_waitcnt vmcnt(0)
	v_readfirstlane_b32 s4, v1
	s_delay_alu instid0(VALU_DEP_1)
	s_lshl_b32 s3, s4, 3
	s_clause 0x3
	s_load_b64 s[12:13], s[0:1], s3 offset:0x180
	s_load_b64 s[10:11], s[0:1], s3 offset:0x300
	;; [unrolled: 1-line block ×4, first 2 shown]
	s_waitcnt lgkmcnt(0)
	s_ashr_i32 s3, s2, 31
	s_delay_alu instid0(SALU_CYCLE_1) | instskip(NEXT) | instid1(SALU_CYCLE_1)
	s_lshl_b64 s[4:5], s[2:3], 17
	s_add_u32 s6, s12, s4
	s_delay_alu instid0(SALU_CYCLE_1) | instskip(SKIP_2) | instid1(SALU_CYCLE_1)
	s_or_b32 s6, s10, s6
	s_and_b32 s18, s14, 7
	s_and_b32 s6, s6, 7
	s_cmp_lg_u32 s6, 0
	s_cselect_b32 s17, -1, 0
	s_lshl_b64 s[2:3], s[2:3], 16
	s_delay_alu instid0(SALU_CYCLE_1) | instskip(SKIP_2) | instid1(SALU_CYCLE_1)
	s_sub_u32 s6, s8, s2
	s_subb_u32 s7, s9, s3
	s_and_b32 s20, s8, 3
	s_or_b64 s[2:3], s[18:19], s[20:21]
	s_delay_alu instid0(SALU_CYCLE_1) | instskip(SKIP_1) | instid1(SALU_CYCLE_1)
	s_cmp_lg_u64 s[2:3], 0
	s_cselect_b32 s2, -1, 0
	s_or_b32 s2, s17, s2
	s_delay_alu instid0(SALU_CYCLE_1)
	s_and_not1_b32 vcc_lo, exec_lo, s2
	s_mov_b32 s2, -1
	s_cbranch_vccz .LBB16_5
; %bb.1:
	v_dual_mov_b32 v2, 0 :: v_dual_lshlrev_b32 v1, 2, v0
	s_mov_b32 s8, exec_lo
	s_delay_alu instid0(VALU_DEP_1)
	v_cmpx_gt_i64_e64 s[6:7], v[1:2]
	s_cbranch_execz .LBB16_4
; %bb.2:
	s_load_b32 s2, s[0:1], 0xc5c
	v_lshlrev_b32_e32 v1, 3, v0
	s_mov_b32 s9, 0
	s_delay_alu instid0(VALU_DEP_1) | instskip(NEXT) | instid1(VALU_DEP_1)
	v_add_co_u32 v3, s3, s4, v1
	v_add_co_ci_u32_e64 v4, null, s5, 0, s3
	s_waitcnt lgkmcnt(0)
	s_and_b32 s2, s2, 0xffff
	s_delay_alu instid0(SALU_CYCLE_1)
	v_add_lshl_u32 v1, v0, s2, 2
	s_lshl_b32 s17, s2, 3
	s_lshl_b32 s18, s2, 2
.LBB16_3:                               ; =>This Inner Loop Header: Depth=1
	v_add_co_u32 v5, vcc_lo, s14, v3
	v_add_co_ci_u32_e32 v6, vcc_lo, s15, v4, vcc_lo
	v_add_co_u32 v7, vcc_lo, s12, v3
	v_add_co_ci_u32_e32 v8, vcc_lo, s13, v4, vcc_lo
	v_add_co_u32 v9, vcc_lo, s10, v3
	global_load_b64 v[5:6], v[5:6], off
	global_load_b64 v[7:8], v[7:8], off
	v_add_co_ci_u32_e32 v10, vcc_lo, s11, v4, vcc_lo
	v_cmp_le_i64_e32 vcc_lo, s[6:7], v[1:2]
	v_cmp_lt_u64_e64 s2, 0xffff, v[1:2]
	v_add_co_u32 v3, s3, v3, s17
	s_delay_alu instid0(VALU_DEP_1) | instskip(SKIP_1) | instid1(VALU_DEP_4)
	v_add_co_ci_u32_e64 v4, s3, 0, v4, s3
	v_add_co_u32 v1, s3, v1, s18
	s_or_b32 s2, vcc_lo, s2
	v_add_co_ci_u32_e64 v2, s3, 0, v2, s3
	s_and_b32 s2, exec_lo, s2
	s_delay_alu instid0(SALU_CYCLE_1)
	s_or_b32 s9, s2, s9
	s_waitcnt vmcnt(1)
	v_lshrrev_b32_e32 v11, 16, v5
	s_waitcnt vmcnt(0)
	v_lshrrev_b32_e32 v12, 16, v7
	v_mad_u16 v5, v7, s16, v5
	v_lshrrev_b32_e32 v7, 16, v6
	v_lshrrev_b32_e32 v13, 16, v8
	v_mad_u16 v6, v8, s16, v6
	v_mad_u16 v11, v12, s16, v11
	v_and_b32_e32 v5, 0xffff, v5
	s_delay_alu instid0(VALU_DEP_4) | instskip(NEXT) | instid1(VALU_DEP_4)
	v_mad_u16 v7, v13, s16, v7
	v_and_b32_e32 v6, 0xffff, v6
	s_delay_alu instid0(VALU_DEP_4) | instskip(NEXT) | instid1(VALU_DEP_3)
	v_lshlrev_b32_e32 v8, 16, v11
	v_lshlrev_b32_e32 v7, 16, v7
	s_delay_alu instid0(VALU_DEP_2) | instskip(NEXT) | instid1(VALU_DEP_2)
	v_or_b32_e32 v5, v8, v5
	v_or3_b32 v6, 0, v6, v7
	s_delay_alu instid0(VALU_DEP_2)
	v_or3_b32 v5, v5, 0, 0
	global_store_b64 v[9:10], v[5:6], off
	s_and_not1_b32 exec_lo, exec_lo, s9
	s_cbranch_execnz .LBB16_3
.LBB16_4:
	s_or_b32 exec_lo, exec_lo, s8
	s_mov_b32 s2, 0
.LBB16_5:
	s_delay_alu instid0(SALU_CYCLE_1)
	s_and_not1_b32 vcc_lo, exec_lo, s2
	s_cbranch_vccnz .LBB16_25
; %bb.6:
	v_cmp_lt_i64_e64 s2, s[6:7], 1
	s_delay_alu instid0(VALU_DEP_1)
	s_and_b32 vcc_lo, exec_lo, s2
	s_cbranch_vccnz .LBB16_25
; %bb.7:
	s_load_b32 s0, s[0:1], 0xc5c
	v_dual_mov_b32 v2, 0 :: v_dual_lshlrev_b32 v1, 1, v0
	v_cmp_gt_u64_e64 s1, 0x10000, s[6:7]
	s_delay_alu instid0(VALU_DEP_2) | instskip(NEXT) | instid1(VALU_DEP_1)
	v_add_co_u32 v3, s2, s14, v1
	v_add_co_ci_u32_e64 v4, null, s15, 0, s2
	v_add_co_u32 v5, s2, s12, v1
	s_delay_alu instid0(VALU_DEP_1) | instskip(SKIP_1) | instid1(VALU_DEP_1)
	v_add_co_ci_u32_e64 v6, null, s13, 0, s2
	v_add_co_u32 v7, s2, s10, v1
	v_add_co_ci_u32_e64 v8, null, s11, 0, s2
	s_waitcnt lgkmcnt(0)
	s_and_b32 s0, s0, 0xffff
	s_and_b32 s1, s1, exec_lo
	v_mad_u64_u32 v[13:14], null, s0, 6, v[1:2]
	s_cselect_b32 s9, s7, 0
	s_cselect_b32 s8, s6, 0x10000
	s_lshl_b32 s17, s0, 2
	s_mul_i32 s2, s0, 3
	v_add_co_u32 v1, s3, s17, v1
	s_delay_alu instid0(VALU_DEP_2) | instskip(NEXT) | instid1(VALU_DEP_3)
	v_add_co_u32 v9, vcc_lo, s14, v13
	v_add_co_ci_u32_e32 v10, vcc_lo, s15, v14, vcc_lo
	v_add_co_u32 v11, vcc_lo, s12, v13
	v_add_co_ci_u32_e32 v12, vcc_lo, s13, v14, vcc_lo
	v_add_co_u32 v13, vcc_lo, s10, v13
	v_add_co_ci_u32_e64 v2, null, 0, 0, s3
	v_add_co_ci_u32_e32 v14, vcc_lo, s11, v14, vcc_lo
	v_add_co_u32 v15, s2, s2, v0
	v_add_co_u32 v17, vcc_lo, s14, v1
	v_add_co_ci_u32_e64 v16, null, 0, 0, s2
	v_add_co_u32 v21, s2, v0, s0
	v_add_co_ci_u32_e32 v18, vcc_lo, s15, v2, vcc_lo
	v_add_co_u32 v19, vcc_lo, s12, v1
	v_add_co_ci_u32_e32 v20, vcc_lo, s13, v2, vcc_lo
	v_add_co_u32 v22, vcc_lo, s10, v1
	v_lshlrev_b32_e32 v1, 1, v21
	s_lshl_b32 s1, s0, 1
	v_add_co_ci_u32_e32 v23, vcc_lo, s11, v2, vcc_lo
	v_add_co_u32 v25, s1, s1, v0
	s_delay_alu instid0(VALU_DEP_1) | instskip(SKIP_1) | instid1(VALU_DEP_1)
	v_add_co_ci_u32_e64 v26, null, 0, 0, s1
	v_add_co_u32 v27, s1, s14, v1
	v_add_co_ci_u32_e64 v28, null, s15, 0, s1
	v_add_co_u32 v29, s1, s12, v1
	s_delay_alu instid0(VALU_DEP_1)
	v_add_co_ci_u32_e64 v30, null, s13, 0, s1
	v_add_co_u32 v31, s1, s10, v1
	v_add_co_ci_u32_e64 v24, null, 0, 0, s2
	v_add_co_ci_u32_e64 v32, null, s11, 0, s1
	s_mov_b32 s12, 0
	s_lshl_b32 s13, s0, 3
	s_mov_b64 s[10:11], 0
	s_branch .LBB16_9
.LBB16_8:                               ;   in Loop: Header=BB16_9 Depth=1
	s_or_b32 exec_lo, exec_lo, s0
	v_add_co_u32 v3, vcc_lo, v3, s13
	v_add_co_ci_u32_e32 v4, vcc_lo, 0, v4, vcc_lo
	v_add_co_u32 v5, vcc_lo, v5, s13
	v_add_co_ci_u32_e32 v6, vcc_lo, 0, v6, vcc_lo
	;; [unrolled: 2-line block ×9, first 2 shown]
	s_add_u32 s10, s10, s17
	v_add_co_u32 v27, vcc_lo, v27, s13
	s_addc_u32 s11, s11, 0
	v_add_co_ci_u32_e32 v28, vcc_lo, 0, v28, vcc_lo
	v_cmp_ge_i64_e64 s0, s[10:11], s[6:7]
	v_cmp_lt_u64_e64 s1, 0xffff, s[10:11]
	v_add_co_u32 v29, vcc_lo, v29, s13
	v_add_co_ci_u32_e32 v30, vcc_lo, 0, v30, vcc_lo
	v_add_co_u32 v31, vcc_lo, v31, s13
	v_add_co_ci_u32_e32 v32, vcc_lo, 0, v32, vcc_lo
	s_or_b32 s0, s0, s1
	s_delay_alu instid0(SALU_CYCLE_1)
	s_and_b32 vcc_lo, exec_lo, s0
	s_cbranch_vccnz .LBB16_25
.LBB16_9:                               ; =>This Inner Loop Header: Depth=1
	v_add_co_u32 v1, s0, v0, s10
	s_delay_alu instid0(VALU_DEP_1) | instskip(SKIP_2) | instid1(VALU_DEP_2)
	v_add_co_ci_u32_e64 v2, null, 0, s11, s0
	s_waitcnt vmcnt(0)
	v_mov_b32_e32 v33, 0
	v_cmp_gt_u64_e32 vcc_lo, s[8:9], v[1:2]
	v_mov_b32_e32 v1, 0
	v_mov_b32_e32 v2, 0
	s_and_saveexec_b32 s1, vcc_lo
	s_cbranch_execz .LBB16_11
; %bb.10:                               ;   in Loop: Header=BB16_9 Depth=1
	v_add_co_u32 v1, s0, v3, s4
	s_delay_alu instid0(VALU_DEP_1) | instskip(SKIP_2) | instid1(VALU_DEP_1)
	v_add_co_ci_u32_e64 v2, s0, s5, v4, s0
	global_load_u16 v34, v[1:2], off
	v_add_co_u32 v1, s0, v5, s4
	v_add_co_ci_u32_e64 v2, s0, s5, v6, s0
	global_load_u16 v33, v[1:2], off
	s_waitcnt vmcnt(1)
	v_dual_mov_b32 v2, s12 :: v_dual_and_b32 v1, 0xffff, v34
.LBB16_11:                              ;   in Loop: Header=BB16_9 Depth=1
	s_or_b32 exec_lo, exec_lo, s1
	v_add_co_u32 v34, s0, v21, s10
	s_delay_alu instid0(VALU_DEP_1) | instskip(NEXT) | instid1(VALU_DEP_1)
	v_add_co_ci_u32_e64 v35, s0, s11, v24, s0
	v_cmp_gt_u64_e64 s0, s[8:9], v[34:35]
	v_dual_mov_b32 v34, 0 :: v_dual_mov_b32 v35, 0
	s_delay_alu instid0(VALU_DEP_2)
	s_and_saveexec_b32 s2, s0
	s_cbranch_execz .LBB16_13
; %bb.12:                               ;   in Loop: Header=BB16_9 Depth=1
	v_add_co_u32 v35, s1, v27, s4
	s_delay_alu instid0(VALU_DEP_1) | instskip(SKIP_2) | instid1(VALU_DEP_1)
	v_add_co_ci_u32_e64 v36, s1, s5, v28, s1
	global_load_u16 v37, v[35:36], off
	v_add_co_u32 v35, s1, v29, s4
	v_add_co_ci_u32_e64 v36, s1, s5, v30, s1
	global_load_u16 v35, v[35:36], off
	s_waitcnt vmcnt(1)
	v_lshl_or_b32 v1, v37, 16, v1
.LBB16_13:                              ;   in Loop: Header=BB16_9 Depth=1
	s_or_b32 exec_lo, exec_lo, s2
	v_add_co_u32 v36, s1, v25, s10
	s_delay_alu instid0(VALU_DEP_1) | instskip(NEXT) | instid1(VALU_DEP_1)
	v_add_co_ci_u32_e64 v37, s1, s11, v26, s1
	v_cmp_gt_u64_e64 s1, s[8:9], v[36:37]
	s_delay_alu instid0(VALU_DEP_1)
	s_and_saveexec_b32 s3, s1
	s_cbranch_execz .LBB16_15
; %bb.14:                               ;   in Loop: Header=BB16_9 Depth=1
	v_add_co_u32 v36, s2, v17, s4
	s_delay_alu instid0(VALU_DEP_1) | instskip(SKIP_2) | instid1(VALU_DEP_1)
	v_add_co_ci_u32_e64 v37, s2, s5, v18, s2
	global_load_u16 v38, v[36:37], off
	v_add_co_u32 v36, s2, v19, s4
	v_add_co_ci_u32_e64 v37, s2, s5, v20, s2
	global_load_u16 v34, v[36:37], off
	s_waitcnt vmcnt(1)
	v_or_b32_e32 v2, v38, v2
.LBB16_15:                              ;   in Loop: Header=BB16_9 Depth=1
	s_or_b32 exec_lo, exec_lo, s3
	v_add_co_u32 v36, s2, v15, s10
	s_delay_alu instid0(VALU_DEP_1) | instskip(NEXT) | instid1(VALU_DEP_1)
	v_add_co_ci_u32_e64 v37, s2, s11, v16, s2
	v_cmp_gt_u64_e64 s2, s[8:9], v[36:37]
	v_mov_b32_e32 v36, 0
	s_delay_alu instid0(VALU_DEP_2)
	s_and_saveexec_b32 s14, s2
	s_cbranch_execnz .LBB16_20
; %bb.16:                               ;   in Loop: Header=BB16_9 Depth=1
	s_or_b32 exec_lo, exec_lo, s14
	s_and_saveexec_b32 s3, vcc_lo
	s_cbranch_execnz .LBB16_21
.LBB16_17:                              ;   in Loop: Header=BB16_9 Depth=1
	s_or_b32 exec_lo, exec_lo, s3
	s_and_saveexec_b32 s3, s0
	s_cbranch_execnz .LBB16_22
.LBB16_18:                              ;   in Loop: Header=BB16_9 Depth=1
	s_or_b32 exec_lo, exec_lo, s3
	s_and_saveexec_b32 s0, s1
	s_cbranch_execnz .LBB16_23
.LBB16_19:                              ;   in Loop: Header=BB16_9 Depth=1
	s_or_b32 exec_lo, exec_lo, s0
	s_and_saveexec_b32 s0, s2
	s_cbranch_execz .LBB16_8
	s_branch .LBB16_24
.LBB16_20:                              ;   in Loop: Header=BB16_9 Depth=1
	v_add_co_u32 v36, s3, v9, s4
	s_delay_alu instid0(VALU_DEP_1) | instskip(SKIP_3) | instid1(VALU_DEP_1)
	v_add_co_ci_u32_e64 v37, s3, s5, v10, s3
	v_mov_b32_e32 v38, 0
	global_load_d16_hi_b16 v38, v[36:37], off
	v_add_co_u32 v36, s3, v11, s4
	v_add_co_ci_u32_e64 v37, s3, s5, v12, s3
	global_load_u16 v36, v[36:37], off
	s_waitcnt vmcnt(1)
	v_or_b32_e32 v2, v38, v2
	s_or_b32 exec_lo, exec_lo, s14
	s_and_saveexec_b32 s3, vcc_lo
	s_cbranch_execz .LBB16_17
.LBB16_21:                              ;   in Loop: Header=BB16_9 Depth=1
	v_add_co_u32 v37, vcc_lo, v7, s4
	v_add_co_ci_u32_e32 v38, vcc_lo, s5, v8, vcc_lo
	s_waitcnt vmcnt(0)
	v_mad_u16 v33, v33, s16, v1
	global_store_b16 v[37:38], v33, off
	s_or_b32 exec_lo, exec_lo, s3
	s_and_saveexec_b32 s3, s0
	s_cbranch_execz .LBB16_18
.LBB16_22:                              ;   in Loop: Header=BB16_9 Depth=1
	v_lshrrev_b32_e32 v1, 16, v1
	v_add_co_u32 v37, vcc_lo, v31, s4
	v_add_co_ci_u32_e32 v38, vcc_lo, s5, v32, vcc_lo
	s_waitcnt vmcnt(0)
	s_delay_alu instid0(VALU_DEP_3)
	v_mad_u16 v1, v35, s16, v1
	global_store_b16 v[37:38], v1, off
	s_or_b32 exec_lo, exec_lo, s3
	s_and_saveexec_b32 s0, s1
	s_cbranch_execz .LBB16_19
.LBB16_23:                              ;   in Loop: Header=BB16_9 Depth=1
	s_waitcnt vmcnt(0)
	v_add_co_u32 v33, vcc_lo, v22, s4
	v_mad_u16 v1, v34, s16, v2
	v_add_co_ci_u32_e32 v34, vcc_lo, s5, v23, vcc_lo
	global_store_b16 v[33:34], v1, off
	s_or_b32 exec_lo, exec_lo, s0
	s_and_saveexec_b32 s0, s2
	s_cbranch_execz .LBB16_8
.LBB16_24:                              ;   in Loop: Header=BB16_9 Depth=1
	v_lshrrev_b32_e32 v1, 16, v2
	s_waitcnt vmcnt(0)
	s_delay_alu instid0(VALU_DEP_1)
	v_mad_u16 v33, v36, s16, v1
	v_add_co_u32 v1, vcc_lo, v13, s4
	v_add_co_ci_u32_e32 v2, vcc_lo, s5, v14, vcc_lo
	global_store_b16 v[1:2], v33, off
	s_branch .LBB16_8
.LBB16_25:
	s_nop 0
	s_sendmsg sendmsg(MSG_DEALLOC_VGPRS)
	s_endpgm
	.section	.rodata,"a",@progbits
	.p2align	6, 0x0
	.amdhsa_kernel _ZN2at6native12_GLOBAL__N_125multi_tensor_apply_kernelINS1_18TensorListMetadataILi3EEENS1_24BinaryOpListAlphaFunctorIsLi3ELi2ELi2EEEJSt4plusIsEsEEEvT_T0_DpT1_
		.amdhsa_group_segment_fixed_size 0
		.amdhsa_private_segment_fixed_size 0
		.amdhsa_kernarg_size 3408
		.amdhsa_user_sgpr_count 15
		.amdhsa_user_sgpr_dispatch_ptr 0
		.amdhsa_user_sgpr_queue_ptr 0
		.amdhsa_user_sgpr_kernarg_segment_ptr 1
		.amdhsa_user_sgpr_dispatch_id 0
		.amdhsa_user_sgpr_private_segment_size 0
		.amdhsa_wavefront_size32 1
		.amdhsa_uses_dynamic_stack 0
		.amdhsa_enable_private_segment 0
		.amdhsa_system_sgpr_workgroup_id_x 1
		.amdhsa_system_sgpr_workgroup_id_y 0
		.amdhsa_system_sgpr_workgroup_id_z 0
		.amdhsa_system_sgpr_workgroup_info 0
		.amdhsa_system_vgpr_workitem_id 0
		.amdhsa_next_free_vgpr 39
		.amdhsa_next_free_sgpr 22
		.amdhsa_reserve_vcc 1
		.amdhsa_float_round_mode_32 0
		.amdhsa_float_round_mode_16_64 0
		.amdhsa_float_denorm_mode_32 3
		.amdhsa_float_denorm_mode_16_64 3
		.amdhsa_dx10_clamp 1
		.amdhsa_ieee_mode 1
		.amdhsa_fp16_overflow 0
		.amdhsa_workgroup_processor_mode 1
		.amdhsa_memory_ordered 1
		.amdhsa_forward_progress 0
		.amdhsa_shared_vgpr_count 0
		.amdhsa_exception_fp_ieee_invalid_op 0
		.amdhsa_exception_fp_denorm_src 0
		.amdhsa_exception_fp_ieee_div_zero 0
		.amdhsa_exception_fp_ieee_overflow 0
		.amdhsa_exception_fp_ieee_underflow 0
		.amdhsa_exception_fp_ieee_inexact 0
		.amdhsa_exception_int_div_zero 0
	.end_amdhsa_kernel
	.section	.text._ZN2at6native12_GLOBAL__N_125multi_tensor_apply_kernelINS1_18TensorListMetadataILi3EEENS1_24BinaryOpListAlphaFunctorIsLi3ELi2ELi2EEEJSt4plusIsEsEEEvT_T0_DpT1_,"axG",@progbits,_ZN2at6native12_GLOBAL__N_125multi_tensor_apply_kernelINS1_18TensorListMetadataILi3EEENS1_24BinaryOpListAlphaFunctorIsLi3ELi2ELi2EEEJSt4plusIsEsEEEvT_T0_DpT1_,comdat
.Lfunc_end16:
	.size	_ZN2at6native12_GLOBAL__N_125multi_tensor_apply_kernelINS1_18TensorListMetadataILi3EEENS1_24BinaryOpListAlphaFunctorIsLi3ELi2ELi2EEEJSt4plusIsEsEEEvT_T0_DpT1_, .Lfunc_end16-_ZN2at6native12_GLOBAL__N_125multi_tensor_apply_kernelINS1_18TensorListMetadataILi3EEENS1_24BinaryOpListAlphaFunctorIsLi3ELi2ELi2EEEJSt4plusIsEsEEEvT_T0_DpT1_
                                        ; -- End function
	.section	.AMDGPU.csdata,"",@progbits
; Kernel info:
; codeLenInByte = 1856
; NumSgprs: 24
; NumVgprs: 39
; ScratchSize: 0
; MemoryBound: 0
; FloatMode: 240
; IeeeMode: 1
; LDSByteSize: 0 bytes/workgroup (compile time only)
; SGPRBlocks: 2
; VGPRBlocks: 4
; NumSGPRsForWavesPerEU: 24
; NumVGPRsForWavesPerEU: 39
; Occupancy: 16
; WaveLimiterHint : 0
; COMPUTE_PGM_RSRC2:SCRATCH_EN: 0
; COMPUTE_PGM_RSRC2:USER_SGPR: 15
; COMPUTE_PGM_RSRC2:TRAP_HANDLER: 0
; COMPUTE_PGM_RSRC2:TGID_X_EN: 1
; COMPUTE_PGM_RSRC2:TGID_Y_EN: 0
; COMPUTE_PGM_RSRC2:TGID_Z_EN: 0
; COMPUTE_PGM_RSRC2:TIDIG_COMP_CNT: 0
	.section	.text._ZN2at6native12_GLOBAL__N_125multi_tensor_apply_kernelINS1_18TensorListMetadataILi3EEENS1_24BinaryOpListAlphaFunctorIdLi3ELi2ELi2EEEJSt4plusIdEdEEEvT_T0_DpT1_,"axG",@progbits,_ZN2at6native12_GLOBAL__N_125multi_tensor_apply_kernelINS1_18TensorListMetadataILi3EEENS1_24BinaryOpListAlphaFunctorIdLi3ELi2ELi2EEEJSt4plusIdEdEEEvT_T0_DpT1_,comdat
	.globl	_ZN2at6native12_GLOBAL__N_125multi_tensor_apply_kernelINS1_18TensorListMetadataILi3EEENS1_24BinaryOpListAlphaFunctorIdLi3ELi2ELi2EEEJSt4plusIdEdEEEvT_T0_DpT1_ ; -- Begin function _ZN2at6native12_GLOBAL__N_125multi_tensor_apply_kernelINS1_18TensorListMetadataILi3EEENS1_24BinaryOpListAlphaFunctorIdLi3ELi2ELi2EEEJSt4plusIdEdEEEvT_T0_DpT1_
	.p2align	8
	.type	_ZN2at6native12_GLOBAL__N_125multi_tensor_apply_kernelINS1_18TensorListMetadataILi3EEENS1_24BinaryOpListAlphaFunctorIdLi3ELi2ELi2EEEJSt4plusIdEdEEEvT_T0_DpT1_,@function
_ZN2at6native12_GLOBAL__N_125multi_tensor_apply_kernelINS1_18TensorListMetadataILi3EEENS1_24BinaryOpListAlphaFunctorIdLi3ELi2ELi2EEEJSt4plusIdEdEEEvT_T0_DpT1_: ; @_ZN2at6native12_GLOBAL__N_125multi_tensor_apply_kernelINS1_18TensorListMetadataILi3EEENS1_24BinaryOpListAlphaFunctorIdLi3ELi2ELi2EEEJSt4plusIdEdEEEvT_T0_DpT1_
; %bb.0:
	v_mov_b32_e32 v1, s15
	s_add_u32 s2, s0, s15
	s_mul_hi_u32 s3, s15, 3
	s_mul_i32 s15, s15, 3
	s_addc_u32 s4, s1, 0
	global_load_u8 v1, v1, s[0:1] offset:1536
	s_add_u32 s2, s2, s15
	s_addc_u32 s3, s4, s3
	s_mov_b32 s23, 0
	s_load_b32 s2, s[2:3], 0x740
	s_mov_b32 s25, s23
	s_waitcnt vmcnt(0)
	v_readfirstlane_b32 s3, v1
	s_delay_alu instid0(VALU_DEP_1)
	s_lshl_b32 s3, s3, 3
	s_clause 0x3
	s_load_b64 s[12:13], s[0:1], s3 offset:0x0
	s_load_b64 s[14:15], s[0:1], s3 offset:0x180
	;; [unrolled: 1-line block ×4, first 2 shown]
	s_waitcnt lgkmcnt(0)
	s_ashr_i32 s3, s2, 31
	s_delay_alu instid0(SALU_CYCLE_1) | instskip(NEXT) | instid1(SALU_CYCLE_1)
	s_lshl_b64 s[4:5], s[2:3], 19
	s_add_u32 s10, s12, s4
	s_addc_u32 s11, s13, s5
	s_and_b32 s22, s10, 31
	s_add_u32 s18, s14, s4
	s_addc_u32 s19, s15, s5
	s_add_u32 s20, s16, s4
	s_addc_u32 s21, s17, s5
	s_or_b32 s6, s20, s18
	s_delay_alu instid0(SALU_CYCLE_1) | instskip(NEXT) | instid1(SALU_CYCLE_1)
	s_and_b32 s6, s6, 31
	s_cmp_lg_u32 s6, 0
	s_cselect_b32 s26, -1, 0
	s_lshl_b64 s[2:3], s[2:3], 16
	s_delay_alu instid0(SALU_CYCLE_1) | instskip(SKIP_4) | instid1(SALU_CYCLE_1)
	s_sub_u32 s6, s8, s2
	s_subb_u32 s7, s9, s3
	s_and_b32 s24, s8, 3
	s_load_b64 s[8:9], s[0:1], 0xc50
	s_or_b64 s[2:3], s[22:23], s[24:25]
	s_cmp_lg_u64 s[2:3], 0
	s_cselect_b32 s2, -1, 0
	s_delay_alu instid0(SALU_CYCLE_1) | instskip(NEXT) | instid1(SALU_CYCLE_1)
	s_or_b32 s2, s26, s2
	s_and_not1_b32 vcc_lo, exec_lo, s2
	s_mov_b32 s2, -1
	s_cbranch_vccz .LBB17_5
; %bb.1:
	v_dual_mov_b32 v2, 0 :: v_dual_lshlrev_b32 v1, 2, v0
	s_mov_b32 s22, exec_lo
	s_delay_alu instid0(VALU_DEP_1)
	v_cmpx_gt_i64_e64 s[6:7], v[1:2]
	s_cbranch_execz .LBB17_4
; %bb.2:
	s_load_b32 s2, s[0:1], 0xc64
	v_lshlrev_b32_e32 v3, 5, v0
	s_waitcnt lgkmcnt(0)
	s_and_b32 s2, s2, 0xffff
	s_delay_alu instid0(SALU_CYCLE_1)
	v_add_lshl_u32 v1, v0, s2, 2
	s_lshl_b32 s24, s2, 2
	s_lshl_b32 s25, s2, 5
.LBB17_3:                               ; =>This Inner Loop Header: Depth=1
	v_add_co_u32 v12, s2, s10, v3
	s_delay_alu instid0(VALU_DEP_1) | instskip(SKIP_1) | instid1(VALU_DEP_1)
	v_add_co_ci_u32_e64 v13, null, s11, 0, s2
	v_add_co_u32 v16, s2, s18, v3
	v_add_co_ci_u32_e64 v17, null, s19, 0, s2
	global_load_b128 v[4:7], v[12:13], off
	global_load_b128 v[8:11], v[16:17], off
	global_load_b128 v[12:15], v[12:13], off offset:16
	global_load_b128 v[16:19], v[16:17], off offset:16
	v_cmp_le_i64_e32 vcc_lo, s[6:7], v[1:2]
	v_cmp_lt_u64_e64 s2, 0xffff, v[1:2]
	s_delay_alu instid0(VALU_DEP_1)
	s_or_b32 s2, vcc_lo, s2
	s_add_u32 s10, s10, s25
	s_addc_u32 s11, s11, 0
	s_waitcnt vmcnt(2)
	v_fma_f64 v[4:5], v[8:9], s[8:9], v[4:5]
	v_fma_f64 v[6:7], v[10:11], s[8:9], v[6:7]
	s_waitcnt vmcnt(0)
	v_fma_f64 v[8:9], v[16:17], s[8:9], v[12:13]
	v_fma_f64 v[10:11], v[18:19], s[8:9], v[14:15]
	v_add_co_u32 v12, s3, s20, v3
	s_add_u32 s20, s20, s25
	v_add_co_ci_u32_e64 v13, null, s21, 0, s3
	v_add_co_u32 v1, s3, v1, s24
	s_addc_u32 s21, s21, 0
	s_add_u32 s18, s18, s25
	v_add_co_ci_u32_e64 v2, s3, 0, v2, s3
	s_addc_u32 s19, s19, 0
	s_and_b32 s2, exec_lo, s2
	s_clause 0x1
	global_store_b128 v[12:13], v[4:7], off
	global_store_b128 v[12:13], v[8:11], off offset:16
	s_or_b32 s23, s2, s23
	s_delay_alu instid0(SALU_CYCLE_1)
	s_and_not1_b32 exec_lo, exec_lo, s23
	s_cbranch_execnz .LBB17_3
.LBB17_4:
	s_or_b32 exec_lo, exec_lo, s22
	s_mov_b32 s2, 0
.LBB17_5:
	s_delay_alu instid0(SALU_CYCLE_1)
	s_and_not1_b32 vcc_lo, exec_lo, s2
	s_cbranch_vccnz .LBB17_25
; %bb.6:
	v_cmp_lt_i64_e64 s2, s[6:7], 1
	s_delay_alu instid0(VALU_DEP_1)
	s_and_b32 vcc_lo, exec_lo, s2
	s_cbranch_vccnz .LBB17_25
; %bb.7:
	s_load_b32 s0, s[0:1], 0xc64
	v_dual_mov_b32 v2, 0 :: v_dual_lshlrev_b32 v1, 3, v0
	v_cmp_gt_u64_e64 s1, 0x10000, s[6:7]
	s_delay_alu instid0(VALU_DEP_2) | instskip(NEXT) | instid1(VALU_DEP_1)
	v_add_co_u32 v17, s2, s12, v1
	v_add_co_ci_u32_e64 v18, null, s13, 0, s2
	v_add_co_u32 v19, s2, s14, v1
	s_delay_alu instid0(VALU_DEP_1) | instskip(SKIP_1) | instid1(VALU_DEP_1)
	v_add_co_ci_u32_e64 v20, null, s15, 0, s2
	v_add_co_u32 v21, s2, s16, v1
	v_add_co_ci_u32_e64 v22, null, s17, 0, s2
	s_waitcnt lgkmcnt(0)
	s_and_b32 s0, s0, 0xffff
	s_and_b32 s1, s1, exec_lo
	v_mad_u64_u32 v[3:4], null, s0, 24, v[1:2]
	s_cselect_b32 s11, s7, 0
	s_cselect_b32 s10, s6, 0x10000
	s_lshl_b32 s3, s0, 4
	s_mul_i32 s2, s0, 3
	v_add_co_u32 v1, s3, s3, v1
	s_delay_alu instid0(VALU_DEP_2) | instskip(NEXT) | instid1(VALU_DEP_3)
	v_add_co_u32 v23, vcc_lo, s12, v3
	v_add_co_ci_u32_e32 v24, vcc_lo, s13, v4, vcc_lo
	v_add_co_u32 v25, vcc_lo, s14, v3
	v_add_co_ci_u32_e32 v26, vcc_lo, s15, v4, vcc_lo
	v_add_co_u32 v27, vcc_lo, s16, v3
	v_add_co_ci_u32_e64 v2, null, 0, 0, s3
	v_add_co_ci_u32_e32 v28, vcc_lo, s17, v4, vcc_lo
	v_add_co_u32 v29, s2, s2, v0
	v_add_co_u32 v31, vcc_lo, s12, v1
	v_add_co_ci_u32_e64 v30, null, 0, 0, s2
	v_add_co_u32 v35, s2, v0, s0
	v_add_co_ci_u32_e32 v32, vcc_lo, s13, v2, vcc_lo
	v_add_co_u32 v33, vcc_lo, s14, v1
	v_add_co_ci_u32_e32 v34, vcc_lo, s15, v2, vcc_lo
	v_add_co_u32 v36, vcc_lo, s16, v1
	v_lshlrev_b32_e32 v1, 3, v35
	s_lshl_b32 s1, s0, 1
	v_add_co_ci_u32_e32 v37, vcc_lo, s17, v2, vcc_lo
	v_add_co_u32 v39, s1, s1, v0
	s_delay_alu instid0(VALU_DEP_1) | instskip(SKIP_1) | instid1(VALU_DEP_1)
	v_add_co_ci_u32_e64 v40, null, 0, 0, s1
	v_add_co_u32 v41, s1, s12, v1
	v_add_co_ci_u32_e64 v42, null, s13, 0, s1
	v_add_co_u32 v43, s1, s14, v1
	s_delay_alu instid0(VALU_DEP_1)
	v_add_co_ci_u32_e64 v44, null, s15, 0, s1
	v_add_co_u32 v45, s1, s16, v1
	v_add_co_ci_u32_e64 v38, null, 0, 0, s2
	v_add_co_ci_u32_e64 v46, null, s17, 0, s1
	s_lshl_b32 s14, s0, 2
	s_lshl_b32 s15, s0, 5
	s_mov_b64 s[12:13], 0
	s_branch .LBB17_9
.LBB17_8:                               ;   in Loop: Header=BB17_9 Depth=1
	s_or_b32 exec_lo, exec_lo, s0
	v_add_co_u32 v17, vcc_lo, v17, s15
	v_add_co_ci_u32_e32 v18, vcc_lo, 0, v18, vcc_lo
	v_add_co_u32 v19, vcc_lo, v19, s15
	v_add_co_ci_u32_e32 v20, vcc_lo, 0, v20, vcc_lo
	;; [unrolled: 2-line block ×9, first 2 shown]
	s_add_u32 s12, s12, s14
	v_add_co_u32 v41, vcc_lo, v41, s15
	s_addc_u32 s13, s13, 0
	v_add_co_ci_u32_e32 v42, vcc_lo, 0, v42, vcc_lo
	v_cmp_ge_i64_e64 s0, s[12:13], s[6:7]
	v_cmp_lt_u64_e64 s1, 0xffff, s[12:13]
	v_add_co_u32 v43, vcc_lo, v43, s15
	v_add_co_ci_u32_e32 v44, vcc_lo, 0, v44, vcc_lo
	v_add_co_u32 v45, vcc_lo, v45, s15
	v_add_co_ci_u32_e32 v46, vcc_lo, 0, v46, vcc_lo
	s_or_b32 s0, s0, s1
	s_delay_alu instid0(SALU_CYCLE_1)
	s_and_b32 vcc_lo, exec_lo, s0
	s_cbranch_vccnz .LBB17_25
.LBB17_9:                               ; =>This Inner Loop Header: Depth=1
	s_waitcnt vmcnt(1)
	v_add_co_u32 v3, s0, v0, s12
	s_delay_alu instid0(VALU_DEP_1) | instskip(SKIP_2) | instid1(VALU_DEP_3)
	v_add_co_ci_u32_e64 v4, null, 0, s13, s0
	v_mov_b32_e32 v1, 0
	v_mov_b32_e32 v2, 0
	v_cmp_gt_u64_e32 vcc_lo, s[10:11], v[3:4]
	s_delay_alu instid0(VALU_DEP_2)
	v_dual_mov_b32 v4, v2 :: v_dual_mov_b32 v3, v1
	s_waitcnt vmcnt(0)
	v_dual_mov_b32 v6, v2 :: v_dual_mov_b32 v5, v1
	s_and_saveexec_b32 s1, vcc_lo
	s_cbranch_execz .LBB17_11
; %bb.10:                               ;   in Loop: Header=BB17_9 Depth=1
	v_add_co_u32 v3, s0, v17, s4
	s_delay_alu instid0(VALU_DEP_1) | instskip(SKIP_1) | instid1(VALU_DEP_1)
	v_add_co_ci_u32_e64 v4, s0, s5, v18, s0
	v_add_co_u32 v5, s0, v19, s4
	v_add_co_ci_u32_e64 v6, s0, s5, v20, s0
	global_load_b64 v[3:4], v[3:4], off
	global_load_b64 v[5:6], v[5:6], off
.LBB17_11:                              ;   in Loop: Header=BB17_9 Depth=1
	s_or_b32 exec_lo, exec_lo, s1
	v_add_co_u32 v7, s0, v35, s12
	s_delay_alu instid0(VALU_DEP_1) | instskip(NEXT) | instid1(VALU_DEP_1)
	v_add_co_ci_u32_e64 v8, s0, s13, v38, s0
	v_cmp_gt_u64_e64 s0, s[10:11], v[7:8]
	v_dual_mov_b32 v8, v2 :: v_dual_mov_b32 v7, v1
	s_delay_alu instid0(VALU_DEP_2)
	s_and_saveexec_b32 s2, s0
	s_cbranch_execz .LBB17_13
; %bb.12:                               ;   in Loop: Header=BB17_9 Depth=1
	v_add_co_u32 v1, s1, v41, s4
	s_delay_alu instid0(VALU_DEP_1) | instskip(SKIP_1) | instid1(VALU_DEP_1)
	v_add_co_ci_u32_e64 v2, s1, s5, v42, s1
	v_add_co_u32 v7, s1, v43, s4
	v_add_co_ci_u32_e64 v8, s1, s5, v44, s1
	global_load_b64 v[1:2], v[1:2], off
	global_load_b64 v[7:8], v[7:8], off
.LBB17_13:                              ;   in Loop: Header=BB17_9 Depth=1
	s_or_b32 exec_lo, exec_lo, s2
	v_add_co_u32 v11, s1, v39, s12
	s_delay_alu instid0(VALU_DEP_1) | instskip(SKIP_2) | instid1(VALU_DEP_3)
	v_add_co_ci_u32_e64 v12, s1, s13, v40, s1
	v_mov_b32_e32 v9, 0
	v_mov_b32_e32 v10, 0
	v_cmp_gt_u64_e64 s1, s[10:11], v[11:12]
	s_delay_alu instid0(VALU_DEP_2) | instskip(SKIP_1) | instid1(VALU_DEP_3)
	v_dual_mov_b32 v12, v10 :: v_dual_mov_b32 v11, v9
	v_dual_mov_b32 v14, v10 :: v_dual_mov_b32 v13, v9
	s_and_saveexec_b32 s3, s1
	s_cbranch_execz .LBB17_15
; %bb.14:                               ;   in Loop: Header=BB17_9 Depth=1
	v_add_co_u32 v11, s2, v31, s4
	s_delay_alu instid0(VALU_DEP_1) | instskip(SKIP_1) | instid1(VALU_DEP_1)
	v_add_co_ci_u32_e64 v12, s2, s5, v32, s2
	v_add_co_u32 v13, s2, v33, s4
	v_add_co_ci_u32_e64 v14, s2, s5, v34, s2
	global_load_b64 v[11:12], v[11:12], off
	global_load_b64 v[13:14], v[13:14], off
.LBB17_15:                              ;   in Loop: Header=BB17_9 Depth=1
	s_or_b32 exec_lo, exec_lo, s3
	v_add_co_u32 v15, s2, v29, s12
	s_delay_alu instid0(VALU_DEP_1) | instskip(NEXT) | instid1(VALU_DEP_1)
	v_add_co_ci_u32_e64 v16, s2, s13, v30, s2
	v_cmp_gt_u64_e64 s2, s[10:11], v[15:16]
	v_dual_mov_b32 v16, v10 :: v_dual_mov_b32 v15, v9
	s_delay_alu instid0(VALU_DEP_2)
	s_and_saveexec_b32 s16, s2
	s_cbranch_execnz .LBB17_20
; %bb.16:                               ;   in Loop: Header=BB17_9 Depth=1
	s_or_b32 exec_lo, exec_lo, s16
	s_and_saveexec_b32 s3, vcc_lo
	s_cbranch_execnz .LBB17_21
.LBB17_17:                              ;   in Loop: Header=BB17_9 Depth=1
	s_or_b32 exec_lo, exec_lo, s3
	s_and_saveexec_b32 s3, s0
	s_cbranch_execnz .LBB17_22
.LBB17_18:                              ;   in Loop: Header=BB17_9 Depth=1
	s_or_b32 exec_lo, exec_lo, s3
	s_and_saveexec_b32 s0, s1
	s_cbranch_execnz .LBB17_23
.LBB17_19:                              ;   in Loop: Header=BB17_9 Depth=1
	s_or_b32 exec_lo, exec_lo, s0
	s_and_saveexec_b32 s0, s2
	s_cbranch_execz .LBB17_8
	s_branch .LBB17_24
.LBB17_20:                              ;   in Loop: Header=BB17_9 Depth=1
	v_add_co_u32 v9, s3, v23, s4
	s_delay_alu instid0(VALU_DEP_1) | instskip(SKIP_1) | instid1(VALU_DEP_1)
	v_add_co_ci_u32_e64 v10, s3, s5, v24, s3
	v_add_co_u32 v15, s3, v25, s4
	v_add_co_ci_u32_e64 v16, s3, s5, v26, s3
	global_load_b64 v[9:10], v[9:10], off
	global_load_b64 v[15:16], v[15:16], off
	s_or_b32 exec_lo, exec_lo, s16
	s_and_saveexec_b32 s3, vcc_lo
	s_cbranch_execz .LBB17_17
.LBB17_21:                              ;   in Loop: Header=BB17_9 Depth=1
	s_waitcnt vmcnt(0)
	v_fma_f64 v[3:4], v[5:6], s[8:9], v[3:4]
	v_add_co_u32 v5, vcc_lo, v21, s4
	v_add_co_ci_u32_e32 v6, vcc_lo, s5, v22, vcc_lo
	global_store_b64 v[5:6], v[3:4], off
	s_or_b32 exec_lo, exec_lo, s3
	s_and_saveexec_b32 s3, s0
	s_cbranch_execz .LBB17_18
.LBB17_22:                              ;   in Loop: Header=BB17_9 Depth=1
	s_waitcnt vmcnt(0)
	v_fma_f64 v[1:2], v[7:8], s[8:9], v[1:2]
	v_add_co_u32 v3, vcc_lo, v45, s4
	v_add_co_ci_u32_e32 v4, vcc_lo, s5, v46, vcc_lo
	global_store_b64 v[3:4], v[1:2], off
	s_or_b32 exec_lo, exec_lo, s3
	s_and_saveexec_b32 s0, s1
	s_cbranch_execz .LBB17_19
.LBB17_23:                              ;   in Loop: Header=BB17_9 Depth=1
	s_waitcnt vmcnt(0)
	v_fma_f64 v[1:2], v[13:14], s[8:9], v[11:12]
	v_add_co_u32 v3, vcc_lo, v36, s4
	v_add_co_ci_u32_e32 v4, vcc_lo, s5, v37, vcc_lo
	global_store_b64 v[3:4], v[1:2], off
	s_or_b32 exec_lo, exec_lo, s0
	s_and_saveexec_b32 s0, s2
	s_cbranch_execz .LBB17_8
.LBB17_24:                              ;   in Loop: Header=BB17_9 Depth=1
	s_waitcnt vmcnt(0)
	v_fma_f64 v[1:2], v[15:16], s[8:9], v[9:10]
	v_add_co_u32 v3, vcc_lo, v27, s4
	v_add_co_ci_u32_e32 v4, vcc_lo, s5, v28, vcc_lo
	global_store_b64 v[3:4], v[1:2], off
	s_branch .LBB17_8
.LBB17_25:
	s_nop 0
	s_sendmsg sendmsg(MSG_DEALLOC_VGPRS)
	s_endpgm
	.section	.rodata,"a",@progbits
	.p2align	6, 0x0
	.amdhsa_kernel _ZN2at6native12_GLOBAL__N_125multi_tensor_apply_kernelINS1_18TensorListMetadataILi3EEENS1_24BinaryOpListAlphaFunctorIdLi3ELi2ELi2EEEJSt4plusIdEdEEEvT_T0_DpT1_
		.amdhsa_group_segment_fixed_size 0
		.amdhsa_private_segment_fixed_size 0
		.amdhsa_kernarg_size 3416
		.amdhsa_user_sgpr_count 15
		.amdhsa_user_sgpr_dispatch_ptr 0
		.amdhsa_user_sgpr_queue_ptr 0
		.amdhsa_user_sgpr_kernarg_segment_ptr 1
		.amdhsa_user_sgpr_dispatch_id 0
		.amdhsa_user_sgpr_private_segment_size 0
		.amdhsa_wavefront_size32 1
		.amdhsa_uses_dynamic_stack 0
		.amdhsa_enable_private_segment 0
		.amdhsa_system_sgpr_workgroup_id_x 1
		.amdhsa_system_sgpr_workgroup_id_y 0
		.amdhsa_system_sgpr_workgroup_id_z 0
		.amdhsa_system_sgpr_workgroup_info 0
		.amdhsa_system_vgpr_workitem_id 0
		.amdhsa_next_free_vgpr 47
		.amdhsa_next_free_sgpr 27
		.amdhsa_reserve_vcc 1
		.amdhsa_float_round_mode_32 0
		.amdhsa_float_round_mode_16_64 0
		.amdhsa_float_denorm_mode_32 3
		.amdhsa_float_denorm_mode_16_64 3
		.amdhsa_dx10_clamp 1
		.amdhsa_ieee_mode 1
		.amdhsa_fp16_overflow 0
		.amdhsa_workgroup_processor_mode 1
		.amdhsa_memory_ordered 1
		.amdhsa_forward_progress 0
		.amdhsa_shared_vgpr_count 0
		.amdhsa_exception_fp_ieee_invalid_op 0
		.amdhsa_exception_fp_denorm_src 0
		.amdhsa_exception_fp_ieee_div_zero 0
		.amdhsa_exception_fp_ieee_overflow 0
		.amdhsa_exception_fp_ieee_underflow 0
		.amdhsa_exception_fp_ieee_inexact 0
		.amdhsa_exception_int_div_zero 0
	.end_amdhsa_kernel
	.section	.text._ZN2at6native12_GLOBAL__N_125multi_tensor_apply_kernelINS1_18TensorListMetadataILi3EEENS1_24BinaryOpListAlphaFunctorIdLi3ELi2ELi2EEEJSt4plusIdEdEEEvT_T0_DpT1_,"axG",@progbits,_ZN2at6native12_GLOBAL__N_125multi_tensor_apply_kernelINS1_18TensorListMetadataILi3EEENS1_24BinaryOpListAlphaFunctorIdLi3ELi2ELi2EEEJSt4plusIdEdEEEvT_T0_DpT1_,comdat
.Lfunc_end17:
	.size	_ZN2at6native12_GLOBAL__N_125multi_tensor_apply_kernelINS1_18TensorListMetadataILi3EEENS1_24BinaryOpListAlphaFunctorIdLi3ELi2ELi2EEEJSt4plusIdEdEEEvT_T0_DpT1_, .Lfunc_end17-_ZN2at6native12_GLOBAL__N_125multi_tensor_apply_kernelINS1_18TensorListMetadataILi3EEENS1_24BinaryOpListAlphaFunctorIdLi3ELi2ELi2EEEJSt4plusIdEdEEEvT_T0_DpT1_
                                        ; -- End function
	.section	.AMDGPU.csdata,"",@progbits
; Kernel info:
; codeLenInByte = 1800
; NumSgprs: 29
; NumVgprs: 47
; ScratchSize: 0
; MemoryBound: 0
; FloatMode: 240
; IeeeMode: 1
; LDSByteSize: 0 bytes/workgroup (compile time only)
; SGPRBlocks: 3
; VGPRBlocks: 5
; NumSGPRsForWavesPerEU: 29
; NumVGPRsForWavesPerEU: 47
; Occupancy: 16
; WaveLimiterHint : 0
; COMPUTE_PGM_RSRC2:SCRATCH_EN: 0
; COMPUTE_PGM_RSRC2:USER_SGPR: 15
; COMPUTE_PGM_RSRC2:TRAP_HANDLER: 0
; COMPUTE_PGM_RSRC2:TGID_X_EN: 1
; COMPUTE_PGM_RSRC2:TGID_Y_EN: 0
; COMPUTE_PGM_RSRC2:TGID_Z_EN: 0
; COMPUTE_PGM_RSRC2:TIDIG_COMP_CNT: 0
	.section	.text._ZN2at6native12_GLOBAL__N_125multi_tensor_apply_kernelINS1_18TensorListMetadataILi3EEENS1_24BinaryOpListAlphaFunctorIfLi3ELi2ELi2EEEJSt4plusIfEfEEEvT_T0_DpT1_,"axG",@progbits,_ZN2at6native12_GLOBAL__N_125multi_tensor_apply_kernelINS1_18TensorListMetadataILi3EEENS1_24BinaryOpListAlphaFunctorIfLi3ELi2ELi2EEEJSt4plusIfEfEEEvT_T0_DpT1_,comdat
	.globl	_ZN2at6native12_GLOBAL__N_125multi_tensor_apply_kernelINS1_18TensorListMetadataILi3EEENS1_24BinaryOpListAlphaFunctorIfLi3ELi2ELi2EEEJSt4plusIfEfEEEvT_T0_DpT1_ ; -- Begin function _ZN2at6native12_GLOBAL__N_125multi_tensor_apply_kernelINS1_18TensorListMetadataILi3EEENS1_24BinaryOpListAlphaFunctorIfLi3ELi2ELi2EEEJSt4plusIfEfEEEvT_T0_DpT1_
	.p2align	8
	.type	_ZN2at6native12_GLOBAL__N_125multi_tensor_apply_kernelINS1_18TensorListMetadataILi3EEENS1_24BinaryOpListAlphaFunctorIfLi3ELi2ELi2EEEJSt4plusIfEfEEEvT_T0_DpT1_,@function
_ZN2at6native12_GLOBAL__N_125multi_tensor_apply_kernelINS1_18TensorListMetadataILi3EEENS1_24BinaryOpListAlphaFunctorIfLi3ELi2ELi2EEEJSt4plusIfEfEEEvT_T0_DpT1_: ; @_ZN2at6native12_GLOBAL__N_125multi_tensor_apply_kernelINS1_18TensorListMetadataILi3EEENS1_24BinaryOpListAlphaFunctorIfLi3ELi2ELi2EEEJSt4plusIfEfEEEvT_T0_DpT1_
; %bb.0:
	v_mov_b32_e32 v1, s15
	s_add_u32 s2, s0, s15
	s_mul_hi_u32 s3, s15, 3
	s_mul_i32 s15, s15, 3
	s_addc_u32 s4, s1, 0
	global_load_u8 v1, v1, s[0:1] offset:1536
	s_load_b32 s16, s[0:1], 0xc4c
	s_add_u32 s2, s2, s15
	s_addc_u32 s3, s4, s3
	s_mov_b32 s25, 0
	s_load_b32 s2, s[2:3], 0x740
	s_mov_b32 s27, s25
	s_waitcnt vmcnt(0)
	v_readfirstlane_b32 s3, v1
	s_delay_alu instid0(VALU_DEP_1)
	s_lshl_b32 s3, s3, 3
	s_clause 0x3
	s_load_b64 s[10:11], s[0:1], s3 offset:0x0
	s_load_b64 s[12:13], s[0:1], s3 offset:0x180
	;; [unrolled: 1-line block ×4, first 2 shown]
	s_waitcnt lgkmcnt(0)
	s_ashr_i32 s3, s2, 31
	s_delay_alu instid0(SALU_CYCLE_1) | instskip(NEXT) | instid1(SALU_CYCLE_1)
	s_lshl_b64 s[4:5], s[2:3], 18
	s_add_u32 s8, s10, s4
	s_addc_u32 s9, s11, s5
	s_and_b32 s24, s8, 15
	s_add_u32 s17, s12, s4
	s_addc_u32 s18, s13, s5
	s_add_u32 s19, s14, s4
	s_addc_u32 s20, s15, s5
	s_or_b32 s6, s19, s17
	s_delay_alu instid0(SALU_CYCLE_1) | instskip(NEXT) | instid1(SALU_CYCLE_1)
	s_and_b32 s6, s6, 15
	s_cmp_lg_u32 s6, 0
	s_cselect_b32 s21, -1, 0
	s_lshl_b64 s[2:3], s[2:3], 16
	s_delay_alu instid0(SALU_CYCLE_1) | instskip(SKIP_2) | instid1(SALU_CYCLE_1)
	s_sub_u32 s6, s22, s2
	s_subb_u32 s7, s23, s3
	s_and_b32 s26, s22, 3
	s_or_b64 s[2:3], s[24:25], s[26:27]
	s_delay_alu instid0(SALU_CYCLE_1) | instskip(SKIP_1) | instid1(SALU_CYCLE_1)
	s_cmp_lg_u64 s[2:3], 0
	s_cselect_b32 s2, -1, 0
	s_or_b32 s2, s21, s2
	s_delay_alu instid0(SALU_CYCLE_1)
	s_and_not1_b32 vcc_lo, exec_lo, s2
	s_mov_b32 s2, -1
	s_cbranch_vccz .LBB18_5
; %bb.1:
	v_dual_mov_b32 v2, 0 :: v_dual_lshlrev_b32 v1, 2, v0
	s_mov_b32 s21, exec_lo
	s_delay_alu instid0(VALU_DEP_1)
	v_cmpx_gt_i64_e64 s[6:7], v[1:2]
	s_cbranch_execz .LBB18_4
; %bb.2:
	s_load_b32 s2, s[0:1], 0xc5c
	v_lshlrev_b32_e32 v3, 4, v0
	s_mov_b32 s22, 0
	s_waitcnt lgkmcnt(0)
	s_and_b32 s2, s2, 0xffff
	s_delay_alu instid0(SALU_CYCLE_1)
	v_add_lshl_u32 v1, v0, s2, 2
	s_lshl_b32 s23, s2, 2
	s_lshl_b32 s24, s2, 4
	s_set_inst_prefetch_distance 0x1
	.p2align	6
.LBB18_3:                               ; =>This Inner Loop Header: Depth=1
	v_add_co_u32 v4, s2, s8, v3
	s_delay_alu instid0(VALU_DEP_1) | instskip(SKIP_1) | instid1(VALU_DEP_1)
	v_add_co_ci_u32_e64 v5, null, s9, 0, s2
	v_add_co_u32 v8, s2, s17, v3
	v_add_co_ci_u32_e64 v9, null, s18, 0, s2
	global_load_b128 v[4:7], v[4:5], off
	global_load_b128 v[8:11], v[8:9], off
	v_cmp_le_i64_e32 vcc_lo, s[6:7], v[1:2]
	v_cmp_lt_u64_e64 s2, 0xffff, v[1:2]
	v_add_co_u32 v12, s3, s19, v3
	s_delay_alu instid0(VALU_DEP_1) | instskip(SKIP_1) | instid1(VALU_DEP_4)
	v_add_co_ci_u32_e64 v13, null, s20, 0, s3
	v_add_co_u32 v1, s3, v1, s23
	s_or_b32 s2, vcc_lo, s2
	s_add_u32 s8, s8, s24
	s_addc_u32 s9, s9, 0
	s_add_u32 s19, s19, s24
	s_addc_u32 s20, s20, 0
	s_add_u32 s17, s17, s24
	v_add_co_ci_u32_e64 v2, s3, 0, v2, s3
	s_addc_u32 s18, s18, 0
	s_and_b32 s2, exec_lo, s2
	s_delay_alu instid0(SALU_CYCLE_1)
	s_or_b32 s22, s2, s22
	s_waitcnt vmcnt(0)
	v_fma_f32 v4, s16, v8, v4
	v_fma_f32 v5, s16, v9, v5
	;; [unrolled: 1-line block ×3, first 2 shown]
	v_fmac_f32_e32 v7, s16, v11
	global_store_b128 v[12:13], v[4:7], off
	s_and_not1_b32 exec_lo, exec_lo, s22
	s_cbranch_execnz .LBB18_3
.LBB18_4:
	s_set_inst_prefetch_distance 0x2
	s_or_b32 exec_lo, exec_lo, s21
	s_mov_b32 s2, 0
.LBB18_5:
	s_delay_alu instid0(SALU_CYCLE_1)
	s_and_not1_b32 vcc_lo, exec_lo, s2
	s_cbranch_vccnz .LBB18_25
; %bb.6:
	v_cmp_lt_i64_e64 s2, s[6:7], 1
	s_delay_alu instid0(VALU_DEP_1)
	s_and_b32 vcc_lo, exec_lo, s2
	s_cbranch_vccnz .LBB18_25
; %bb.7:
	s_load_b32 s0, s[0:1], 0xc5c
	v_dual_mov_b32 v14, 0 :: v_dual_lshlrev_b32 v13, 2, v0
	v_cmp_gt_u64_e64 s1, 0x10000, s[6:7]
	s_delay_alu instid0(VALU_DEP_2) | instskip(NEXT) | instid1(VALU_DEP_1)
	v_add_co_u32 v1, s2, s10, v13
	v_add_co_ci_u32_e64 v2, null, s11, 0, s2
	v_add_co_u32 v3, s2, s12, v13
	s_delay_alu instid0(VALU_DEP_1) | instskip(SKIP_1) | instid1(VALU_DEP_1)
	v_add_co_ci_u32_e64 v4, null, s13, 0, s2
	v_add_co_u32 v5, s2, s14, v13
	v_add_co_ci_u32_e64 v6, null, s15, 0, s2
	s_waitcnt lgkmcnt(0)
	s_and_b32 s0, s0, 0xffff
	s_and_b32 s1, s1, exec_lo
	v_mad_u64_u32 v[11:12], null, s0, 12, v[13:14]
	s_cselect_b32 s9, s7, 0
	s_cselect_b32 s8, s6, 0x10000
	s_mul_i32 s2, s0, 3
	s_lshl_b32 s3, s0, 3
	s_lshl_b32 s1, s0, 1
	v_add_co_u32 v20, s3, s3, v13
	v_add_co_u32 v13, s2, s2, v0
	v_add_co_u32 v7, vcc_lo, s10, v11
	v_add_co_ci_u32_e64 v14, null, 0, 0, s2
	v_add_co_u32 v19, s2, v0, s0
	v_add_co_ci_u32_e32 v8, vcc_lo, s11, v12, vcc_lo
	v_add_co_u32 v9, vcc_lo, s12, v11
	v_add_co_ci_u32_e32 v10, vcc_lo, s13, v12, vcc_lo
	v_add_co_u32 v11, vcc_lo, s14, v11
	v_add_co_ci_u32_e64 v21, null, 0, 0, s3
	v_lshlrev_b32_e32 v29, 2, v19
	v_add_co_ci_u32_e32 v12, vcc_lo, s15, v12, vcc_lo
	v_add_co_u32 v15, vcc_lo, s10, v20
	v_add_co_u32 v23, s1, s1, v0
	v_add_co_ci_u32_e32 v16, vcc_lo, s11, v21, vcc_lo
	v_add_co_ci_u32_e64 v24, null, 0, 0, s1
	v_add_co_u32 v25, s1, s10, v29
	v_add_co_u32 v17, vcc_lo, s12, v20
	v_add_co_ci_u32_e64 v26, null, s11, 0, s1
	v_add_co_u32 v27, s1, s12, v29
	v_add_co_ci_u32_e32 v18, vcc_lo, s13, v21, vcc_lo
	v_add_co_u32 v20, vcc_lo, s14, v20
	v_add_co_ci_u32_e64 v28, null, s13, 0, s1
	v_add_co_u32 v29, s1, s14, v29
	v_add_co_ci_u32_e32 v21, vcc_lo, s15, v21, vcc_lo
	v_add_co_ci_u32_e64 v22, null, 0, 0, s2
	v_add_co_ci_u32_e64 v30, null, s15, 0, s1
	s_lshl_b32 s12, s0, 2
	s_lshl_b32 s13, s0, 4
	s_mov_b64 s[10:11], 0
	s_branch .LBB18_9
.LBB18_8:                               ;   in Loop: Header=BB18_9 Depth=1
	s_or_b32 exec_lo, exec_lo, s0
	v_add_co_u32 v1, vcc_lo, v1, s13
	v_add_co_ci_u32_e32 v2, vcc_lo, 0, v2, vcc_lo
	v_add_co_u32 v3, vcc_lo, v3, s13
	v_add_co_ci_u32_e32 v4, vcc_lo, 0, v4, vcc_lo
	;; [unrolled: 2-line block ×9, first 2 shown]
	s_add_u32 s10, s10, s12
	v_add_co_u32 v25, vcc_lo, v25, s13
	s_addc_u32 s11, s11, 0
	v_add_co_ci_u32_e32 v26, vcc_lo, 0, v26, vcc_lo
	v_cmp_ge_i64_e64 s0, s[10:11], s[6:7]
	v_cmp_lt_u64_e64 s1, 0xffff, s[10:11]
	v_add_co_u32 v27, vcc_lo, v27, s13
	v_add_co_ci_u32_e32 v28, vcc_lo, 0, v28, vcc_lo
	v_add_co_u32 v29, vcc_lo, v29, s13
	v_add_co_ci_u32_e32 v30, vcc_lo, 0, v30, vcc_lo
	s_or_b32 s0, s0, s1
	s_delay_alu instid0(SALU_CYCLE_1)
	s_and_b32 vcc_lo, exec_lo, s0
	s_cbranch_vccnz .LBB18_25
.LBB18_9:                               ; =>This Inner Loop Header: Depth=1
	s_waitcnt vmcnt(1)
	v_add_co_u32 v31, s0, v0, s10
	s_delay_alu instid0(VALU_DEP_1) | instskip(SKIP_2) | instid1(VALU_DEP_2)
	v_add_co_ci_u32_e64 v32, null, 0, s11, s0
	s_waitcnt vmcnt(0)
	v_mov_b32_e32 v33, 0
	v_cmp_gt_u64_e32 vcc_lo, s[8:9], v[31:32]
	v_mov_b32_e32 v31, 0
	s_and_saveexec_b32 s1, vcc_lo
	s_cbranch_execz .LBB18_11
; %bb.10:                               ;   in Loop: Header=BB18_9 Depth=1
	v_add_co_u32 v31, s0, v1, s4
	s_delay_alu instid0(VALU_DEP_1) | instskip(SKIP_1) | instid1(VALU_DEP_1)
	v_add_co_ci_u32_e64 v32, s0, s5, v2, s0
	v_add_co_u32 v33, s0, v3, s4
	v_add_co_ci_u32_e64 v34, s0, s5, v4, s0
	global_load_b32 v31, v[31:32], off
	global_load_b32 v33, v[33:34], off
.LBB18_11:                              ;   in Loop: Header=BB18_9 Depth=1
	s_or_b32 exec_lo, exec_lo, s1
	v_add_co_u32 v34, s0, v19, s10
	s_delay_alu instid0(VALU_DEP_1) | instskip(SKIP_1) | instid1(VALU_DEP_2)
	v_add_co_ci_u32_e64 v35, s0, s11, v22, s0
	v_mov_b32_e32 v32, 0
	v_cmp_gt_u64_e64 s0, s[8:9], v[34:35]
	v_dual_mov_b32 v35, 0 :: v_dual_mov_b32 v34, 0
	s_delay_alu instid0(VALU_DEP_2)
	s_and_saveexec_b32 s2, s0
	s_cbranch_execz .LBB18_13
; %bb.12:                               ;   in Loop: Header=BB18_9 Depth=1
	v_add_co_u32 v34, s1, v25, s4
	s_delay_alu instid0(VALU_DEP_1) | instskip(SKIP_1) | instid1(VALU_DEP_1)
	v_add_co_ci_u32_e64 v35, s1, s5, v26, s1
	v_add_co_u32 v36, s1, v27, s4
	v_add_co_ci_u32_e64 v37, s1, s5, v28, s1
	global_load_b32 v34, v[34:35], off
	global_load_b32 v35, v[36:37], off
.LBB18_13:                              ;   in Loop: Header=BB18_9 Depth=1
	s_or_b32 exec_lo, exec_lo, s2
	v_add_co_u32 v36, s1, v23, s10
	s_delay_alu instid0(VALU_DEP_1) | instskip(NEXT) | instid1(VALU_DEP_1)
	v_add_co_ci_u32_e64 v37, s1, s11, v24, s1
	v_cmp_gt_u64_e64 s1, s[8:9], v[36:37]
	v_mov_b32_e32 v36, 0
	s_delay_alu instid0(VALU_DEP_2)
	s_and_saveexec_b32 s3, s1
	s_cbranch_execz .LBB18_15
; %bb.14:                               ;   in Loop: Header=BB18_9 Depth=1
	v_add_co_u32 v36, s2, v15, s4
	s_delay_alu instid0(VALU_DEP_1) | instskip(SKIP_1) | instid1(VALU_DEP_1)
	v_add_co_ci_u32_e64 v37, s2, s5, v16, s2
	v_add_co_u32 v38, s2, v17, s4
	v_add_co_ci_u32_e64 v39, s2, s5, v18, s2
	global_load_b32 v32, v[36:37], off
	global_load_b32 v36, v[38:39], off
.LBB18_15:                              ;   in Loop: Header=BB18_9 Depth=1
	s_or_b32 exec_lo, exec_lo, s3
	v_add_co_u32 v37, s2, v13, s10
	s_delay_alu instid0(VALU_DEP_1) | instskip(NEXT) | instid1(VALU_DEP_1)
	v_add_co_ci_u32_e64 v38, s2, s11, v14, s2
	v_cmp_gt_u64_e64 s2, s[8:9], v[37:38]
	v_dual_mov_b32 v37, 0 :: v_dual_mov_b32 v38, 0
	s_delay_alu instid0(VALU_DEP_2)
	s_and_saveexec_b32 s14, s2
	s_cbranch_execnz .LBB18_20
; %bb.16:                               ;   in Loop: Header=BB18_9 Depth=1
	s_or_b32 exec_lo, exec_lo, s14
	s_and_saveexec_b32 s3, vcc_lo
	s_cbranch_execnz .LBB18_21
.LBB18_17:                              ;   in Loop: Header=BB18_9 Depth=1
	s_or_b32 exec_lo, exec_lo, s3
	s_and_saveexec_b32 s3, s0
	s_cbranch_execnz .LBB18_22
.LBB18_18:                              ;   in Loop: Header=BB18_9 Depth=1
	s_or_b32 exec_lo, exec_lo, s3
	s_and_saveexec_b32 s0, s1
	s_cbranch_execnz .LBB18_23
.LBB18_19:                              ;   in Loop: Header=BB18_9 Depth=1
	s_or_b32 exec_lo, exec_lo, s0
	s_and_saveexec_b32 s0, s2
	s_cbranch_execz .LBB18_8
	s_branch .LBB18_24
.LBB18_20:                              ;   in Loop: Header=BB18_9 Depth=1
	v_add_co_u32 v37, s3, v7, s4
	s_delay_alu instid0(VALU_DEP_1) | instskip(SKIP_1) | instid1(VALU_DEP_1)
	v_add_co_ci_u32_e64 v38, s3, s5, v8, s3
	v_add_co_u32 v39, s3, v9, s4
	v_add_co_ci_u32_e64 v40, s3, s5, v10, s3
	global_load_b32 v37, v[37:38], off
	global_load_b32 v38, v[39:40], off
	s_or_b32 exec_lo, exec_lo, s14
	s_and_saveexec_b32 s3, vcc_lo
	s_cbranch_execz .LBB18_17
.LBB18_21:                              ;   in Loop: Header=BB18_9 Depth=1
	v_add_co_u32 v39, vcc_lo, v5, s4
	v_add_co_ci_u32_e32 v40, vcc_lo, s5, v6, vcc_lo
	s_waitcnt vmcnt(0)
	v_fmac_f32_e32 v31, s16, v33
	global_store_b32 v[39:40], v31, off
	s_or_b32 exec_lo, exec_lo, s3
	s_and_saveexec_b32 s3, s0
	s_cbranch_execz .LBB18_18
.LBB18_22:                              ;   in Loop: Header=BB18_9 Depth=1
	v_add_co_u32 v39, vcc_lo, v29, s4
	s_waitcnt vmcnt(0)
	v_fmac_f32_e32 v34, s16, v35
	v_add_co_ci_u32_e32 v40, vcc_lo, s5, v30, vcc_lo
	global_store_b32 v[39:40], v34, off
	s_or_b32 exec_lo, exec_lo, s3
	s_and_saveexec_b32 s0, s1
	s_cbranch_execz .LBB18_19
.LBB18_23:                              ;   in Loop: Header=BB18_9 Depth=1
	s_waitcnt vmcnt(0)
	v_add_co_u32 v33, vcc_lo, v20, s4
	v_fmac_f32_e32 v32, s16, v36
	v_add_co_ci_u32_e32 v34, vcc_lo, s5, v21, vcc_lo
	global_store_b32 v[33:34], v32, off
	s_or_b32 exec_lo, exec_lo, s0
	s_and_saveexec_b32 s0, s2
	s_cbranch_execz .LBB18_8
.LBB18_24:                              ;   in Loop: Header=BB18_9 Depth=1
	s_waitcnt vmcnt(1)
	v_add_co_u32 v31, vcc_lo, v11, s4
	s_waitcnt vmcnt(0)
	v_fmac_f32_e32 v37, s16, v38
	v_add_co_ci_u32_e32 v32, vcc_lo, s5, v12, vcc_lo
	global_store_b32 v[31:32], v37, off
	s_branch .LBB18_8
.LBB18_25:
	s_nop 0
	s_sendmsg sendmsg(MSG_DEALLOC_VGPRS)
	s_endpgm
	.section	.rodata,"a",@progbits
	.p2align	6, 0x0
	.amdhsa_kernel _ZN2at6native12_GLOBAL__N_125multi_tensor_apply_kernelINS1_18TensorListMetadataILi3EEENS1_24BinaryOpListAlphaFunctorIfLi3ELi2ELi2EEEJSt4plusIfEfEEEvT_T0_DpT1_
		.amdhsa_group_segment_fixed_size 0
		.amdhsa_private_segment_fixed_size 0
		.amdhsa_kernarg_size 3408
		.amdhsa_user_sgpr_count 15
		.amdhsa_user_sgpr_dispatch_ptr 0
		.amdhsa_user_sgpr_queue_ptr 0
		.amdhsa_user_sgpr_kernarg_segment_ptr 1
		.amdhsa_user_sgpr_dispatch_id 0
		.amdhsa_user_sgpr_private_segment_size 0
		.amdhsa_wavefront_size32 1
		.amdhsa_uses_dynamic_stack 0
		.amdhsa_enable_private_segment 0
		.amdhsa_system_sgpr_workgroup_id_x 1
		.amdhsa_system_sgpr_workgroup_id_y 0
		.amdhsa_system_sgpr_workgroup_id_z 0
		.amdhsa_system_sgpr_workgroup_info 0
		.amdhsa_system_vgpr_workitem_id 0
		.amdhsa_next_free_vgpr 41
		.amdhsa_next_free_sgpr 28
		.amdhsa_reserve_vcc 1
		.amdhsa_float_round_mode_32 0
		.amdhsa_float_round_mode_16_64 0
		.amdhsa_float_denorm_mode_32 3
		.amdhsa_float_denorm_mode_16_64 3
		.amdhsa_dx10_clamp 1
		.amdhsa_ieee_mode 1
		.amdhsa_fp16_overflow 0
		.amdhsa_workgroup_processor_mode 1
		.amdhsa_memory_ordered 1
		.amdhsa_forward_progress 0
		.amdhsa_shared_vgpr_count 0
		.amdhsa_exception_fp_ieee_invalid_op 0
		.amdhsa_exception_fp_denorm_src 0
		.amdhsa_exception_fp_ieee_div_zero 0
		.amdhsa_exception_fp_ieee_overflow 0
		.amdhsa_exception_fp_ieee_underflow 0
		.amdhsa_exception_fp_ieee_inexact 0
		.amdhsa_exception_int_div_zero 0
	.end_amdhsa_kernel
	.section	.text._ZN2at6native12_GLOBAL__N_125multi_tensor_apply_kernelINS1_18TensorListMetadataILi3EEENS1_24BinaryOpListAlphaFunctorIfLi3ELi2ELi2EEEJSt4plusIfEfEEEvT_T0_DpT1_,"axG",@progbits,_ZN2at6native12_GLOBAL__N_125multi_tensor_apply_kernelINS1_18TensorListMetadataILi3EEENS1_24BinaryOpListAlphaFunctorIfLi3ELi2ELi2EEEJSt4plusIfEfEEEvT_T0_DpT1_,comdat
.Lfunc_end18:
	.size	_ZN2at6native12_GLOBAL__N_125multi_tensor_apply_kernelINS1_18TensorListMetadataILi3EEENS1_24BinaryOpListAlphaFunctorIfLi3ELi2ELi2EEEJSt4plusIfEfEEEvT_T0_DpT1_, .Lfunc_end18-_ZN2at6native12_GLOBAL__N_125multi_tensor_apply_kernelINS1_18TensorListMetadataILi3EEENS1_24BinaryOpListAlphaFunctorIfLi3ELi2ELi2EEEJSt4plusIfEfEEEvT_T0_DpT1_
                                        ; -- End function
	.section	.AMDGPU.csdata,"",@progbits
; Kernel info:
; codeLenInByte = 1720
; NumSgprs: 30
; NumVgprs: 41
; ScratchSize: 0
; MemoryBound: 0
; FloatMode: 240
; IeeeMode: 1
; LDSByteSize: 0 bytes/workgroup (compile time only)
; SGPRBlocks: 3
; VGPRBlocks: 5
; NumSGPRsForWavesPerEU: 30
; NumVGPRsForWavesPerEU: 41
; Occupancy: 16
; WaveLimiterHint : 0
; COMPUTE_PGM_RSRC2:SCRATCH_EN: 0
; COMPUTE_PGM_RSRC2:USER_SGPR: 15
; COMPUTE_PGM_RSRC2:TRAP_HANDLER: 0
; COMPUTE_PGM_RSRC2:TGID_X_EN: 1
; COMPUTE_PGM_RSRC2:TGID_Y_EN: 0
; COMPUTE_PGM_RSRC2:TGID_Z_EN: 0
; COMPUTE_PGM_RSRC2:TIDIG_COMP_CNT: 0
	.section	.text._ZN2at6native12_GLOBAL__N_125multi_tensor_apply_kernelINS1_18TensorListMetadataILi3EEENS1_24BinaryOpListAlphaFunctorIN3c107complexIdEELi3ELi2ELi2EEEJSt4plusIS8_ES8_EEEvT_T0_DpT1_,"axG",@progbits,_ZN2at6native12_GLOBAL__N_125multi_tensor_apply_kernelINS1_18TensorListMetadataILi3EEENS1_24BinaryOpListAlphaFunctorIN3c107complexIdEELi3ELi2ELi2EEEJSt4plusIS8_ES8_EEEvT_T0_DpT1_,comdat
	.globl	_ZN2at6native12_GLOBAL__N_125multi_tensor_apply_kernelINS1_18TensorListMetadataILi3EEENS1_24BinaryOpListAlphaFunctorIN3c107complexIdEELi3ELi2ELi2EEEJSt4plusIS8_ES8_EEEvT_T0_DpT1_ ; -- Begin function _ZN2at6native12_GLOBAL__N_125multi_tensor_apply_kernelINS1_18TensorListMetadataILi3EEENS1_24BinaryOpListAlphaFunctorIN3c107complexIdEELi3ELi2ELi2EEEJSt4plusIS8_ES8_EEEvT_T0_DpT1_
	.p2align	8
	.type	_ZN2at6native12_GLOBAL__N_125multi_tensor_apply_kernelINS1_18TensorListMetadataILi3EEENS1_24BinaryOpListAlphaFunctorIN3c107complexIdEELi3ELi2ELi2EEEJSt4plusIS8_ES8_EEEvT_T0_DpT1_,@function
_ZN2at6native12_GLOBAL__N_125multi_tensor_apply_kernelINS1_18TensorListMetadataILi3EEENS1_24BinaryOpListAlphaFunctorIN3c107complexIdEELi3ELi2ELi2EEEJSt4plusIS8_ES8_EEEvT_T0_DpT1_: ; @_ZN2at6native12_GLOBAL__N_125multi_tensor_apply_kernelINS1_18TensorListMetadataILi3EEENS1_24BinaryOpListAlphaFunctorIN3c107complexIdEELi3ELi2ELi2EEEJSt4plusIS8_ES8_EEEvT_T0_DpT1_
; %bb.0:
	v_mov_b32_e32 v1, s15
	s_add_u32 s2, s0, s15
	s_mul_hi_u32 s3, s15, 3
	s_mul_i32 s15, s15, 3
	s_addc_u32 s4, s1, 0
	global_load_u8 v1, v1, s[0:1] offset:1536
	s_add_u32 s2, s2, s15
	s_addc_u32 s3, s4, s3
	s_mov_b32 s25, 0
	s_load_b32 s2, s[2:3], 0x740
	s_mov_b32 s27, s25
	s_waitcnt vmcnt(0)
	v_readfirstlane_b32 s3, v1
	s_delay_alu instid0(VALU_DEP_1)
	s_lshl_b32 s3, s3, 3
	s_clause 0x3
	s_load_b64 s[16:17], s[0:1], s3 offset:0x0
	s_load_b64 s[18:19], s[0:1], s3 offset:0x180
	s_load_b64 s[20:21], s[0:1], s3 offset:0x300
	s_load_b64 s[4:5], s[0:1], s3 offset:0x480
	s_waitcnt lgkmcnt(0)
	s_ashr_i32 s3, s2, 31
	s_delay_alu instid0(SALU_CYCLE_1) | instskip(NEXT) | instid1(SALU_CYCLE_1)
	s_lshl_b64 s[8:9], s[2:3], 20
	s_add_u32 s12, s16, s8
	s_addc_u32 s13, s17, s9
	s_add_u32 s14, s18, s8
	s_addc_u32 s15, s19, s9
	;; [unrolled: 2-line block ×3, first 2 shown]
	s_or_b32 s6, s22, s14
	s_lshl_b64 s[2:3], s[2:3], 16
	s_and_b32 s6, s6, 63
	s_and_b32 s24, s12, 63
	s_cmp_lg_u32 s6, 0
	s_cselect_b32 s28, -1, 0
	s_sub_u32 s10, s4, s2
	s_subb_u32 s11, s5, s3
	s_and_b32 s26, s4, 3
	s_load_b128 s[4:7], s[0:1], 0xc50
	s_or_b64 s[2:3], s[24:25], s[26:27]
	s_delay_alu instid0(SALU_CYCLE_1) | instskip(SKIP_1) | instid1(SALU_CYCLE_1)
	s_cmp_lg_u64 s[2:3], 0
	s_cselect_b32 s2, -1, 0
	s_or_b32 s2, s28, s2
	s_delay_alu instid0(SALU_CYCLE_1)
	s_and_not1_b32 vcc_lo, exec_lo, s2
	s_mov_b32 s2, -1
	s_cbranch_vccz .LBB19_5
; %bb.1:
	v_dual_mov_b32 v2, 0 :: v_dual_lshlrev_b32 v1, 2, v0
	s_mov_b32 s24, exec_lo
	s_delay_alu instid0(VALU_DEP_1)
	v_cmpx_gt_i64_e64 s[10:11], v[1:2]
	s_cbranch_execz .LBB19_4
; %bb.2:
	s_load_b32 s2, s[0:1], 0xc6c
	v_lshlrev_b32_e32 v3, 6, v0
	s_waitcnt lgkmcnt(0)
	s_and_b32 s2, s2, 0xffff
	s_delay_alu instid0(SALU_CYCLE_1)
	v_add_lshl_u32 v1, v0, s2, 2
	s_lshl_b32 s26, s2, 2
	s_lshl_b32 s27, s2, 6
.LBB19_3:                               ; =>This Inner Loop Header: Depth=1
	v_add_co_u32 v16, s2, s14, v3
	s_delay_alu instid0(VALU_DEP_1) | instskip(SKIP_1) | instid1(VALU_DEP_1)
	v_add_co_ci_u32_e64 v17, null, s15, 0, s2
	v_add_co_u32 v32, s2, s12, v3
	v_add_co_ci_u32_e64 v33, null, s13, 0, s2
	s_clause 0x3
	global_load_b128 v[4:7], v[16:17], off
	global_load_b128 v[8:11], v[16:17], off offset:16
	global_load_b128 v[12:15], v[16:17], off offset:32
	;; [unrolled: 1-line block ×3, first 2 shown]
	s_clause 0x3
	global_load_b128 v[20:23], v[32:33], off
	global_load_b128 v[24:27], v[32:33], off offset:16
	global_load_b128 v[28:31], v[32:33], off offset:32
	;; [unrolled: 1-line block ×3, first 2 shown]
	v_cmp_le_i64_e32 vcc_lo, s[10:11], v[1:2]
	v_cmp_lt_u64_e64 s2, 0xffff, v[1:2]
	s_delay_alu instid0(VALU_DEP_1)
	s_or_b32 s2, vcc_lo, s2
	s_add_u32 s12, s12, s27
	s_addc_u32 s13, s13, 0
	s_waitcnt vmcnt(7)
	v_mul_f64 v[36:37], s[6:7], v[6:7]
	v_mul_f64 v[6:7], s[4:5], v[6:7]
	s_waitcnt vmcnt(6)
	v_mul_f64 v[38:39], s[6:7], v[10:11]
	v_mul_f64 v[10:11], s[4:5], v[10:11]
	;; [unrolled: 3-line block ×4, first 2 shown]
	v_fma_f64 v[36:37], s[4:5], v[4:5], -v[36:37]
	v_fma_f64 v[6:7], s[6:7], v[4:5], v[6:7]
	v_fma_f64 v[38:39], s[4:5], v[8:9], -v[38:39]
	v_fma_f64 v[10:11], s[6:7], v[8:9], v[10:11]
	;; [unrolled: 2-line block ×4, first 2 shown]
	s_waitcnt vmcnt(3)
	v_add_f64 v[4:5], v[20:21], v[36:37]
	v_add_f64 v[6:7], v[22:23], v[6:7]
	s_waitcnt vmcnt(2)
	v_add_f64 v[8:9], v[24:25], v[38:39]
	v_add_f64 v[10:11], v[26:27], v[10:11]
	s_waitcnt vmcnt(1)
	v_add_f64 v[12:13], v[28:29], v[40:41]
	v_add_f64 v[14:15], v[30:31], v[14:15]
	s_waitcnt vmcnt(0)
	v_add_f64 v[16:17], v[32:33], v[42:43]
	v_add_f64 v[18:19], v[34:35], v[18:19]
	v_add_co_u32 v20, s3, s22, v3
	s_add_u32 s22, s22, s27
	v_add_co_ci_u32_e64 v21, null, s23, 0, s3
	v_add_co_u32 v1, s3, v1, s26
	s_addc_u32 s23, s23, 0
	s_add_u32 s14, s14, s27
	v_add_co_ci_u32_e64 v2, s3, 0, v2, s3
	s_addc_u32 s15, s15, 0
	s_and_b32 s2, exec_lo, s2
	s_clause 0x3
	global_store_b128 v[20:21], v[4:7], off
	global_store_b128 v[20:21], v[8:11], off offset:16
	global_store_b128 v[20:21], v[12:15], off offset:32
	;; [unrolled: 1-line block ×3, first 2 shown]
	s_or_b32 s25, s2, s25
	s_delay_alu instid0(SALU_CYCLE_1)
	s_and_not1_b32 exec_lo, exec_lo, s25
	s_cbranch_execnz .LBB19_3
.LBB19_4:
	s_or_b32 exec_lo, exec_lo, s24
	s_mov_b32 s2, 0
.LBB19_5:
	s_delay_alu instid0(SALU_CYCLE_1)
	s_and_not1_b32 vcc_lo, exec_lo, s2
	s_cbranch_vccnz .LBB19_25
; %bb.6:
	v_cmp_lt_i64_e64 s2, s[10:11], 1
	s_delay_alu instid0(VALU_DEP_1)
	s_and_b32 vcc_lo, exec_lo, s2
	s_cbranch_vccnz .LBB19_25
; %bb.7:
	s_load_b32 s0, s[0:1], 0xc6c
	v_dual_mov_b32 v1, 0 :: v_dual_lshlrev_b32 v6, 4, v0
	v_cmp_gt_u64_e64 s1, 0x10000, s[10:11]
	s_mov_b32 s13, 0
	s_delay_alu instid0(VALU_DEP_2) | instskip(NEXT) | instid1(VALU_DEP_3)
	v_or_b32_e32 v2, 8, v6
	v_mov_b32_e32 v3, v1
	s_delay_alu instid0(VALU_DEP_2) | instskip(NEXT) | instid1(VALU_DEP_1)
	v_add_co_u32 v34, s2, s18, v2
	v_add_co_ci_u32_e64 v35, null, s19, 0, s2
	v_add_co_u32 v36, s2, s16, v2
	s_delay_alu instid0(VALU_DEP_1)
	v_add_co_ci_u32_e64 v37, null, s17, 0, s2
	s_waitcnt lgkmcnt(0)
	s_and_b32 s22, s0, 0xffff
	s_and_b32 s0, s1, exec_lo
	v_add_lshl_u32 v7, v0, s22, 4
	v_mad_u64_u32 v[4:5], null, s22, 48, v[2:3]
	s_cselect_b32 s15, s11, 0
	s_cselect_b32 s14, s10, 0x10000
	s_delay_alu instid0(VALU_DEP_2) | instskip(NEXT) | instid1(VALU_DEP_1)
	v_add_co_u32 v38, s0, s20, v7
	v_add_co_ci_u32_e64 v39, null, s21, 0, s0
	v_add_co_u32 v40, s0, s20, v2
	s_delay_alu instid0(VALU_DEP_1) | instskip(SKIP_1) | instid1(VALU_DEP_1)
	v_add_co_ci_u32_e64 v41, null, s21, 0, s0
	v_add_co_u32 v42, s0, s16, v7
	v_add_co_ci_u32_e64 v43, null, s17, 0, s0
	v_add_co_u32 v46, s0, s18, v7
	v_add_co_u32 v44, vcc_lo, s18, v4
	v_add_co_ci_u32_e64 v47, null, s19, 0, s0
	s_lshl_b32 s0, s22, 5
	v_add_co_ci_u32_e32 v45, vcc_lo, s19, v5, vcc_lo
	v_add_co_u32 v2, s0, s0, v6
	v_add_co_u32 v48, vcc_lo, s16, v4
	v_add_co_ci_u32_e32 v49, vcc_lo, s17, v5, vcc_lo
	v_add_co_u32 v50, vcc_lo, s20, v4
	v_add_co_ci_u32_e64 v3, null, 0, 0, s0
	v_or_b32_e32 v4, 8, v2
	v_add_co_ci_u32_e32 v51, vcc_lo, s21, v5, vcc_lo
	v_add_co_u32 v52, vcc_lo, s20, v2
	s_delay_alu instid0(VALU_DEP_4) | instskip(NEXT) | instid1(VALU_DEP_4)
	v_add_co_ci_u32_e32 v53, vcc_lo, s21, v3, vcc_lo
	v_add_co_u32 v54, vcc_lo, s18, v4
	v_add_co_ci_u32_e32 v55, vcc_lo, s19, v3, vcc_lo
	v_add_co_u32 v56, vcc_lo, s16, v4
	v_add_co_ci_u32_e32 v57, vcc_lo, s17, v3, vcc_lo
	s_lshl_b32 s12, s22, 2
	s_lshl_b32 s23, s22, 1
	s_mul_i32 s24, s22, 3
	s_lshl_b32 s18, s22, 6
	s_mov_b64 s[16:17], s[12:13]
	s_branch .LBB19_9
.LBB19_8:                               ;   in Loop: Header=BB19_9 Depth=1
	s_or_b32 exec_lo, exec_lo, s0
	v_add_co_u32 v0, vcc_lo, v0, s12
	v_add_co_ci_u32_e32 v1, vcc_lo, 0, v1, vcc_lo
	v_add_co_u32 v34, vcc_lo, v34, s18
	v_add_co_ci_u32_e32 v35, vcc_lo, 0, v35, vcc_lo
	;; [unrolled: 2-line block ×11, first 2 shown]
	v_cmp_ge_i64_e64 s0, s[16:17], s[10:11]
	v_cmp_lt_u64_e64 s1, 0xffff, s[16:17]
	v_add_co_u32 v54, vcc_lo, v54, s18
	v_add_co_ci_u32_e32 v55, vcc_lo, 0, v55, vcc_lo
	v_add_co_u32 v56, vcc_lo, v56, s18
	v_add_co_ci_u32_e32 v57, vcc_lo, 0, v57, vcc_lo
	s_or_b32 s0, s0, s1
	s_add_u32 s16, s16, s12
	s_addc_u32 s17, s17, 0
	s_and_b32 vcc_lo, exec_lo, s0
	s_cbranch_vccnz .LBB19_25
.LBB19_9:                               ; =>This Inner Loop Header: Depth=1
	s_waitcnt vmcnt(0)
	v_mov_b32_e32 v4, 0
	v_mov_b32_e32 v5, 0
	v_cmp_gt_u64_e32 vcc_lo, s[14:15], v[0:1]
	s_delay_alu instid0(VALU_DEP_2)
	v_dual_mov_b32 v13, v5 :: v_dual_mov_b32 v12, v4
	v_dual_mov_b32 v11, v5 :: v_dual_mov_b32 v10, v4
	;; [unrolled: 1-line block ×4, first 2 shown]
	s_and_saveexec_b32 s1, vcc_lo
	s_cbranch_execz .LBB19_11
; %bb.10:                               ;   in Loop: Header=BB19_9 Depth=1
	v_add_co_u32 v2, s0, v36, s8
	s_delay_alu instid0(VALU_DEP_1) | instskip(SKIP_1) | instid1(VALU_DEP_1)
	v_add_co_ci_u32_e64 v3, s0, s9, v37, s0
	v_add_co_u32 v10, s0, v34, s8
	v_add_co_ci_u32_e64 v11, s0, s9, v35, s0
	global_load_b128 v[6:9], v[2:3], off offset:-8
	global_load_b128 v[10:13], v[10:11], off offset:-8
.LBB19_11:                              ;   in Loop: Header=BB19_9 Depth=1
	s_or_b32 exec_lo, exec_lo, s1
	v_add_co_u32 v14, s0, s22, v0
	s_delay_alu instid0(VALU_DEP_1) | instskip(SKIP_2) | instid1(VALU_DEP_3)
	v_add_co_ci_u32_e64 v15, s0, 0, v1, s0
	v_dual_mov_b32 v2, v4 :: v_dual_mov_b32 v3, v5
	v_dual_mov_b32 v17, v5 :: v_dual_mov_b32 v16, v4
	v_cmp_gt_u64_e64 s0, s[14:15], v[14:15]
	v_dual_mov_b32 v15, v5 :: v_dual_mov_b32 v14, v4
	s_delay_alu instid0(VALU_DEP_2)
	s_and_saveexec_b32 s2, s0
	s_cbranch_execz .LBB19_13
; %bb.12:                               ;   in Loop: Header=BB19_9 Depth=1
	v_add_co_u32 v2, s1, v42, s8
	s_delay_alu instid0(VALU_DEP_1) | instskip(SKIP_1) | instid1(VALU_DEP_1)
	v_add_co_ci_u32_e64 v3, s1, s9, v43, s1
	v_add_co_u32 v4, s1, v46, s8
	v_add_co_ci_u32_e64 v5, s1, s9, v47, s1
	global_load_b128 v[14:17], v[2:3], off
	global_load_b128 v[2:5], v[4:5], off
.LBB19_13:                              ;   in Loop: Header=BB19_9 Depth=1
	s_or_b32 exec_lo, exec_lo, s2
	v_add_co_u32 v18, s1, s23, v0
	s_delay_alu instid0(VALU_DEP_1) | instskip(SKIP_2) | instid1(VALU_DEP_3)
	v_add_co_ci_u32_e64 v19, s1, 0, v1, s1
	v_mov_b32_e32 v20, 0
	v_mov_b32_e32 v21, 0
	v_cmp_gt_u64_e64 s1, s[14:15], v[18:19]
	s_delay_alu instid0(VALU_DEP_2)
	v_dual_mov_b32 v29, v21 :: v_dual_mov_b32 v28, v20
	v_dual_mov_b32 v27, v21 :: v_dual_mov_b32 v26, v20
	v_dual_mov_b32 v25, v21 :: v_dual_mov_b32 v24, v20
	v_dual_mov_b32 v23, v21 :: v_dual_mov_b32 v22, v20
	s_and_saveexec_b32 s3, s1
	s_cbranch_execz .LBB19_15
; %bb.14:                               ;   in Loop: Header=BB19_9 Depth=1
	v_add_co_u32 v18, s2, v56, s8
	s_delay_alu instid0(VALU_DEP_1) | instskip(SKIP_1) | instid1(VALU_DEP_1)
	v_add_co_ci_u32_e64 v19, s2, s9, v57, s2
	v_add_co_u32 v26, s2, v54, s8
	v_add_co_ci_u32_e64 v27, s2, s9, v55, s2
	global_load_b128 v[22:25], v[18:19], off offset:-8
	global_load_b128 v[26:29], v[26:27], off offset:-8
.LBB19_15:                              ;   in Loop: Header=BB19_9 Depth=1
	s_or_b32 exec_lo, exec_lo, s3
	v_add_co_u32 v30, s2, s24, v0
	s_delay_alu instid0(VALU_DEP_1) | instskip(SKIP_2) | instid1(VALU_DEP_3)
	v_add_co_ci_u32_e64 v31, s2, 0, v1, s2
	v_dual_mov_b32 v18, v20 :: v_dual_mov_b32 v19, v21
	v_dual_mov_b32 v33, v21 :: v_dual_mov_b32 v32, v20
	v_cmp_gt_u64_e64 s2, s[14:15], v[30:31]
	v_dual_mov_b32 v31, v21 :: v_dual_mov_b32 v30, v20
	s_delay_alu instid0(VALU_DEP_2)
	s_and_saveexec_b32 s13, s2
	s_cbranch_execnz .LBB19_20
; %bb.16:                               ;   in Loop: Header=BB19_9 Depth=1
	s_or_b32 exec_lo, exec_lo, s13
	s_and_saveexec_b32 s3, vcc_lo
	s_cbranch_execnz .LBB19_21
.LBB19_17:                              ;   in Loop: Header=BB19_9 Depth=1
	s_or_b32 exec_lo, exec_lo, s3
	s_and_saveexec_b32 s3, s0
	s_cbranch_execnz .LBB19_22
.LBB19_18:                              ;   in Loop: Header=BB19_9 Depth=1
	s_or_b32 exec_lo, exec_lo, s3
	s_and_saveexec_b32 s0, s1
	s_cbranch_execnz .LBB19_23
.LBB19_19:                              ;   in Loop: Header=BB19_9 Depth=1
	s_or_b32 exec_lo, exec_lo, s0
	s_and_saveexec_b32 s0, s2
	s_cbranch_execz .LBB19_8
	s_branch .LBB19_24
.LBB19_20:                              ;   in Loop: Header=BB19_9 Depth=1
	v_add_co_u32 v18, s3, v48, s8
	s_delay_alu instid0(VALU_DEP_1) | instskip(SKIP_1) | instid1(VALU_DEP_1)
	v_add_co_ci_u32_e64 v19, s3, s9, v49, s3
	v_add_co_u32 v20, s3, v44, s8
	v_add_co_ci_u32_e64 v21, s3, s9, v45, s3
	global_load_b128 v[30:33], v[18:19], off offset:-8
	global_load_b128 v[18:21], v[20:21], off offset:-8
	s_or_b32 exec_lo, exec_lo, s13
	s_and_saveexec_b32 s3, vcc_lo
	s_cbranch_execz .LBB19_17
.LBB19_21:                              ;   in Loop: Header=BB19_9 Depth=1
	s_waitcnt vmcnt(0)
	v_mul_f64 v[58:59], s[6:7], v[10:11]
	v_mul_f64 v[60:61], s[6:7], v[12:13]
	s_delay_alu instid0(VALU_DEP_2) | instskip(NEXT) | instid1(VALU_DEP_2)
	v_fma_f64 v[12:13], s[4:5], v[12:13], v[58:59]
	v_fma_f64 v[10:11], s[4:5], v[10:11], -v[60:61]
	s_delay_alu instid0(VALU_DEP_2) | instskip(NEXT) | instid1(VALU_DEP_2)
	v_add_f64 v[8:9], v[8:9], v[12:13]
	v_add_f64 v[6:7], v[6:7], v[10:11]
	v_add_co_u32 v10, vcc_lo, v40, s8
	v_add_co_ci_u32_e32 v11, vcc_lo, s9, v41, vcc_lo
	global_store_b128 v[10:11], v[6:9], off offset:-8
	s_or_b32 exec_lo, exec_lo, s3
	s_and_saveexec_b32 s3, s0
	s_cbranch_execz .LBB19_18
.LBB19_22:                              ;   in Loop: Header=BB19_9 Depth=1
	s_waitcnt vmcnt(0)
	v_mul_f64 v[6:7], s[6:7], v[4:5]
	v_mul_f64 v[8:9], s[6:7], v[2:3]
	s_delay_alu instid0(VALU_DEP_2) | instskip(NEXT) | instid1(VALU_DEP_2)
	v_fma_f64 v[2:3], s[4:5], v[2:3], -v[6:7]
	v_fma_f64 v[4:5], s[4:5], v[4:5], v[8:9]
	v_add_co_u32 v6, vcc_lo, v38, s8
	v_add_co_ci_u32_e32 v7, vcc_lo, s9, v39, vcc_lo
	s_delay_alu instid0(VALU_DEP_4) | instskip(NEXT) | instid1(VALU_DEP_4)
	v_add_f64 v[2:3], v[14:15], v[2:3]
	v_add_f64 v[4:5], v[16:17], v[4:5]
	global_store_b128 v[6:7], v[2:5], off
	s_or_b32 exec_lo, exec_lo, s3
	s_and_saveexec_b32 s0, s1
	s_cbranch_execz .LBB19_19
.LBB19_23:                              ;   in Loop: Header=BB19_9 Depth=1
	s_waitcnt vmcnt(0)
	v_mul_f64 v[2:3], s[6:7], v[28:29]
	v_mul_f64 v[4:5], s[6:7], v[26:27]
	v_add_co_u32 v6, vcc_lo, v52, s8
	v_add_co_ci_u32_e32 v7, vcc_lo, s9, v53, vcc_lo
	s_delay_alu instid0(VALU_DEP_4) | instskip(NEXT) | instid1(VALU_DEP_4)
	v_fma_f64 v[2:3], s[4:5], v[26:27], -v[2:3]
	v_fma_f64 v[4:5], s[4:5], v[28:29], v[4:5]
	s_delay_alu instid0(VALU_DEP_2) | instskip(NEXT) | instid1(VALU_DEP_2)
	v_add_f64 v[2:3], v[22:23], v[2:3]
	v_add_f64 v[4:5], v[24:25], v[4:5]
	global_store_b128 v[6:7], v[2:5], off
	s_or_b32 exec_lo, exec_lo, s0
	s_and_saveexec_b32 s0, s2
	s_cbranch_execz .LBB19_8
.LBB19_24:                              ;   in Loop: Header=BB19_9 Depth=1
	s_waitcnt vmcnt(0)
	v_mul_f64 v[2:3], s[6:7], v[20:21]
	v_mul_f64 v[4:5], s[6:7], v[18:19]
	v_add_co_u32 v6, vcc_lo, v50, s8
	v_add_co_ci_u32_e32 v7, vcc_lo, s9, v51, vcc_lo
	s_delay_alu instid0(VALU_DEP_4) | instskip(NEXT) | instid1(VALU_DEP_4)
	v_fma_f64 v[2:3], s[4:5], v[18:19], -v[2:3]
	v_fma_f64 v[4:5], s[4:5], v[20:21], v[4:5]
	s_delay_alu instid0(VALU_DEP_2) | instskip(NEXT) | instid1(VALU_DEP_2)
	v_add_f64 v[2:3], v[30:31], v[2:3]
	v_add_f64 v[4:5], v[32:33], v[4:5]
	global_store_b128 v[6:7], v[2:5], off offset:-8
	s_branch .LBB19_8
.LBB19_25:
	s_nop 0
	s_sendmsg sendmsg(MSG_DEALLOC_VGPRS)
	s_endpgm
	.section	.rodata,"a",@progbits
	.p2align	6, 0x0
	.amdhsa_kernel _ZN2at6native12_GLOBAL__N_125multi_tensor_apply_kernelINS1_18TensorListMetadataILi3EEENS1_24BinaryOpListAlphaFunctorIN3c107complexIdEELi3ELi2ELi2EEEJSt4plusIS8_ES8_EEEvT_T0_DpT1_
		.amdhsa_group_segment_fixed_size 0
		.amdhsa_private_segment_fixed_size 0
		.amdhsa_kernarg_size 3424
		.amdhsa_user_sgpr_count 15
		.amdhsa_user_sgpr_dispatch_ptr 0
		.amdhsa_user_sgpr_queue_ptr 0
		.amdhsa_user_sgpr_kernarg_segment_ptr 1
		.amdhsa_user_sgpr_dispatch_id 0
		.amdhsa_user_sgpr_private_segment_size 0
		.amdhsa_wavefront_size32 1
		.amdhsa_uses_dynamic_stack 0
		.amdhsa_enable_private_segment 0
		.amdhsa_system_sgpr_workgroup_id_x 1
		.amdhsa_system_sgpr_workgroup_id_y 0
		.amdhsa_system_sgpr_workgroup_id_z 0
		.amdhsa_system_sgpr_workgroup_info 0
		.amdhsa_system_vgpr_workitem_id 0
		.amdhsa_next_free_vgpr 62
		.amdhsa_next_free_sgpr 29
		.amdhsa_reserve_vcc 1
		.amdhsa_float_round_mode_32 0
		.amdhsa_float_round_mode_16_64 0
		.amdhsa_float_denorm_mode_32 3
		.amdhsa_float_denorm_mode_16_64 3
		.amdhsa_dx10_clamp 1
		.amdhsa_ieee_mode 1
		.amdhsa_fp16_overflow 0
		.amdhsa_workgroup_processor_mode 1
		.amdhsa_memory_ordered 1
		.amdhsa_forward_progress 0
		.amdhsa_shared_vgpr_count 0
		.amdhsa_exception_fp_ieee_invalid_op 0
		.amdhsa_exception_fp_denorm_src 0
		.amdhsa_exception_fp_ieee_div_zero 0
		.amdhsa_exception_fp_ieee_overflow 0
		.amdhsa_exception_fp_ieee_underflow 0
		.amdhsa_exception_fp_ieee_inexact 0
		.amdhsa_exception_int_div_zero 0
	.end_amdhsa_kernel
	.section	.text._ZN2at6native12_GLOBAL__N_125multi_tensor_apply_kernelINS1_18TensorListMetadataILi3EEENS1_24BinaryOpListAlphaFunctorIN3c107complexIdEELi3ELi2ELi2EEEJSt4plusIS8_ES8_EEEvT_T0_DpT1_,"axG",@progbits,_ZN2at6native12_GLOBAL__N_125multi_tensor_apply_kernelINS1_18TensorListMetadataILi3EEENS1_24BinaryOpListAlphaFunctorIN3c107complexIdEELi3ELi2ELi2EEEJSt4plusIS8_ES8_EEEvT_T0_DpT1_,comdat
.Lfunc_end19:
	.size	_ZN2at6native12_GLOBAL__N_125multi_tensor_apply_kernelINS1_18TensorListMetadataILi3EEENS1_24BinaryOpListAlphaFunctorIN3c107complexIdEELi3ELi2ELi2EEEJSt4plusIS8_ES8_EEEvT_T0_DpT1_, .Lfunc_end19-_ZN2at6native12_GLOBAL__N_125multi_tensor_apply_kernelINS1_18TensorListMetadataILi3EEENS1_24BinaryOpListAlphaFunctorIN3c107complexIdEELi3ELi2ELi2EEEJSt4plusIS8_ES8_EEEvT_T0_DpT1_
                                        ; -- End function
	.section	.AMDGPU.csdata,"",@progbits
; Kernel info:
; codeLenInByte = 2252
; NumSgprs: 31
; NumVgprs: 62
; ScratchSize: 0
; MemoryBound: 1
; FloatMode: 240
; IeeeMode: 1
; LDSByteSize: 0 bytes/workgroup (compile time only)
; SGPRBlocks: 3
; VGPRBlocks: 7
; NumSGPRsForWavesPerEU: 31
; NumVGPRsForWavesPerEU: 62
; Occupancy: 16
; WaveLimiterHint : 0
; COMPUTE_PGM_RSRC2:SCRATCH_EN: 0
; COMPUTE_PGM_RSRC2:USER_SGPR: 15
; COMPUTE_PGM_RSRC2:TRAP_HANDLER: 0
; COMPUTE_PGM_RSRC2:TGID_X_EN: 1
; COMPUTE_PGM_RSRC2:TGID_Y_EN: 0
; COMPUTE_PGM_RSRC2:TGID_Z_EN: 0
; COMPUTE_PGM_RSRC2:TIDIG_COMP_CNT: 0
	.section	.text._ZN2at6native12_GLOBAL__N_125multi_tensor_apply_kernelINS1_18TensorListMetadataILi3EEENS1_24BinaryOpListAlphaFunctorIN3c107complexIfEELi3ELi2ELi2EEEJSt4plusIS8_ES8_EEEvT_T0_DpT1_,"axG",@progbits,_ZN2at6native12_GLOBAL__N_125multi_tensor_apply_kernelINS1_18TensorListMetadataILi3EEENS1_24BinaryOpListAlphaFunctorIN3c107complexIfEELi3ELi2ELi2EEEJSt4plusIS8_ES8_EEEvT_T0_DpT1_,comdat
	.globl	_ZN2at6native12_GLOBAL__N_125multi_tensor_apply_kernelINS1_18TensorListMetadataILi3EEENS1_24BinaryOpListAlphaFunctorIN3c107complexIfEELi3ELi2ELi2EEEJSt4plusIS8_ES8_EEEvT_T0_DpT1_ ; -- Begin function _ZN2at6native12_GLOBAL__N_125multi_tensor_apply_kernelINS1_18TensorListMetadataILi3EEENS1_24BinaryOpListAlphaFunctorIN3c107complexIfEELi3ELi2ELi2EEEJSt4plusIS8_ES8_EEEvT_T0_DpT1_
	.p2align	8
	.type	_ZN2at6native12_GLOBAL__N_125multi_tensor_apply_kernelINS1_18TensorListMetadataILi3EEENS1_24BinaryOpListAlphaFunctorIN3c107complexIfEELi3ELi2ELi2EEEJSt4plusIS8_ES8_EEEvT_T0_DpT1_,@function
_ZN2at6native12_GLOBAL__N_125multi_tensor_apply_kernelINS1_18TensorListMetadataILi3EEENS1_24BinaryOpListAlphaFunctorIN3c107complexIfEELi3ELi2ELi2EEEJSt4plusIS8_ES8_EEEvT_T0_DpT1_: ; @_ZN2at6native12_GLOBAL__N_125multi_tensor_apply_kernelINS1_18TensorListMetadataILi3EEENS1_24BinaryOpListAlphaFunctorIN3c107complexIfEELi3ELi2ELi2EEEJSt4plusIS8_ES8_EEEvT_T0_DpT1_
; %bb.0:
	v_mov_b32_e32 v1, s15
	s_add_u32 s2, s0, s15
	s_mul_hi_u32 s3, s15, 3
	s_mul_i32 s15, s15, 3
	s_addc_u32 s4, s1, 0
	global_load_u8 v1, v1, s[0:1] offset:1536
	s_add_u32 s2, s2, s15
	s_addc_u32 s3, s4, s3
	s_mov_b32 s23, 0
	s_load_b32 s2, s[2:3], 0x740
	s_mov_b32 s25, s23
	s_waitcnt vmcnt(0)
	v_readfirstlane_b32 s3, v1
	s_delay_alu instid0(VALU_DEP_1)
	s_lshl_b32 s3, s3, 3
	s_clause 0x3
	s_load_b64 s[14:15], s[0:1], s3 offset:0x0
	s_load_b64 s[16:17], s[0:1], s3 offset:0x180
	;; [unrolled: 1-line block ×4, first 2 shown]
	s_waitcnt lgkmcnt(0)
	s_ashr_i32 s3, s2, 31
	s_delay_alu instid0(SALU_CYCLE_1) | instskip(NEXT) | instid1(SALU_CYCLE_1)
	s_lshl_b64 s[4:5], s[2:3], 19
	s_add_u32 s10, s14, s4
	s_addc_u32 s11, s15, s5
	s_add_u32 s12, s16, s4
	s_addc_u32 s13, s17, s5
	;; [unrolled: 2-line block ×3, first 2 shown]
	s_or_b32 s6, s20, s12
	s_lshl_b64 s[2:3], s[2:3], 16
	s_and_b32 s6, s6, 31
	s_and_b32 s22, s10, 31
	s_cmp_lg_u32 s6, 0
	s_cselect_b32 s26, -1, 0
	s_sub_u32 s6, s8, s2
	s_subb_u32 s7, s9, s3
	s_and_b32 s24, s8, 3
	s_load_b64 s[8:9], s[0:1], 0xc50
	s_or_b64 s[2:3], s[22:23], s[24:25]
	s_delay_alu instid0(SALU_CYCLE_1) | instskip(SKIP_1) | instid1(SALU_CYCLE_1)
	s_cmp_lg_u64 s[2:3], 0
	s_cselect_b32 s2, -1, 0
	s_or_b32 s2, s26, s2
	s_delay_alu instid0(SALU_CYCLE_1)
	s_and_not1_b32 vcc_lo, exec_lo, s2
	s_mov_b32 s2, -1
	s_cbranch_vccz .LBB20_5
; %bb.1:
	v_dual_mov_b32 v2, 0 :: v_dual_lshlrev_b32 v1, 2, v0
	s_mov_b32 s22, exec_lo
	s_delay_alu instid0(VALU_DEP_1)
	v_cmpx_gt_i64_e64 s[6:7], v[1:2]
	s_cbranch_execz .LBB20_4
; %bb.2:
	s_load_b32 s2, s[0:1], 0xc64
	v_lshlrev_b32_e32 v3, 5, v0
	s_waitcnt lgkmcnt(0)
	s_and_b32 s2, s2, 0xffff
	s_delay_alu instid0(SALU_CYCLE_1)
	v_add_lshl_u32 v1, v0, s2, 2
	s_lshl_b32 s24, s2, 2
	s_lshl_b32 s25, s2, 5
.LBB20_3:                               ; =>This Inner Loop Header: Depth=1
	v_add_co_u32 v8, s2, s12, v3
	s_delay_alu instid0(VALU_DEP_1) | instskip(SKIP_1) | instid1(VALU_DEP_1)
	v_add_co_ci_u32_e64 v9, null, s13, 0, s2
	v_add_co_u32 v16, s2, s10, v3
	v_add_co_ci_u32_e64 v17, null, s11, 0, s2
	s_clause 0x1
	global_load_b128 v[4:7], v[8:9], off
	global_load_b128 v[8:11], v[8:9], off offset:16
	s_clause 0x1
	global_load_b128 v[12:15], v[16:17], off
	global_load_b128 v[16:19], v[16:17], off offset:16
	v_cmp_le_i64_e32 vcc_lo, s[6:7], v[1:2]
	v_cmp_lt_u64_e64 s2, 0xffff, v[1:2]
	v_add_co_u32 v20, s3, s20, v3
	s_delay_alu instid0(VALU_DEP_1) | instskip(SKIP_1) | instid1(VALU_DEP_4)
	v_add_co_ci_u32_e64 v21, null, s21, 0, s3
	v_add_co_u32 v1, s3, v1, s24
	s_or_b32 s2, vcc_lo, s2
	s_add_u32 s10, s10, s25
	s_addc_u32 s11, s11, 0
	s_add_u32 s20, s20, s25
	s_addc_u32 s21, s21, 0
	s_add_u32 s12, s12, s25
	v_add_co_ci_u32_e64 v2, s3, 0, v2, s3
	s_addc_u32 s13, s13, 0
	s_and_b32 s2, exec_lo, s2
	s_delay_alu instid0(SALU_CYCLE_1) | instskip(SKIP_4) | instid1(VALU_DEP_2)
	s_or_b32 s23, s2, s23
	s_waitcnt vmcnt(3)
	v_dual_mul_f32 v22, s9, v5 :: v_dual_mul_f32 v23, s9, v7
	s_waitcnt vmcnt(2)
	v_dual_mul_f32 v7, s8, v7 :: v_dual_mul_f32 v24, s9, v9
	v_fma_f32 v22, v4, s8, -v22
	s_delay_alu instid0(VALU_DEP_3) | instskip(SKIP_1) | instid1(VALU_DEP_4)
	v_fma_f32 v23, v6, s8, -v23
	v_mul_f32_e32 v9, s8, v9
	v_fma_f32 v24, v8, s8, -v24
	v_mul_f32_e32 v25, s9, v11
	v_mul_f32_e32 v5, s8, v5
	s_waitcnt vmcnt(1)
	v_dual_fmac_f32 v7, s9, v6 :: v_dual_add_f32 v6, v14, v23
	v_fmac_f32_e32 v9, s9, v8
	s_waitcnt vmcnt(0)
	v_add_f32_e32 v8, v16, v24
	v_fma_f32 v25, v10, s8, -v25
	v_mul_f32_e32 v11, s8, v11
	v_dual_fmac_f32 v5, s9, v4 :: v_dual_add_f32 v4, v12, v22
	v_add_f32_e32 v7, v15, v7
	v_add_f32_e32 v9, v17, v9
	s_delay_alu instid0(VALU_DEP_4) | instskip(NEXT) | instid1(VALU_DEP_4)
	v_dual_fmac_f32 v11, s9, v10 :: v_dual_add_f32 v10, v18, v25
	v_add_f32_e32 v5, v13, v5
	s_delay_alu instid0(VALU_DEP_2)
	v_add_f32_e32 v11, v19, v11
	s_clause 0x1
	global_store_b128 v[20:21], v[4:7], off
	global_store_b128 v[20:21], v[8:11], off offset:16
	s_and_not1_b32 exec_lo, exec_lo, s23
	s_cbranch_execnz .LBB20_3
.LBB20_4:
	s_or_b32 exec_lo, exec_lo, s22
	s_mov_b32 s2, 0
.LBB20_5:
	s_delay_alu instid0(SALU_CYCLE_1)
	s_and_not1_b32 vcc_lo, exec_lo, s2
	s_cbranch_vccnz .LBB20_25
; %bb.6:
	v_cmp_lt_i64_e64 s2, s[6:7], 1
	s_delay_alu instid0(VALU_DEP_1)
	s_and_b32 vcc_lo, exec_lo, s2
	s_cbranch_vccnz .LBB20_25
; %bb.7:
	s_load_b32 s0, s[0:1], 0xc64
	v_dual_mov_b32 v1, 0 :: v_dual_lshlrev_b32 v6, 3, v0
	v_cmp_gt_u64_e64 s1, 0x10000, s[6:7]
	s_mov_b32 s11, 0
	s_delay_alu instid0(VALU_DEP_2) | instskip(NEXT) | instid1(VALU_DEP_3)
	v_or_b32_e32 v2, 4, v6
	v_mov_b32_e32 v3, v1
	s_delay_alu instid0(VALU_DEP_2) | instskip(NEXT) | instid1(VALU_DEP_1)
	v_add_co_u32 v18, s2, s16, v2
	v_add_co_ci_u32_e64 v19, null, s17, 0, s2
	v_add_co_u32 v20, s2, s14, v2
	s_delay_alu instid0(VALU_DEP_1)
	v_add_co_ci_u32_e64 v21, null, s15, 0, s2
	s_waitcnt lgkmcnt(0)
	s_and_b32 s20, s0, 0xffff
	s_and_b32 s0, s1, exec_lo
	v_add_lshl_u32 v7, v0, s20, 3
	v_mad_u64_u32 v[4:5], null, s20, 24, v[2:3]
	s_cselect_b32 s13, s7, 0
	s_cselect_b32 s12, s6, 0x10000
	s_delay_alu instid0(VALU_DEP_2) | instskip(NEXT) | instid1(VALU_DEP_1)
	v_add_co_u32 v22, s0, s18, v7
	v_add_co_ci_u32_e64 v23, null, s19, 0, s0
	v_add_co_u32 v24, s0, s18, v2
	s_delay_alu instid0(VALU_DEP_1) | instskip(SKIP_1) | instid1(VALU_DEP_1)
	v_add_co_ci_u32_e64 v25, null, s19, 0, s0
	v_add_co_u32 v26, s0, s14, v7
	v_add_co_ci_u32_e64 v27, null, s15, 0, s0
	v_add_co_u32 v30, s0, s16, v7
	v_add_co_u32 v28, vcc_lo, s16, v4
	v_add_co_ci_u32_e64 v31, null, s17, 0, s0
	s_lshl_b32 s0, s20, 4
	v_add_co_ci_u32_e32 v29, vcc_lo, s17, v5, vcc_lo
	v_add_co_u32 v2, s0, s0, v6
	v_add_co_u32 v32, vcc_lo, s14, v4
	v_add_co_ci_u32_e32 v33, vcc_lo, s15, v5, vcc_lo
	v_add_co_u32 v34, vcc_lo, s18, v4
	v_add_co_ci_u32_e64 v3, null, 0, 0, s0
	v_or_b32_e32 v4, 4, v2
	v_add_co_ci_u32_e32 v35, vcc_lo, s19, v5, vcc_lo
	v_add_co_u32 v36, vcc_lo, s18, v2
	s_delay_alu instid0(VALU_DEP_4) | instskip(NEXT) | instid1(VALU_DEP_4)
	v_add_co_ci_u32_e32 v37, vcc_lo, s19, v3, vcc_lo
	v_add_co_u32 v38, vcc_lo, s16, v4
	v_add_co_ci_u32_e32 v39, vcc_lo, s17, v3, vcc_lo
	v_add_co_u32 v40, vcc_lo, s14, v4
	v_add_co_ci_u32_e32 v41, vcc_lo, s15, v3, vcc_lo
	s_lshl_b32 s10, s20, 2
	s_lshl_b32 s21, s20, 1
	s_mul_i32 s22, s20, 3
	s_lshl_b32 s16, s20, 5
	s_mov_b64 s[14:15], s[10:11]
	s_branch .LBB20_9
.LBB20_8:                               ;   in Loop: Header=BB20_9 Depth=1
	s_or_b32 exec_lo, exec_lo, s0
	v_add_co_u32 v0, vcc_lo, v0, s10
	v_add_co_ci_u32_e32 v1, vcc_lo, 0, v1, vcc_lo
	v_add_co_u32 v18, vcc_lo, v18, s16
	v_add_co_ci_u32_e32 v19, vcc_lo, 0, v19, vcc_lo
	;; [unrolled: 2-line block ×11, first 2 shown]
	v_cmp_ge_i64_e64 s0, s[14:15], s[6:7]
	v_cmp_lt_u64_e64 s1, 0xffff, s[14:15]
	v_add_co_u32 v38, vcc_lo, v38, s16
	v_add_co_ci_u32_e32 v39, vcc_lo, 0, v39, vcc_lo
	v_add_co_u32 v40, vcc_lo, v40, s16
	v_add_co_ci_u32_e32 v41, vcc_lo, 0, v41, vcc_lo
	s_or_b32 s0, s0, s1
	s_add_u32 s14, s14, s10
	s_addc_u32 s15, s15, 0
	s_and_b32 vcc_lo, exec_lo, s0
	s_cbranch_vccnz .LBB20_25
.LBB20_9:                               ; =>This Inner Loop Header: Depth=1
	v_cmp_gt_u64_e32 vcc_lo, s[12:13], v[0:1]
	s_waitcnt vmcnt(1)
	v_dual_mov_b32 v5, 0 :: v_dual_mov_b32 v4, 0
	s_waitcnt vmcnt(0)
	v_dual_mov_b32 v7, 0 :: v_dual_mov_b32 v6, 0
	s_and_saveexec_b32 s1, vcc_lo
	s_cbranch_execz .LBB20_11
; %bb.10:                               ;   in Loop: Header=BB20_9 Depth=1
	v_add_co_u32 v2, s0, v20, s4
	s_delay_alu instid0(VALU_DEP_1) | instskip(SKIP_1) | instid1(VALU_DEP_1)
	v_add_co_ci_u32_e64 v3, s0, s5, v21, s0
	v_add_co_u32 v6, s0, v18, s4
	v_add_co_ci_u32_e64 v7, s0, s5, v19, s0
	global_load_b64 v[4:5], v[2:3], off offset:-4
	global_load_b64 v[6:7], v[6:7], off offset:-4
.LBB20_11:                              ;   in Loop: Header=BB20_9 Depth=1
	s_or_b32 exec_lo, exec_lo, s1
	v_add_co_u32 v8, s0, s20, v0
	s_delay_alu instid0(VALU_DEP_1) | instskip(SKIP_2) | instid1(VALU_DEP_3)
	v_add_co_ci_u32_e64 v9, s0, 0, v1, s0
	v_mov_b32_e32 v3, 0
	v_dual_mov_b32 v11, 0 :: v_dual_mov_b32 v10, 0
	v_cmp_gt_u64_e64 s0, s[12:13], v[8:9]
	v_dual_mov_b32 v8, 0 :: v_dual_mov_b32 v9, 0
	s_delay_alu instid0(VALU_DEP_2)
	s_and_saveexec_b32 s2, s0
	s_cbranch_execz .LBB20_13
; %bb.12:                               ;   in Loop: Header=BB20_9 Depth=1
	v_add_co_u32 v8, s1, v26, s4
	s_delay_alu instid0(VALU_DEP_1) | instskip(SKIP_1) | instid1(VALU_DEP_1)
	v_add_co_ci_u32_e64 v9, s1, s5, v27, s1
	v_add_co_u32 v10, s1, v30, s4
	v_add_co_ci_u32_e64 v11, s1, s5, v31, s1
	global_load_b64 v[8:9], v[8:9], off
	global_load_b64 v[10:11], v[10:11], off
.LBB20_13:                              ;   in Loop: Header=BB20_9 Depth=1
	s_or_b32 exec_lo, exec_lo, s2
	v_add_co_u32 v12, s1, s21, v0
	s_delay_alu instid0(VALU_DEP_1) | instskip(SKIP_1) | instid1(VALU_DEP_2)
	v_add_co_ci_u32_e64 v13, s1, 0, v1, s1
	v_mov_b32_e32 v2, 0
	v_cmp_gt_u64_e64 s1, s[12:13], v[12:13]
	v_dual_mov_b32 v13, 0 :: v_dual_mov_b32 v12, 0
	s_delay_alu instid0(VALU_DEP_2)
	s_and_saveexec_b32 s3, s1
	s_cbranch_execz .LBB20_15
; %bb.14:                               ;   in Loop: Header=BB20_9 Depth=1
	v_add_co_u32 v2, s2, v40, s4
	s_delay_alu instid0(VALU_DEP_1) | instskip(SKIP_1) | instid1(VALU_DEP_1)
	v_add_co_ci_u32_e64 v3, s2, s5, v41, s2
	v_add_co_u32 v12, s2, v38, s4
	v_add_co_ci_u32_e64 v13, s2, s5, v39, s2
	global_load_b64 v[2:3], v[2:3], off offset:-4
	global_load_b64 v[12:13], v[12:13], off offset:-4
.LBB20_15:                              ;   in Loop: Header=BB20_9 Depth=1
	s_or_b32 exec_lo, exec_lo, s3
	v_add_co_u32 v16, s2, s22, v0
	s_delay_alu instid0(VALU_DEP_1) | instskip(SKIP_1) | instid1(VALU_DEP_2)
	v_add_co_ci_u32_e64 v17, s2, 0, v1, s2
	v_dual_mov_b32 v15, 0 :: v_dual_mov_b32 v14, 0
	v_cmp_gt_u64_e64 s2, s[12:13], v[16:17]
	v_dual_mov_b32 v17, 0 :: v_dual_mov_b32 v16, 0
	s_delay_alu instid0(VALU_DEP_2)
	s_and_saveexec_b32 s11, s2
	s_cbranch_execnz .LBB20_20
; %bb.16:                               ;   in Loop: Header=BB20_9 Depth=1
	s_or_b32 exec_lo, exec_lo, s11
	s_and_saveexec_b32 s3, vcc_lo
	s_cbranch_execnz .LBB20_21
.LBB20_17:                              ;   in Loop: Header=BB20_9 Depth=1
	s_or_b32 exec_lo, exec_lo, s3
	s_and_saveexec_b32 s3, s0
	s_cbranch_execnz .LBB20_22
.LBB20_18:                              ;   in Loop: Header=BB20_9 Depth=1
	s_or_b32 exec_lo, exec_lo, s3
	s_and_saveexec_b32 s0, s1
	s_cbranch_execnz .LBB20_23
.LBB20_19:                              ;   in Loop: Header=BB20_9 Depth=1
	s_or_b32 exec_lo, exec_lo, s0
	s_and_saveexec_b32 s0, s2
	s_cbranch_execz .LBB20_8
	s_branch .LBB20_24
.LBB20_20:                              ;   in Loop: Header=BB20_9 Depth=1
	v_add_co_u32 v14, s3, v32, s4
	s_delay_alu instid0(VALU_DEP_1) | instskip(SKIP_1) | instid1(VALU_DEP_1)
	v_add_co_ci_u32_e64 v15, s3, s5, v33, s3
	v_add_co_u32 v16, s3, v28, s4
	v_add_co_ci_u32_e64 v17, s3, s5, v29, s3
	global_load_b64 v[14:15], v[14:15], off offset:-4
	global_load_b64 v[16:17], v[16:17], off offset:-4
	s_or_b32 exec_lo, exec_lo, s11
	s_and_saveexec_b32 s3, vcc_lo
	s_cbranch_execz .LBB20_17
.LBB20_21:                              ;   in Loop: Header=BB20_9 Depth=1
	s_waitcnt vmcnt(0)
	v_dual_mul_f32 v42, s9, v7 :: v_dual_mul_f32 v43, s9, v6
	s_delay_alu instid0(VALU_DEP_1) | instskip(NEXT) | instid1(VALU_DEP_2)
	v_fma_f32 v42, v6, s8, -v42
	v_fmac_f32_e32 v43, s8, v7
	v_add_co_u32 v6, vcc_lo, v24, s4
	v_add_co_ci_u32_e32 v7, vcc_lo, s5, v25, vcc_lo
	s_delay_alu instid0(VALU_DEP_3)
	v_dual_add_f32 v4, v4, v42 :: v_dual_add_f32 v5, v5, v43
	global_store_b64 v[6:7], v[4:5], off offset:-4
	s_or_b32 exec_lo, exec_lo, s3
	s_and_saveexec_b32 s3, s0
	s_cbranch_execz .LBB20_18
.LBB20_22:                              ;   in Loop: Header=BB20_9 Depth=1
	s_waitcnt vmcnt(0)
	v_dual_mul_f32 v4, s9, v11 :: v_dual_mul_f32 v5, s9, v10
	v_add_co_u32 v6, vcc_lo, v22, s4
	v_add_co_ci_u32_e32 v7, vcc_lo, s5, v23, vcc_lo
	s_delay_alu instid0(VALU_DEP_3) | instskip(NEXT) | instid1(VALU_DEP_1)
	v_fma_f32 v4, v10, s8, -v4
	v_dual_fmac_f32 v5, s8, v11 :: v_dual_add_f32 v4, v8, v4
	s_delay_alu instid0(VALU_DEP_1)
	v_add_f32_e32 v5, v9, v5
	global_store_b64 v[6:7], v[4:5], off
	s_or_b32 exec_lo, exec_lo, s3
	s_and_saveexec_b32 s0, s1
	s_cbranch_execz .LBB20_19
.LBB20_23:                              ;   in Loop: Header=BB20_9 Depth=1
	s_waitcnt vmcnt(0)
	v_dual_mul_f32 v4, s9, v13 :: v_dual_mul_f32 v5, s9, v12
	s_delay_alu instid0(VALU_DEP_1) | instskip(NEXT) | instid1(VALU_DEP_1)
	v_fma_f32 v4, v12, s8, -v4
	v_dual_fmac_f32 v5, s8, v13 :: v_dual_add_f32 v2, v2, v4
	v_add_co_u32 v4, vcc_lo, v36, s4
	s_delay_alu instid0(VALU_DEP_2)
	v_add_f32_e32 v3, v3, v5
	v_add_co_ci_u32_e32 v5, vcc_lo, s5, v37, vcc_lo
	global_store_b64 v[4:5], v[2:3], off
	s_or_b32 exec_lo, exec_lo, s0
	s_and_saveexec_b32 s0, s2
	s_cbranch_execz .LBB20_8
.LBB20_24:                              ;   in Loop: Header=BB20_9 Depth=1
	s_waitcnt vmcnt(0)
	v_dual_mul_f32 v2, s9, v17 :: v_dual_mul_f32 v3, s9, v16
	v_add_co_u32 v4, vcc_lo, v34, s4
	v_add_co_ci_u32_e32 v5, vcc_lo, s5, v35, vcc_lo
	s_delay_alu instid0(VALU_DEP_3) | instskip(NEXT) | instid1(VALU_DEP_1)
	v_fma_f32 v2, v16, s8, -v2
	v_dual_fmac_f32 v3, s8, v17 :: v_dual_add_f32 v2, v14, v2
	s_delay_alu instid0(VALU_DEP_1)
	v_add_f32_e32 v3, v15, v3
	global_store_b64 v[4:5], v[2:3], off offset:-4
	s_branch .LBB20_8
.LBB20_25:
	s_nop 0
	s_sendmsg sendmsg(MSG_DEALLOC_VGPRS)
	s_endpgm
	.section	.rodata,"a",@progbits
	.p2align	6, 0x0
	.amdhsa_kernel _ZN2at6native12_GLOBAL__N_125multi_tensor_apply_kernelINS1_18TensorListMetadataILi3EEENS1_24BinaryOpListAlphaFunctorIN3c107complexIfEELi3ELi2ELi2EEEJSt4plusIS8_ES8_EEEvT_T0_DpT1_
		.amdhsa_group_segment_fixed_size 0
		.amdhsa_private_segment_fixed_size 0
		.amdhsa_kernarg_size 3416
		.amdhsa_user_sgpr_count 15
		.amdhsa_user_sgpr_dispatch_ptr 0
		.amdhsa_user_sgpr_queue_ptr 0
		.amdhsa_user_sgpr_kernarg_segment_ptr 1
		.amdhsa_user_sgpr_dispatch_id 0
		.amdhsa_user_sgpr_private_segment_size 0
		.amdhsa_wavefront_size32 1
		.amdhsa_uses_dynamic_stack 0
		.amdhsa_enable_private_segment 0
		.amdhsa_system_sgpr_workgroup_id_x 1
		.amdhsa_system_sgpr_workgroup_id_y 0
		.amdhsa_system_sgpr_workgroup_id_z 0
		.amdhsa_system_sgpr_workgroup_info 0
		.amdhsa_system_vgpr_workitem_id 0
		.amdhsa_next_free_vgpr 44
		.amdhsa_next_free_sgpr 27
		.amdhsa_reserve_vcc 1
		.amdhsa_float_round_mode_32 0
		.amdhsa_float_round_mode_16_64 0
		.amdhsa_float_denorm_mode_32 3
		.amdhsa_float_denorm_mode_16_64 3
		.amdhsa_dx10_clamp 1
		.amdhsa_ieee_mode 1
		.amdhsa_fp16_overflow 0
		.amdhsa_workgroup_processor_mode 1
		.amdhsa_memory_ordered 1
		.amdhsa_forward_progress 0
		.amdhsa_shared_vgpr_count 0
		.amdhsa_exception_fp_ieee_invalid_op 0
		.amdhsa_exception_fp_denorm_src 0
		.amdhsa_exception_fp_ieee_div_zero 0
		.amdhsa_exception_fp_ieee_overflow 0
		.amdhsa_exception_fp_ieee_underflow 0
		.amdhsa_exception_fp_ieee_inexact 0
		.amdhsa_exception_int_div_zero 0
	.end_amdhsa_kernel
	.section	.text._ZN2at6native12_GLOBAL__N_125multi_tensor_apply_kernelINS1_18TensorListMetadataILi3EEENS1_24BinaryOpListAlphaFunctorIN3c107complexIfEELi3ELi2ELi2EEEJSt4plusIS8_ES8_EEEvT_T0_DpT1_,"axG",@progbits,_ZN2at6native12_GLOBAL__N_125multi_tensor_apply_kernelINS1_18TensorListMetadataILi3EEENS1_24BinaryOpListAlphaFunctorIN3c107complexIfEELi3ELi2ELi2EEEJSt4plusIS8_ES8_EEEvT_T0_DpT1_,comdat
.Lfunc_end20:
	.size	_ZN2at6native12_GLOBAL__N_125multi_tensor_apply_kernelINS1_18TensorListMetadataILi3EEENS1_24BinaryOpListAlphaFunctorIN3c107complexIfEELi3ELi2ELi2EEEJSt4plusIS8_ES8_EEEvT_T0_DpT1_, .Lfunc_end20-_ZN2at6native12_GLOBAL__N_125multi_tensor_apply_kernelINS1_18TensorListMetadataILi3EEENS1_24BinaryOpListAlphaFunctorIN3c107complexIfEELi3ELi2ELi2EEEJSt4plusIS8_ES8_EEEvT_T0_DpT1_
                                        ; -- End function
	.section	.AMDGPU.csdata,"",@progbits
; Kernel info:
; codeLenInByte = 1976
; NumSgprs: 29
; NumVgprs: 44
; ScratchSize: 0
; MemoryBound: 0
; FloatMode: 240
; IeeeMode: 1
; LDSByteSize: 0 bytes/workgroup (compile time only)
; SGPRBlocks: 3
; VGPRBlocks: 5
; NumSGPRsForWavesPerEU: 29
; NumVGPRsForWavesPerEU: 44
; Occupancy: 16
; WaveLimiterHint : 0
; COMPUTE_PGM_RSRC2:SCRATCH_EN: 0
; COMPUTE_PGM_RSRC2:USER_SGPR: 15
; COMPUTE_PGM_RSRC2:TRAP_HANDLER: 0
; COMPUTE_PGM_RSRC2:TGID_X_EN: 1
; COMPUTE_PGM_RSRC2:TGID_Y_EN: 0
; COMPUTE_PGM_RSRC2:TGID_Z_EN: 0
; COMPUTE_PGM_RSRC2:TIDIG_COMP_CNT: 0
	.section	.text._ZN2at6native12_GLOBAL__N_125multi_tensor_apply_kernelINS1_18TensorListMetadataILi3EEENS1_24BinaryOpListAlphaFunctorIbLi3ELi2ELi2EEEJSt4plusIbEbEEEvT_T0_DpT1_,"axG",@progbits,_ZN2at6native12_GLOBAL__N_125multi_tensor_apply_kernelINS1_18TensorListMetadataILi3EEENS1_24BinaryOpListAlphaFunctorIbLi3ELi2ELi2EEEJSt4plusIbEbEEEvT_T0_DpT1_,comdat
	.globl	_ZN2at6native12_GLOBAL__N_125multi_tensor_apply_kernelINS1_18TensorListMetadataILi3EEENS1_24BinaryOpListAlphaFunctorIbLi3ELi2ELi2EEEJSt4plusIbEbEEEvT_T0_DpT1_ ; -- Begin function _ZN2at6native12_GLOBAL__N_125multi_tensor_apply_kernelINS1_18TensorListMetadataILi3EEENS1_24BinaryOpListAlphaFunctorIbLi3ELi2ELi2EEEJSt4plusIbEbEEEvT_T0_DpT1_
	.p2align	8
	.type	_ZN2at6native12_GLOBAL__N_125multi_tensor_apply_kernelINS1_18TensorListMetadataILi3EEENS1_24BinaryOpListAlphaFunctorIbLi3ELi2ELi2EEEJSt4plusIbEbEEEvT_T0_DpT1_,@function
_ZN2at6native12_GLOBAL__N_125multi_tensor_apply_kernelINS1_18TensorListMetadataILi3EEENS1_24BinaryOpListAlphaFunctorIbLi3ELi2ELi2EEEJSt4plusIbEbEEEvT_T0_DpT1_: ; @_ZN2at6native12_GLOBAL__N_125multi_tensor_apply_kernelINS1_18TensorListMetadataILi3EEENS1_24BinaryOpListAlphaFunctorIbLi3ELi2ELi2EEEJSt4plusIbEbEEEvT_T0_DpT1_
; %bb.0:
	v_mov_b32_e32 v1, s15
	s_mul_hi_u32 s3, s15, 3
	s_load_b32 s2, s[0:1], 0xc48
	global_load_u8 v1, v1, s[0:1] offset:1536
	s_waitcnt lgkmcnt(0)
	s_bitcmp1_b32 s2, 16
	s_mul_i32 s2, s15, 3
	s_cselect_b32 s20, -1, 0
	s_add_u32 s4, s0, s15
	s_addc_u32 s5, s1, 0
	s_add_u32 s2, s4, s2
	s_addc_u32 s3, s5, s3
	s_load_b32 s2, s[2:3], 0x740
	s_waitcnt vmcnt(0)
	v_readfirstlane_b32 s4, v1
	s_delay_alu instid0(VALU_DEP_1)
	s_lshl_b32 s3, s4, 3
	s_clause 0x3
	s_load_b64 s[10:11], s[0:1], s3 offset:0x0
	s_load_b64 s[12:13], s[0:1], s3 offset:0x180
	;; [unrolled: 1-line block ×4, first 2 shown]
	s_waitcnt lgkmcnt(0)
	s_ashr_i32 s3, s2, 31
	s_delay_alu instid0(SALU_CYCLE_1) | instskip(NEXT) | instid1(SALU_CYCLE_1)
	s_lshl_b64 s[16:17], s[2:3], 16
	s_add_u32 s18, s10, s16
	s_addc_u32 s19, s11, s17
	s_add_u32 s7, s12, s16
	s_addc_u32 s21, s13, s17
	;; [unrolled: 2-line block ×3, first 2 shown]
	s_or_b32 s2, s22, s7
	s_delay_alu instid0(SALU_CYCLE_1) | instskip(NEXT) | instid1(SALU_CYCLE_1)
	s_and_b32 s2, s2, 3
	s_cmp_lg_u32 s2, 0
	s_cselect_b32 s6, -1, 0
	s_sub_u32 s8, s4, s16
	s_subb_u32 s9, s5, s17
	s_or_b64 s[2:3], s[4:5], s[18:19]
	s_mov_b32 s3, 0
	s_and_b32 s2, s2, 3
	s_delay_alu instid0(SALU_CYCLE_1) | instskip(SKIP_1) | instid1(SALU_CYCLE_1)
	s_cmp_lg_u64 s[2:3], 0
	s_cselect_b32 s2, -1, 0
	s_or_b32 s2, s6, s2
	s_delay_alu instid0(SALU_CYCLE_1)
	s_and_not1_b32 vcc_lo, exec_lo, s2
	s_mov_b32 s2, -1
	s_cbranch_vccz .LBB21_5
; %bb.1:
	v_dual_mov_b32 v2, 0 :: v_dual_lshlrev_b32 v1, 2, v0
	s_mov_b32 s24, exec_lo
	s_delay_alu instid0(VALU_DEP_1)
	v_cmpx_gt_i64_e64 s[8:9], v[1:2]
	s_cbranch_execz .LBB21_4
; %bb.2:
	s_load_b32 s2, s[0:1], 0xc5c
	s_mov_b32 s26, 0
	s_waitcnt lgkmcnt(0)
	s_and_b32 s2, s2, 0xffff
	s_delay_alu instid0(SALU_CYCLE_1)
	s_lshl_b32 s25, s2, 2
.LBB21_3:                               ; =>This Inner Loop Header: Depth=1
	v_add_co_u32 v3, vcc_lo, s7, v1
	v_add_co_ci_u32_e32 v4, vcc_lo, s21, v2, vcc_lo
	global_load_b32 v5, v[3:4], off
	v_add_co_u32 v3, vcc_lo, s18, v1
	v_add_co_ci_u32_e32 v4, vcc_lo, s19, v2, vcc_lo
	global_load_b32 v6, v[3:4], off
	v_add_co_u32 v3, vcc_lo, s22, v1
	v_add_co_ci_u32_e32 v4, vcc_lo, s23, v2, vcc_lo
	v_add_co_u32 v1, vcc_lo, s25, v1
	v_add_co_ci_u32_e32 v2, vcc_lo, 0, v2, vcc_lo
	s_delay_alu instid0(VALU_DEP_1) | instskip(SKIP_1) | instid1(VALU_DEP_1)
	v_cmp_le_i64_e32 vcc_lo, s[8:9], v[1:2]
	v_cmp_lt_u64_e64 s2, 0xffff, v[1:2]
	s_or_b32 s2, vcc_lo, s2
	s_waitcnt vmcnt(1)
	v_and_b32_e32 v7, 0xff0000, v5
	v_and_b32_e32 v8, 0xff, v5
	v_cmp_lt_u32_e64 s3, 0xffffff, v5
	v_and_b32_e32 v9, 0xff00, v5
	s_delay_alu instid0(VALU_DEP_4) | instskip(NEXT) | instid1(VALU_DEP_4)
	v_cmp_ne_u32_e64 s4, 0, v7
	v_cmp_ne_u32_e64 s5, 0, v8
	s_delay_alu instid0(VALU_DEP_4) | instskip(NEXT) | instid1(VALU_DEP_3)
	s_and_b32 s3, s3, s20
	v_cmp_ne_u32_e64 s6, 0, v9
	v_cndmask_b32_e64 v5, 0, 0x1000000, s3
	s_and_b32 s3, s4, s20
	s_delay_alu instid0(SALU_CYCLE_1) | instskip(SKIP_1) | instid1(SALU_CYCLE_1)
	v_cndmask_b32_e64 v7, 0, 0x10000, s3
	s_and_b32 s3, s5, s20
	v_cndmask_b32_e64 v8, 0, 1, s3
	s_and_b32 s3, s6, s20
	s_waitcnt vmcnt(0)
	v_or3_b32 v5, v6, v5, v7
	v_cndmask_b32_e64 v9, 0, 0x100, s3
	s_and_b32 s2, exec_lo, s2
	s_delay_alu instid0(SALU_CYCLE_1) | instskip(NEXT) | instid1(VALU_DEP_1)
	s_or_b32 s26, s2, s26
	v_or3_b32 v5, v5, v9, v8
	global_store_b32 v[3:4], v5, off
	s_and_not1_b32 exec_lo, exec_lo, s26
	s_cbranch_execnz .LBB21_3
.LBB21_4:
	s_or_b32 exec_lo, exec_lo, s24
	s_mov_b32 s2, 0
.LBB21_5:
	s_delay_alu instid0(SALU_CYCLE_1)
	s_and_not1_b32 vcc_lo, exec_lo, s2
	s_cbranch_vccnz .LBB21_25
; %bb.6:
	v_cmp_lt_i64_e64 s2, s[8:9], 1
	s_delay_alu instid0(VALU_DEP_1)
	s_and_b32 vcc_lo, exec_lo, s2
	s_cbranch_vccnz .LBB21_25
; %bb.7:
	s_load_b32 s0, s[0:1], 0xc5c
	v_add_co_u32 v21, s1, s16, v0
	s_delay_alu instid0(VALU_DEP_1) | instskip(SKIP_1) | instid1(VALU_DEP_3)
	v_add_co_ci_u32_e64 v22, null, s17, 0, s1
	v_cmp_gt_u64_e64 s1, 0x10000, s[8:9]
	v_add_co_u32 v1, vcc_lo, s10, v21
	s_delay_alu instid0(VALU_DEP_3)
	v_add_co_ci_u32_e32 v2, vcc_lo, s11, v22, vcc_lo
	v_add_co_u32 v3, vcc_lo, s12, v21
	v_add_co_ci_u32_e32 v4, vcc_lo, s13, v22, vcc_lo
	v_add_co_u32 v5, vcc_lo, s14, v21
	v_add_co_ci_u32_e32 v6, vcc_lo, s15, v22, vcc_lo
	s_waitcnt lgkmcnt(0)
	s_and_b32 s0, s0, 0xffff
	s_and_b32 s1, s1, exec_lo
	s_mul_i32 s2, s0, 3
	s_cselect_b32 s5, s9, 0
	s_cselect_b32 s4, s8, 0x10000
	s_lshl_b32 s1, s0, 1
	s_lshl_b32 s18, s0, 2
	s_add_u32 s3, s16, s2
	s_addc_u32 s6, s17, 0
	v_add_co_u32 v11, s3, s3, v0
	s_delay_alu instid0(VALU_DEP_1) | instskip(SKIP_1) | instid1(VALU_DEP_2)
	v_add_co_ci_u32_e64 v12, null, s6, 0, s3
	s_add_u32 s3, s16, s1
	v_add_co_u32 v7, vcc_lo, s10, v11
	s_delay_alu instid0(VALU_DEP_2)
	v_add_co_ci_u32_e32 v8, vcc_lo, s11, v12, vcc_lo
	v_add_co_u32 v9, vcc_lo, s12, v11
	s_addc_u32 s6, s17, 0
	v_add_co_u32 v19, s3, s3, v0
	v_add_co_ci_u32_e32 v10, vcc_lo, s13, v12, vcc_lo
	v_add_co_u32 v11, vcc_lo, s14, v11
	v_add_co_ci_u32_e64 v20, null, s6, 0, s3
	v_add_co_ci_u32_e32 v12, vcc_lo, s15, v12, vcc_lo
	v_add_co_u32 v15, vcc_lo, s10, v19
	s_delay_alu instid0(VALU_DEP_3)
	v_add_co_ci_u32_e32 v16, vcc_lo, s11, v20, vcc_lo
	v_add_co_u32 v17, vcc_lo, s12, v19
	v_add_co_ci_u32_e32 v18, vcc_lo, s13, v20, vcc_lo
	v_add_co_u32 v19, vcc_lo, s14, v19
	v_add_co_ci_u32_e32 v20, vcc_lo, s15, v20, vcc_lo
	v_add_co_u32 v27, vcc_lo, v21, s0
	v_add_co_ci_u32_e32 v28, vcc_lo, 0, v22, vcc_lo
	v_add_co_u32 v13, s2, s2, v0
	s_delay_alu instid0(VALU_DEP_3) | instskip(NEXT) | instid1(VALU_DEP_3)
	v_add_co_u32 v23, vcc_lo, s10, v27
	v_add_co_ci_u32_e32 v24, vcc_lo, s11, v28, vcc_lo
	v_add_co_u32 v25, vcc_lo, s12, v27
	v_add_co_ci_u32_e32 v26, vcc_lo, s13, v28, vcc_lo
	v_add_co_u32 v21, s1, s1, v0
	v_add_co_u32 v27, vcc_lo, s14, v27
	v_add_co_u32 v29, s0, v0, s0
	v_add_co_ci_u32_e64 v14, null, 0, 0, s2
	v_add_co_ci_u32_e64 v22, null, 0, 0, s1
	v_add_co_ci_u32_e32 v28, vcc_lo, s15, v28, vcc_lo
	v_add_co_ci_u32_e64 v30, null, 0, 0, s0
	s_mov_b64 s[6:7], 0
	s_branch .LBB21_9
.LBB21_8:                               ;   in Loop: Header=BB21_9 Depth=1
	s_or_b32 exec_lo, exec_lo, s0
	s_add_u32 s6, s6, s18
	s_addc_u32 s7, s7, 0
	s_delay_alu instid0(SALU_CYCLE_1) | instskip(SKIP_1) | instid1(VALU_DEP_1)
	v_cmp_ge_i64_e64 s0, s[6:7], s[8:9]
	v_cmp_lt_u64_e64 s1, 0xffff, s[6:7]
	s_or_b32 s0, s0, s1
	s_delay_alu instid0(SALU_CYCLE_1)
	s_and_b32 vcc_lo, exec_lo, s0
	s_cbranch_vccnz .LBB21_25
.LBB21_9:                               ; =>This Inner Loop Header: Depth=1
	s_waitcnt vmcnt(0)
	v_add_co_u32 v33, s0, v0, s6
	s_delay_alu instid0(VALU_DEP_1) | instskip(SKIP_1) | instid1(VALU_DEP_2)
	v_add_co_ci_u32_e64 v34, null, 0, s7, s0
	v_dual_mov_b32 v32, 0 :: v_dual_mov_b32 v31, 0
	v_cmp_gt_u64_e32 vcc_lo, s[4:5], v[33:34]
	v_mov_b32_e32 v33, 0
	s_and_saveexec_b32 s1, vcc_lo
	s_cbranch_execz .LBB21_11
; %bb.10:                               ;   in Loop: Header=BB21_9 Depth=1
	v_add_co_u32 v33, s0, v1, s6
	s_delay_alu instid0(VALU_DEP_1) | instskip(SKIP_1) | instid1(VALU_DEP_1)
	v_add_co_ci_u32_e64 v34, s0, s7, v2, s0
	v_add_co_u32 v35, s0, v3, s6
	v_add_co_ci_u32_e64 v36, s0, s7, v4, s0
	global_load_u8 v31, v[33:34], off
	global_load_u8 v33, v[35:36], off
.LBB21_11:                              ;   in Loop: Header=BB21_9 Depth=1
	s_or_b32 exec_lo, exec_lo, s1
	v_add_co_u32 v34, s0, v29, s6
	s_delay_alu instid0(VALU_DEP_1) | instskip(NEXT) | instid1(VALU_DEP_1)
	v_add_co_ci_u32_e64 v35, s0, s7, v30, s0
	v_cmp_gt_u64_e64 s0, s[4:5], v[34:35]
	s_delay_alu instid0(VALU_DEP_1)
	s_and_saveexec_b32 s2, s0
	s_cbranch_execz .LBB21_13
; %bb.12:                               ;   in Loop: Header=BB21_9 Depth=1
	v_add_co_u32 v34, s1, v23, s6
	s_delay_alu instid0(VALU_DEP_1) | instskip(SKIP_2) | instid1(VALU_DEP_1)
	v_add_co_ci_u32_e64 v35, s1, s7, v24, s1
	global_load_u8 v36, v[34:35], off
	v_add_co_u32 v34, s1, v25, s6
	v_add_co_ci_u32_e64 v35, s1, s7, v26, s1
	global_load_u8 v32, v[34:35], off
	s_waitcnt vmcnt(1)
	v_lshl_or_b32 v31, v36, 8, v31
.LBB21_13:                              ;   in Loop: Header=BB21_9 Depth=1
	s_or_b32 exec_lo, exec_lo, s2
	v_add_co_u32 v34, s1, v21, s6
	s_delay_alu instid0(VALU_DEP_1) | instskip(NEXT) | instid1(VALU_DEP_1)
	v_add_co_ci_u32_e64 v35, s1, s7, v22, s1
	v_cmp_gt_u64_e64 s1, s[4:5], v[34:35]
	v_dual_mov_b32 v34, 0 :: v_dual_mov_b32 v35, 0
	s_delay_alu instid0(VALU_DEP_2)
	s_and_saveexec_b32 s3, s1
	s_cbranch_execz .LBB21_15
; %bb.14:                               ;   in Loop: Header=BB21_9 Depth=1
	v_add_co_u32 v35, s2, v15, s6
	s_delay_alu instid0(VALU_DEP_1) | instskip(SKIP_2) | instid1(VALU_DEP_1)
	v_add_co_ci_u32_e64 v36, s2, s7, v16, s2
	global_load_u8 v37, v[35:36], off
	v_add_co_u32 v35, s2, v17, s6
	v_add_co_ci_u32_e64 v36, s2, s7, v18, s2
	global_load_u8 v35, v[35:36], off
	s_waitcnt vmcnt(1)
	v_lshl_or_b32 v31, v37, 16, v31
.LBB21_15:                              ;   in Loop: Header=BB21_9 Depth=1
	s_or_b32 exec_lo, exec_lo, s3
	v_add_co_u32 v36, s2, v13, s6
	s_delay_alu instid0(VALU_DEP_1) | instskip(NEXT) | instid1(VALU_DEP_1)
	v_add_co_ci_u32_e64 v37, s2, s7, v14, s2
	v_cmp_gt_u64_e64 s2, s[4:5], v[36:37]
	s_delay_alu instid0(VALU_DEP_1)
	s_and_saveexec_b32 s10, s2
	s_cbranch_execnz .LBB21_20
; %bb.16:                               ;   in Loop: Header=BB21_9 Depth=1
	s_or_b32 exec_lo, exec_lo, s10
	s_and_saveexec_b32 s3, vcc_lo
	s_cbranch_execnz .LBB21_21
.LBB21_17:                              ;   in Loop: Header=BB21_9 Depth=1
	s_or_b32 exec_lo, exec_lo, s3
	s_and_saveexec_b32 s3, s0
	s_cbranch_execnz .LBB21_22
.LBB21_18:                              ;   in Loop: Header=BB21_9 Depth=1
	s_or_b32 exec_lo, exec_lo, s3
	s_and_saveexec_b32 s0, s1
	s_cbranch_execnz .LBB21_23
.LBB21_19:                              ;   in Loop: Header=BB21_9 Depth=1
	s_or_b32 exec_lo, exec_lo, s0
	s_and_saveexec_b32 s0, s2
	s_cbranch_execz .LBB21_8
	s_branch .LBB21_24
.LBB21_20:                              ;   in Loop: Header=BB21_9 Depth=1
	v_add_co_u32 v36, s3, v7, s6
	s_delay_alu instid0(VALU_DEP_1) | instskip(SKIP_2) | instid1(VALU_DEP_1)
	v_add_co_ci_u32_e64 v37, s3, s7, v8, s3
	global_load_u8 v38, v[36:37], off
	v_add_co_u32 v36, s3, v9, s6
	v_add_co_ci_u32_e64 v37, s3, s7, v10, s3
	global_load_u8 v34, v[36:37], off
	s_waitcnt vmcnt(1)
	v_lshl_or_b32 v31, v38, 24, v31
	s_or_b32 exec_lo, exec_lo, s10
	s_and_saveexec_b32 s3, vcc_lo
	s_cbranch_execz .LBB21_17
.LBB21_21:                              ;   in Loop: Header=BB21_9 Depth=1
	s_waitcnt vmcnt(0)
	v_and_b32_e32 v33, 0xff, v33
	s_delay_alu instid0(VALU_DEP_1) | instskip(SKIP_4) | instid1(VALU_DEP_2)
	v_cmp_ne_u16_e32 vcc_lo, 0, v33
	s_and_b32 s10, vcc_lo, s20
	v_add_co_u32 v36, vcc_lo, v5, s6
	v_cndmask_b32_e64 v33, 0, 1, s10
	v_add_co_ci_u32_e32 v37, vcc_lo, s7, v6, vcc_lo
	v_or_b32_e32 v33, v31, v33
	global_store_b8 v[36:37], v33, off
	s_or_b32 exec_lo, exec_lo, s3
	s_and_saveexec_b32 s3, s0
	s_cbranch_execz .LBB21_18
.LBB21_22:                              ;   in Loop: Header=BB21_9 Depth=1
	s_waitcnt vmcnt(0)
	v_and_b32_e32 v32, 0xff, v32
	s_delay_alu instid0(VALU_DEP_1) | instskip(SKIP_1) | instid1(SALU_CYCLE_1)
	v_cmp_ne_u16_e32 vcc_lo, 0, v32
	s_and_b32 s0, vcc_lo, s20
	v_cndmask_b32_e64 v32, 0, 0x100, s0
	s_delay_alu instid0(VALU_DEP_1) | instskip(NEXT) | instid1(VALU_DEP_1)
	v_or_b32_e32 v32, v31, v32
	v_lshrrev_b32_e32 v36, 8, v32
	v_add_co_u32 v32, vcc_lo, v27, s6
	v_add_co_ci_u32_e32 v33, vcc_lo, s7, v28, vcc_lo
	global_store_b8 v[32:33], v36, off
	s_or_b32 exec_lo, exec_lo, s3
	s_and_saveexec_b32 s0, s1
	s_cbranch_execz .LBB21_19
.LBB21_23:                              ;   in Loop: Header=BB21_9 Depth=1
	s_waitcnt vmcnt(0)
	v_and_b32_e32 v32, 0xff, v35
	s_delay_alu instid0(VALU_DEP_1) | instskip(SKIP_1) | instid1(SALU_CYCLE_1)
	v_cmp_ne_u16_e32 vcc_lo, 0, v32
	s_and_b32 s1, vcc_lo, s20
	v_cndmask_b32_e64 v32, 0, 0x10000, s1
	s_delay_alu instid0(VALU_DEP_1)
	v_or_b32_e32 v35, v31, v32
	v_add_co_u32 v32, vcc_lo, v19, s6
	v_add_co_ci_u32_e32 v33, vcc_lo, s7, v20, vcc_lo
	global_store_d16_hi_b8 v[32:33], v35, off
	s_or_b32 exec_lo, exec_lo, s0
	s_and_saveexec_b32 s0, s2
	s_cbranch_execz .LBB21_8
.LBB21_24:                              ;   in Loop: Header=BB21_9 Depth=1
	s_waitcnt vmcnt(0)
	v_and_b32_e32 v32, 0xff, v34
	s_delay_alu instid0(VALU_DEP_1) | instskip(SKIP_1) | instid1(SALU_CYCLE_1)
	v_cmp_ne_u16_e32 vcc_lo, 0, v32
	s_and_b32 s1, vcc_lo, s20
	v_cndmask_b32_e64 v32, 0, 0x1000000, s1
	s_delay_alu instid0(VALU_DEP_1) | instskip(NEXT) | instid1(VALU_DEP_1)
	v_or_b32_e32 v31, v32, v31
	v_lshrrev_b32_e32 v33, 24, v31
	v_add_co_u32 v31, vcc_lo, v11, s6
	v_add_co_ci_u32_e32 v32, vcc_lo, s7, v12, vcc_lo
	global_store_b8 v[31:32], v33, off
	s_branch .LBB21_8
.LBB21_25:
	s_nop 0
	s_sendmsg sendmsg(MSG_DEALLOC_VGPRS)
	s_endpgm
	.section	.rodata,"a",@progbits
	.p2align	6, 0x0
	.amdhsa_kernel _ZN2at6native12_GLOBAL__N_125multi_tensor_apply_kernelINS1_18TensorListMetadataILi3EEENS1_24BinaryOpListAlphaFunctorIbLi3ELi2ELi2EEEJSt4plusIbEbEEEvT_T0_DpT1_
		.amdhsa_group_segment_fixed_size 0
		.amdhsa_private_segment_fixed_size 0
		.amdhsa_kernarg_size 3408
		.amdhsa_user_sgpr_count 15
		.amdhsa_user_sgpr_dispatch_ptr 0
		.amdhsa_user_sgpr_queue_ptr 0
		.amdhsa_user_sgpr_kernarg_segment_ptr 1
		.amdhsa_user_sgpr_dispatch_id 0
		.amdhsa_user_sgpr_private_segment_size 0
		.amdhsa_wavefront_size32 1
		.amdhsa_uses_dynamic_stack 0
		.amdhsa_enable_private_segment 0
		.amdhsa_system_sgpr_workgroup_id_x 1
		.amdhsa_system_sgpr_workgroup_id_y 0
		.amdhsa_system_sgpr_workgroup_id_z 0
		.amdhsa_system_sgpr_workgroup_info 0
		.amdhsa_system_vgpr_workitem_id 0
		.amdhsa_next_free_vgpr 39
		.amdhsa_next_free_sgpr 27
		.amdhsa_reserve_vcc 1
		.amdhsa_float_round_mode_32 0
		.amdhsa_float_round_mode_16_64 0
		.amdhsa_float_denorm_mode_32 3
		.amdhsa_float_denorm_mode_16_64 3
		.amdhsa_dx10_clamp 1
		.amdhsa_ieee_mode 1
		.amdhsa_fp16_overflow 0
		.amdhsa_workgroup_processor_mode 1
		.amdhsa_memory_ordered 1
		.amdhsa_forward_progress 0
		.amdhsa_shared_vgpr_count 0
		.amdhsa_exception_fp_ieee_invalid_op 0
		.amdhsa_exception_fp_denorm_src 0
		.amdhsa_exception_fp_ieee_div_zero 0
		.amdhsa_exception_fp_ieee_overflow 0
		.amdhsa_exception_fp_ieee_underflow 0
		.amdhsa_exception_fp_ieee_inexact 0
		.amdhsa_exception_int_div_zero 0
	.end_amdhsa_kernel
	.section	.text._ZN2at6native12_GLOBAL__N_125multi_tensor_apply_kernelINS1_18TensorListMetadataILi3EEENS1_24BinaryOpListAlphaFunctorIbLi3ELi2ELi2EEEJSt4plusIbEbEEEvT_T0_DpT1_,"axG",@progbits,_ZN2at6native12_GLOBAL__N_125multi_tensor_apply_kernelINS1_18TensorListMetadataILi3EEENS1_24BinaryOpListAlphaFunctorIbLi3ELi2ELi2EEEJSt4plusIbEbEEEvT_T0_DpT1_,comdat
.Lfunc_end21:
	.size	_ZN2at6native12_GLOBAL__N_125multi_tensor_apply_kernelINS1_18TensorListMetadataILi3EEENS1_24BinaryOpListAlphaFunctorIbLi3ELi2ELi2EEEJSt4plusIbEbEEEvT_T0_DpT1_, .Lfunc_end21-_ZN2at6native12_GLOBAL__N_125multi_tensor_apply_kernelINS1_18TensorListMetadataILi3EEENS1_24BinaryOpListAlphaFunctorIbLi3ELi2ELi2EEEJSt4plusIbEbEEEvT_T0_DpT1_
                                        ; -- End function
	.section	.AMDGPU.csdata,"",@progbits
; Kernel info:
; codeLenInByte = 1816
; NumSgprs: 29
; NumVgprs: 39
; ScratchSize: 0
; MemoryBound: 0
; FloatMode: 240
; IeeeMode: 1
; LDSByteSize: 0 bytes/workgroup (compile time only)
; SGPRBlocks: 3
; VGPRBlocks: 4
; NumSGPRsForWavesPerEU: 29
; NumVGPRsForWavesPerEU: 39
; Occupancy: 16
; WaveLimiterHint : 0
; COMPUTE_PGM_RSRC2:SCRATCH_EN: 0
; COMPUTE_PGM_RSRC2:USER_SGPR: 15
; COMPUTE_PGM_RSRC2:TRAP_HANDLER: 0
; COMPUTE_PGM_RSRC2:TGID_X_EN: 1
; COMPUTE_PGM_RSRC2:TGID_Y_EN: 0
; COMPUTE_PGM_RSRC2:TGID_Z_EN: 0
; COMPUTE_PGM_RSRC2:TIDIG_COMP_CNT: 0
	.section	.text._ZN2at6native12_GLOBAL__N_125multi_tensor_apply_kernelINS1_18TensorListMetadataILi3EEENS1_24BinaryOpListAlphaFunctorIN3c108BFloat16ELi3ELi2ELi2EEEJSt4plusIfEfEEEvT_T0_DpT1_,"axG",@progbits,_ZN2at6native12_GLOBAL__N_125multi_tensor_apply_kernelINS1_18TensorListMetadataILi3EEENS1_24BinaryOpListAlphaFunctorIN3c108BFloat16ELi3ELi2ELi2EEEJSt4plusIfEfEEEvT_T0_DpT1_,comdat
	.globl	_ZN2at6native12_GLOBAL__N_125multi_tensor_apply_kernelINS1_18TensorListMetadataILi3EEENS1_24BinaryOpListAlphaFunctorIN3c108BFloat16ELi3ELi2ELi2EEEJSt4plusIfEfEEEvT_T0_DpT1_ ; -- Begin function _ZN2at6native12_GLOBAL__N_125multi_tensor_apply_kernelINS1_18TensorListMetadataILi3EEENS1_24BinaryOpListAlphaFunctorIN3c108BFloat16ELi3ELi2ELi2EEEJSt4plusIfEfEEEvT_T0_DpT1_
	.p2align	8
	.type	_ZN2at6native12_GLOBAL__N_125multi_tensor_apply_kernelINS1_18TensorListMetadataILi3EEENS1_24BinaryOpListAlphaFunctorIN3c108BFloat16ELi3ELi2ELi2EEEJSt4plusIfEfEEEvT_T0_DpT1_,@function
_ZN2at6native12_GLOBAL__N_125multi_tensor_apply_kernelINS1_18TensorListMetadataILi3EEENS1_24BinaryOpListAlphaFunctorIN3c108BFloat16ELi3ELi2ELi2EEEJSt4plusIfEfEEEvT_T0_DpT1_: ; @_ZN2at6native12_GLOBAL__N_125multi_tensor_apply_kernelINS1_18TensorListMetadataILi3EEENS1_24BinaryOpListAlphaFunctorIN3c108BFloat16ELi3ELi2ELi2EEEJSt4plusIfEfEEEvT_T0_DpT1_
; %bb.0:
	v_mov_b32_e32 v1, s15
	s_add_u32 s2, s0, s15
	s_mul_hi_u32 s3, s15, 3
	s_mul_i32 s15, s15, 3
	s_addc_u32 s4, s1, 0
	global_load_u8 v1, v1, s[0:1] offset:1536
	s_load_b32 s16, s[0:1], 0xc4c
	s_add_u32 s2, s2, s15
	s_addc_u32 s3, s4, s3
	s_mov_b32 s19, 0
	s_load_b32 s2, s[2:3], 0x740
	s_mov_b32 s21, s19
	s_waitcnt vmcnt(0)
	v_readfirstlane_b32 s3, v1
	s_delay_alu instid0(VALU_DEP_1)
	s_lshl_b32 s3, s3, 3
	s_clause 0x3
	s_load_b64 s[12:13], s[0:1], s3 offset:0x180
	s_load_b64 s[10:11], s[0:1], s3 offset:0x300
	;; [unrolled: 1-line block ×4, first 2 shown]
	s_waitcnt lgkmcnt(0)
	s_ashr_i32 s3, s2, 31
	s_delay_alu instid0(SALU_CYCLE_1) | instskip(NEXT) | instid1(SALU_CYCLE_1)
	s_lshl_b64 s[6:7], s[2:3], 17
	s_add_u32 s8, s12, s6
	s_delay_alu instid0(SALU_CYCLE_1) | instskip(SKIP_2) | instid1(SALU_CYCLE_1)
	s_or_b32 s8, s10, s8
	s_and_b32 s18, s14, 7
	s_and_b32 s8, s8, 7
	s_cmp_lg_u32 s8, 0
	s_cselect_b32 s17, -1, 0
	s_lshl_b64 s[2:3], s[2:3], 16
	s_delay_alu instid0(SALU_CYCLE_1) | instskip(SKIP_2) | instid1(SALU_CYCLE_1)
	s_sub_u32 s8, s4, s2
	s_subb_u32 s9, s5, s3
	s_and_b32 s20, s4, 3
	s_or_b64 s[2:3], s[18:19], s[20:21]
	s_delay_alu instid0(SALU_CYCLE_1) | instskip(SKIP_1) | instid1(SALU_CYCLE_1)
	s_cmp_lg_u64 s[2:3], 0
	s_cselect_b32 s2, -1, 0
	s_or_b32 s2, s17, s2
	s_delay_alu instid0(SALU_CYCLE_1)
	s_and_not1_b32 vcc_lo, exec_lo, s2
	s_mov_b32 s2, -1
	s_cbranch_vccz .LBB22_5
; %bb.1:
	v_dual_mov_b32 v2, 0 :: v_dual_lshlrev_b32 v1, 2, v0
	s_mov_b32 s17, exec_lo
	s_delay_alu instid0(VALU_DEP_1)
	v_cmpx_gt_i64_e64 s[8:9], v[1:2]
	s_cbranch_execz .LBB22_4
; %bb.2:
	s_load_b32 s2, s[0:1], 0xc5c
	v_lshlrev_b32_e32 v1, 3, v0
	s_mov_b32 s18, 0
	s_delay_alu instid0(VALU_DEP_1) | instskip(NEXT) | instid1(VALU_DEP_1)
	v_add_co_u32 v3, s3, s6, v1
	v_add_co_ci_u32_e64 v4, null, s7, 0, s3
	s_waitcnt lgkmcnt(0)
	s_and_b32 s2, s2, 0xffff
	s_delay_alu instid0(SALU_CYCLE_1)
	v_add_lshl_u32 v1, v0, s2, 2
	s_lshl_b32 s19, s2, 3
	s_lshl_b32 s20, s2, 2
.LBB22_3:                               ; =>This Inner Loop Header: Depth=1
	v_add_co_u32 v5, vcc_lo, s14, v3
	v_add_co_ci_u32_e32 v6, vcc_lo, s15, v4, vcc_lo
	v_add_co_u32 v7, vcc_lo, s12, v3
	v_add_co_ci_u32_e32 v8, vcc_lo, s13, v4, vcc_lo
	v_add_co_u32 v9, vcc_lo, s10, v3
	global_load_b64 v[5:6], v[5:6], off
	global_load_b64 v[7:8], v[7:8], off
	v_add_co_ci_u32_e32 v10, vcc_lo, s11, v4, vcc_lo
	v_cmp_le_i64_e32 vcc_lo, s[8:9], v[1:2]
	v_cmp_lt_u64_e64 s2, 0xffff, v[1:2]
	v_add_co_u32 v3, s3, v3, s19
	s_delay_alu instid0(VALU_DEP_1) | instskip(SKIP_1) | instid1(VALU_DEP_4)
	v_add_co_ci_u32_e64 v4, s3, 0, v4, s3
	v_add_co_u32 v1, s3, v1, s20
	s_or_b32 s2, vcc_lo, s2
	v_add_co_ci_u32_e64 v2, s3, 0, v2, s3
	s_and_b32 s2, exec_lo, s2
	s_delay_alu instid0(SALU_CYCLE_1)
	s_or_b32 s18, s2, s18
	s_waitcnt vmcnt(1)
	v_and_b32_e32 v13, 0xffff0000, v5
	s_waitcnt vmcnt(0)
	v_and_b32_e32 v14, 0xffff0000, v7
	v_lshlrev_b32_e32 v12, 16, v7
	v_alignbit_b32 v7, v8, v7, 16
	v_and_b32_e32 v8, 0xffff0000, v8
	v_lshlrev_b32_e32 v11, 16, v5
	v_alignbit_b32 v5, v6, v5, 16
	v_fmac_f32_e32 v13, s16, v14
	v_and_b32_e32 v7, 0xffff0000, v7
	s_delay_alu instid0(VALU_DEP_3) | instskip(SKIP_1) | instid1(VALU_DEP_4)
	v_and_b32_e32 v5, 0xffff0000, v5
	v_and_b32_e32 v6, 0xffff0000, v6
	v_cmp_o_f32_e64 s4, v13, v13
	s_delay_alu instid0(VALU_DEP_2) | instskip(SKIP_2) | instid1(VALU_DEP_3)
	v_dual_fmac_f32 v5, s16, v7 :: v_dual_fmac_f32 v6, s16, v8
	v_fmac_f32_e32 v11, s16, v12
	v_bfe_u32 v12, v13, 16, 1
	v_bfe_u32 v14, v5, 16, 1
	s_delay_alu instid0(VALU_DEP_4) | instskip(NEXT) | instid1(VALU_DEP_4)
	v_bfe_u32 v7, v6, 16, 1
	v_bfe_u32 v8, v11, 16, 1
	s_delay_alu instid0(VALU_DEP_4)
	v_add3_u32 v12, v13, v12, 0x7fff
	v_cmp_o_f32_e64 s5, v11, v11
	v_add3_u32 v14, v5, v14, 0x7fff
	v_add3_u32 v7, v6, v7, 0x7fff
	;; [unrolled: 1-line block ×3, first 2 shown]
	v_and_b32_e32 v12, 0xffff0000, v12
	s_delay_alu instid0(VALU_DEP_4) | instskip(NEXT) | instid1(VALU_DEP_4)
	v_lshrrev_b32_e32 v11, 16, v14
	v_and_b32_e32 v7, 0xffff0000, v7
	s_delay_alu instid0(VALU_DEP_4) | instskip(NEXT) | instid1(VALU_DEP_4)
	v_lshrrev_b32_e32 v8, 16, v8
	v_cndmask_b32_e64 v12, 0x7fc00000, v12, s4
	v_cmp_o_f32_e64 s4, v6, v6
	s_delay_alu instid0(VALU_DEP_3) | instskip(NEXT) | instid1(VALU_DEP_2)
	v_cndmask_b32_e64 v8, 0x7fc0, v8, s5
	v_cndmask_b32_e64 v6, 0x7fc00000, v7, s4
	v_cmp_o_f32_e64 s4, v5, v5
	s_delay_alu instid0(VALU_DEP_3) | instskip(NEXT) | instid1(VALU_DEP_2)
	v_or_b32_e32 v7, v8, v12
	v_cndmask_b32_e64 v5, 0x7fc0, v11, s4
	s_delay_alu instid0(VALU_DEP_1) | instskip(NEXT) | instid1(VALU_DEP_3)
	v_or3_b32 v6, 0, v5, v6
	v_or3_b32 v5, v7, 0, 0
	global_store_b64 v[9:10], v[5:6], off
	s_and_not1_b32 exec_lo, exec_lo, s18
	s_cbranch_execnz .LBB22_3
.LBB22_4:
	s_or_b32 exec_lo, exec_lo, s17
	s_mov_b32 s2, 0
.LBB22_5:
	s_delay_alu instid0(SALU_CYCLE_1)
	s_and_not1_b32 vcc_lo, exec_lo, s2
	s_cbranch_vccnz .LBB22_25
; %bb.6:
	v_cmp_lt_i64_e64 s2, s[8:9], 1
	s_delay_alu instid0(VALU_DEP_1)
	s_and_b32 vcc_lo, exec_lo, s2
	s_cbranch_vccnz .LBB22_25
; %bb.7:
	s_load_b32 s0, s[0:1], 0xc5c
	v_dual_mov_b32 v2, 0 :: v_dual_lshlrev_b32 v1, 1, v0
	v_cmp_gt_u64_e64 s1, 0x10000, s[8:9]
	s_delay_alu instid0(VALU_DEP_2) | instskip(NEXT) | instid1(VALU_DEP_1)
	v_add_co_u32 v3, s2, s14, v1
	v_add_co_ci_u32_e64 v4, null, s15, 0, s2
	v_add_co_u32 v5, s2, s12, v1
	s_delay_alu instid0(VALU_DEP_1) | instskip(SKIP_1) | instid1(VALU_DEP_1)
	v_add_co_ci_u32_e64 v6, null, s13, 0, s2
	v_add_co_u32 v7, s2, s10, v1
	v_add_co_ci_u32_e64 v8, null, s11, 0, s2
	s_waitcnt lgkmcnt(0)
	s_and_b32 s0, s0, 0xffff
	s_and_b32 s1, s1, exec_lo
	v_mad_u64_u32 v[13:14], null, s0, 6, v[1:2]
	s_cselect_b32 s5, s9, 0
	s_cselect_b32 s4, s8, 0x10000
	s_lshl_b32 s17, s0, 2
	s_mul_i32 s2, s0, 3
	v_add_co_u32 v1, s3, s17, v1
	s_delay_alu instid0(VALU_DEP_2) | instskip(NEXT) | instid1(VALU_DEP_3)
	v_add_co_u32 v9, vcc_lo, s14, v13
	v_add_co_ci_u32_e32 v10, vcc_lo, s15, v14, vcc_lo
	v_add_co_u32 v11, vcc_lo, s12, v13
	v_add_co_ci_u32_e32 v12, vcc_lo, s13, v14, vcc_lo
	v_add_co_u32 v13, vcc_lo, s10, v13
	v_add_co_ci_u32_e64 v2, null, 0, 0, s3
	v_add_co_ci_u32_e32 v14, vcc_lo, s11, v14, vcc_lo
	v_add_co_u32 v15, s2, s2, v0
	v_add_co_u32 v17, vcc_lo, s14, v1
	v_add_co_ci_u32_e64 v16, null, 0, 0, s2
	v_add_co_u32 v21, s2, v0, s0
	v_add_co_ci_u32_e32 v18, vcc_lo, s15, v2, vcc_lo
	v_add_co_u32 v19, vcc_lo, s12, v1
	v_add_co_ci_u32_e32 v20, vcc_lo, s13, v2, vcc_lo
	v_add_co_u32 v22, vcc_lo, s10, v1
	v_lshlrev_b32_e32 v1, 1, v21
	s_lshl_b32 s1, s0, 1
	v_add_co_ci_u32_e32 v23, vcc_lo, s11, v2, vcc_lo
	v_add_co_u32 v25, s1, s1, v0
	s_delay_alu instid0(VALU_DEP_1) | instskip(SKIP_1) | instid1(VALU_DEP_1)
	v_add_co_ci_u32_e64 v26, null, 0, 0, s1
	v_add_co_u32 v27, s1, s14, v1
	v_add_co_ci_u32_e64 v28, null, s15, 0, s1
	v_add_co_u32 v29, s1, s12, v1
	s_delay_alu instid0(VALU_DEP_1)
	v_add_co_ci_u32_e64 v30, null, s13, 0, s1
	v_add_co_u32 v31, s1, s10, v1
	v_add_co_ci_u32_e64 v24, null, 0, 0, s2
	v_add_co_ci_u32_e64 v32, null, s11, 0, s1
	s_mov_b32 s12, 0
	s_lshl_b32 s13, s0, 3
	s_mov_b64 s[10:11], 0
	s_branch .LBB22_9
.LBB22_8:                               ;   in Loop: Header=BB22_9 Depth=1
	s_or_b32 exec_lo, exec_lo, s0
	v_add_co_u32 v3, vcc_lo, v3, s13
	v_add_co_ci_u32_e32 v4, vcc_lo, 0, v4, vcc_lo
	v_add_co_u32 v5, vcc_lo, v5, s13
	v_add_co_ci_u32_e32 v6, vcc_lo, 0, v6, vcc_lo
	;; [unrolled: 2-line block ×9, first 2 shown]
	s_add_u32 s10, s10, s17
	v_add_co_u32 v27, vcc_lo, v27, s13
	s_addc_u32 s11, s11, 0
	v_add_co_ci_u32_e32 v28, vcc_lo, 0, v28, vcc_lo
	v_cmp_ge_i64_e64 s0, s[10:11], s[8:9]
	v_cmp_lt_u64_e64 s1, 0xffff, s[10:11]
	v_add_co_u32 v29, vcc_lo, v29, s13
	v_add_co_ci_u32_e32 v30, vcc_lo, 0, v30, vcc_lo
	v_add_co_u32 v31, vcc_lo, v31, s13
	v_add_co_ci_u32_e32 v32, vcc_lo, 0, v32, vcc_lo
	s_or_b32 s0, s0, s1
	s_delay_alu instid0(SALU_CYCLE_1)
	s_and_b32 vcc_lo, exec_lo, s0
	s_cbranch_vccnz .LBB22_25
.LBB22_9:                               ; =>This Inner Loop Header: Depth=1
	v_add_co_u32 v1, s0, v0, s10
	s_delay_alu instid0(VALU_DEP_1) | instskip(SKIP_2) | instid1(VALU_DEP_2)
	v_add_co_ci_u32_e64 v2, null, 0, s11, s0
	s_waitcnt vmcnt(0)
	v_mov_b32_e32 v34, 0
	v_cmp_gt_u64_e32 vcc_lo, s[4:5], v[1:2]
	v_mov_b32_e32 v1, 0
	v_mov_b32_e32 v2, 0
	s_and_saveexec_b32 s1, vcc_lo
	s_cbranch_execz .LBB22_11
; %bb.10:                               ;   in Loop: Header=BB22_9 Depth=1
	v_add_co_u32 v1, s0, v3, s6
	s_delay_alu instid0(VALU_DEP_1) | instskip(SKIP_2) | instid1(VALU_DEP_1)
	v_add_co_ci_u32_e64 v2, s0, s7, v4, s0
	global_load_u16 v33, v[1:2], off
	v_add_co_u32 v1, s0, v5, s6
	v_add_co_ci_u32_e64 v2, s0, s7, v6, s0
	global_load_u16 v34, v[1:2], off
	s_waitcnt vmcnt(1)
	v_dual_mov_b32 v2, s12 :: v_dual_and_b32 v1, 0xffff, v33
.LBB22_11:                              ;   in Loop: Header=BB22_9 Depth=1
	s_or_b32 exec_lo, exec_lo, s1
	v_add_co_u32 v35, s0, v21, s10
	s_delay_alu instid0(VALU_DEP_1) | instskip(SKIP_1) | instid1(VALU_DEP_2)
	v_add_co_ci_u32_e64 v36, s0, s11, v24, s0
	v_mov_b32_e32 v33, 0
	v_cmp_gt_u64_e64 s0, s[4:5], v[35:36]
	v_mov_b32_e32 v35, 0
	s_delay_alu instid0(VALU_DEP_2)
	s_and_saveexec_b32 s2, s0
	s_cbranch_execz .LBB22_13
; %bb.12:                               ;   in Loop: Header=BB22_9 Depth=1
	v_add_co_u32 v35, s1, v27, s6
	s_delay_alu instid0(VALU_DEP_1) | instskip(SKIP_2) | instid1(VALU_DEP_1)
	v_add_co_ci_u32_e64 v36, s1, s7, v28, s1
	global_load_u16 v37, v[35:36], off
	v_add_co_u32 v35, s1, v29, s6
	v_add_co_ci_u32_e64 v36, s1, s7, v30, s1
	global_load_u16 v35, v[35:36], off
	s_waitcnt vmcnt(1)
	v_lshl_or_b32 v1, v37, 16, v1
.LBB22_13:                              ;   in Loop: Header=BB22_9 Depth=1
	s_or_b32 exec_lo, exec_lo, s2
	v_add_co_u32 v36, s1, v25, s10
	s_delay_alu instid0(VALU_DEP_1) | instskip(NEXT) | instid1(VALU_DEP_1)
	v_add_co_ci_u32_e64 v37, s1, s11, v26, s1
	v_cmp_gt_u64_e64 s1, s[4:5], v[36:37]
	s_delay_alu instid0(VALU_DEP_1)
	s_and_saveexec_b32 s3, s1
	s_cbranch_execz .LBB22_15
; %bb.14:                               ;   in Loop: Header=BB22_9 Depth=1
	v_add_co_u32 v36, s2, v17, s6
	s_delay_alu instid0(VALU_DEP_1) | instskip(SKIP_2) | instid1(VALU_DEP_1)
	v_add_co_ci_u32_e64 v37, s2, s7, v18, s2
	global_load_u16 v38, v[36:37], off
	v_add_co_u32 v36, s2, v19, s6
	v_add_co_ci_u32_e64 v37, s2, s7, v20, s2
	global_load_u16 v33, v[36:37], off
	s_waitcnt vmcnt(1)
	v_or_b32_e32 v2, v38, v2
.LBB22_15:                              ;   in Loop: Header=BB22_9 Depth=1
	s_or_b32 exec_lo, exec_lo, s3
	v_add_co_u32 v36, s2, v15, s10
	s_delay_alu instid0(VALU_DEP_1) | instskip(NEXT) | instid1(VALU_DEP_1)
	v_add_co_ci_u32_e64 v37, s2, s11, v16, s2
	v_cmp_gt_u64_e64 s2, s[4:5], v[36:37]
	v_mov_b32_e32 v36, 0
	s_delay_alu instid0(VALU_DEP_2)
	s_and_saveexec_b32 s14, s2
	s_cbranch_execnz .LBB22_20
; %bb.16:                               ;   in Loop: Header=BB22_9 Depth=1
	s_or_b32 exec_lo, exec_lo, s14
	s_and_saveexec_b32 s3, vcc_lo
	s_cbranch_execnz .LBB22_21
.LBB22_17:                              ;   in Loop: Header=BB22_9 Depth=1
	s_or_b32 exec_lo, exec_lo, s3
	s_and_saveexec_b32 s3, s0
	s_cbranch_execnz .LBB22_22
.LBB22_18:                              ;   in Loop: Header=BB22_9 Depth=1
	s_or_b32 exec_lo, exec_lo, s3
	s_and_saveexec_b32 s0, s1
	s_cbranch_execnz .LBB22_23
.LBB22_19:                              ;   in Loop: Header=BB22_9 Depth=1
	s_or_b32 exec_lo, exec_lo, s0
	s_and_saveexec_b32 s0, s2
	s_cbranch_execz .LBB22_8
	s_branch .LBB22_24
.LBB22_20:                              ;   in Loop: Header=BB22_9 Depth=1
	v_add_co_u32 v36, s3, v9, s6
	s_delay_alu instid0(VALU_DEP_1) | instskip(SKIP_3) | instid1(VALU_DEP_1)
	v_add_co_ci_u32_e64 v37, s3, s7, v10, s3
	v_mov_b32_e32 v38, 0
	global_load_d16_hi_b16 v38, v[36:37], off
	v_add_co_u32 v36, s3, v11, s6
	v_add_co_ci_u32_e64 v37, s3, s7, v12, s3
	global_load_u16 v36, v[36:37], off
	s_waitcnt vmcnt(1)
	v_or_b32_e32 v2, v38, v2
	s_or_b32 exec_lo, exec_lo, s14
	s_and_saveexec_b32 s3, vcc_lo
	s_cbranch_execz .LBB22_17
.LBB22_21:                              ;   in Loop: Header=BB22_9 Depth=1
	s_waitcnt vmcnt(0)
	v_lshlrev_b32_e32 v34, 16, v34
	v_lshlrev_b32_e32 v39, 16, v1
	v_add_co_u32 v37, vcc_lo, v7, s6
	v_add_co_ci_u32_e32 v38, vcc_lo, s7, v8, vcc_lo
	s_delay_alu instid0(VALU_DEP_3) | instskip(NEXT) | instid1(VALU_DEP_1)
	v_fmac_f32_e32 v39, s16, v34
	v_bfe_u32 v34, v39, 16, 1
	v_cmp_o_f32_e32 vcc_lo, v39, v39
	s_delay_alu instid0(VALU_DEP_2) | instskip(NEXT) | instid1(VALU_DEP_1)
	v_add3_u32 v34, v39, v34, 0x7fff
	v_lshrrev_b32_e32 v34, 16, v34
	s_delay_alu instid0(VALU_DEP_1)
	v_cndmask_b32_e32 v34, 0x7fc0, v34, vcc_lo
	global_store_b16 v[37:38], v34, off
	s_or_b32 exec_lo, exec_lo, s3
	s_and_saveexec_b32 s3, s0
	s_cbranch_execz .LBB22_18
.LBB22_22:                              ;   in Loop: Header=BB22_9 Depth=1
	s_waitcnt vmcnt(0)
	v_and_b32_e32 v34, 0xffff0000, v1
	v_lshlrev_b32_e32 v35, 16, v35
	s_delay_alu instid0(VALU_DEP_1) | instskip(NEXT) | instid1(VALU_DEP_1)
	v_fmac_f32_e32 v34, s16, v35
	v_bfe_u32 v35, v34, 16, 1
	v_cmp_o_f32_e32 vcc_lo, v34, v34
	s_delay_alu instid0(VALU_DEP_2) | instskip(NEXT) | instid1(VALU_DEP_1)
	v_add3_u32 v35, v34, v35, 0x7fff
	v_lshrrev_b32_e32 v35, 16, v35
	s_delay_alu instid0(VALU_DEP_1)
	v_cndmask_b32_e32 v37, 0x7fc0, v35, vcc_lo
	v_add_co_u32 v34, vcc_lo, v31, s6
	v_add_co_ci_u32_e32 v35, vcc_lo, s7, v32, vcc_lo
	global_store_b16 v[34:35], v37, off
	s_or_b32 exec_lo, exec_lo, s3
	s_and_saveexec_b32 s0, s1
	s_cbranch_execz .LBB22_19
.LBB22_23:                              ;   in Loop: Header=BB22_9 Depth=1
	v_alignbit_b32 v1, v2, v1, 16
	s_waitcnt vmcnt(0)
	v_lshlrev_b32_e32 v33, 16, v33
	s_delay_alu instid0(VALU_DEP_2) | instskip(NEXT) | instid1(VALU_DEP_1)
	v_and_b32_e32 v1, 0xffff0000, v1
	v_fmac_f32_e32 v1, s16, v33
	s_delay_alu instid0(VALU_DEP_1) | instskip(SKIP_1) | instid1(VALU_DEP_2)
	v_bfe_u32 v33, v1, 16, 1
	v_cmp_o_f32_e32 vcc_lo, v1, v1
	v_add3_u32 v33, v1, v33, 0x7fff
	s_delay_alu instid0(VALU_DEP_1) | instskip(NEXT) | instid1(VALU_DEP_1)
	v_lshrrev_b32_e32 v33, 16, v33
	v_cndmask_b32_e32 v1, 0x7fc0, v33, vcc_lo
	v_add_co_u32 v33, vcc_lo, v22, s6
	v_add_co_ci_u32_e32 v34, vcc_lo, s7, v23, vcc_lo
	global_store_b16 v[33:34], v1, off
	s_or_b32 exec_lo, exec_lo, s0
	s_and_saveexec_b32 s0, s2
	s_cbranch_execz .LBB22_8
.LBB22_24:                              ;   in Loop: Header=BB22_9 Depth=1
	v_and_b32_e32 v1, 0xffff0000, v2
	s_waitcnt vmcnt(0)
	v_lshlrev_b32_e32 v2, 16, v36
	s_delay_alu instid0(VALU_DEP_1) | instskip(NEXT) | instid1(VALU_DEP_1)
	v_fmac_f32_e32 v1, s16, v2
	v_bfe_u32 v2, v1, 16, 1
	v_cmp_o_f32_e32 vcc_lo, v1, v1
	s_delay_alu instid0(VALU_DEP_2) | instskip(NEXT) | instid1(VALU_DEP_1)
	v_add3_u32 v2, v1, v2, 0x7fff
	v_lshrrev_b32_e32 v2, 16, v2
	s_delay_alu instid0(VALU_DEP_1)
	v_cndmask_b32_e32 v33, 0x7fc0, v2, vcc_lo
	v_add_co_u32 v1, vcc_lo, v13, s6
	v_add_co_ci_u32_e32 v2, vcc_lo, s7, v14, vcc_lo
	global_store_b16 v[1:2], v33, off
	s_branch .LBB22_8
.LBB22_25:
	s_nop 0
	s_sendmsg sendmsg(MSG_DEALLOC_VGPRS)
	s_endpgm
	.section	.rodata,"a",@progbits
	.p2align	6, 0x0
	.amdhsa_kernel _ZN2at6native12_GLOBAL__N_125multi_tensor_apply_kernelINS1_18TensorListMetadataILi3EEENS1_24BinaryOpListAlphaFunctorIN3c108BFloat16ELi3ELi2ELi2EEEJSt4plusIfEfEEEvT_T0_DpT1_
		.amdhsa_group_segment_fixed_size 0
		.amdhsa_private_segment_fixed_size 0
		.amdhsa_kernarg_size 3408
		.amdhsa_user_sgpr_count 15
		.amdhsa_user_sgpr_dispatch_ptr 0
		.amdhsa_user_sgpr_queue_ptr 0
		.amdhsa_user_sgpr_kernarg_segment_ptr 1
		.amdhsa_user_sgpr_dispatch_id 0
		.amdhsa_user_sgpr_private_segment_size 0
		.amdhsa_wavefront_size32 1
		.amdhsa_uses_dynamic_stack 0
		.amdhsa_enable_private_segment 0
		.amdhsa_system_sgpr_workgroup_id_x 1
		.amdhsa_system_sgpr_workgroup_id_y 0
		.amdhsa_system_sgpr_workgroup_id_z 0
		.amdhsa_system_sgpr_workgroup_info 0
		.amdhsa_system_vgpr_workitem_id 0
		.amdhsa_next_free_vgpr 40
		.amdhsa_next_free_sgpr 22
		.amdhsa_reserve_vcc 1
		.amdhsa_float_round_mode_32 0
		.amdhsa_float_round_mode_16_64 0
		.amdhsa_float_denorm_mode_32 3
		.amdhsa_float_denorm_mode_16_64 3
		.amdhsa_dx10_clamp 1
		.amdhsa_ieee_mode 1
		.amdhsa_fp16_overflow 0
		.amdhsa_workgroup_processor_mode 1
		.amdhsa_memory_ordered 1
		.amdhsa_forward_progress 0
		.amdhsa_shared_vgpr_count 0
		.amdhsa_exception_fp_ieee_invalid_op 0
		.amdhsa_exception_fp_denorm_src 0
		.amdhsa_exception_fp_ieee_div_zero 0
		.amdhsa_exception_fp_ieee_overflow 0
		.amdhsa_exception_fp_ieee_underflow 0
		.amdhsa_exception_fp_ieee_inexact 0
		.amdhsa_exception_int_div_zero 0
	.end_amdhsa_kernel
	.section	.text._ZN2at6native12_GLOBAL__N_125multi_tensor_apply_kernelINS1_18TensorListMetadataILi3EEENS1_24BinaryOpListAlphaFunctorIN3c108BFloat16ELi3ELi2ELi2EEEJSt4plusIfEfEEEvT_T0_DpT1_,"axG",@progbits,_ZN2at6native12_GLOBAL__N_125multi_tensor_apply_kernelINS1_18TensorListMetadataILi3EEENS1_24BinaryOpListAlphaFunctorIN3c108BFloat16ELi3ELi2ELi2EEEJSt4plusIfEfEEEvT_T0_DpT1_,comdat
.Lfunc_end22:
	.size	_ZN2at6native12_GLOBAL__N_125multi_tensor_apply_kernelINS1_18TensorListMetadataILi3EEENS1_24BinaryOpListAlphaFunctorIN3c108BFloat16ELi3ELi2ELi2EEEJSt4plusIfEfEEEvT_T0_DpT1_, .Lfunc_end22-_ZN2at6native12_GLOBAL__N_125multi_tensor_apply_kernelINS1_18TensorListMetadataILi3EEENS1_24BinaryOpListAlphaFunctorIN3c108BFloat16ELi3ELi2ELi2EEEJSt4plusIfEfEEEvT_T0_DpT1_
                                        ; -- End function
	.section	.AMDGPU.csdata,"",@progbits
; Kernel info:
; codeLenInByte = 2280
; NumSgprs: 24
; NumVgprs: 40
; ScratchSize: 0
; MemoryBound: 0
; FloatMode: 240
; IeeeMode: 1
; LDSByteSize: 0 bytes/workgroup (compile time only)
; SGPRBlocks: 2
; VGPRBlocks: 4
; NumSGPRsForWavesPerEU: 24
; NumVGPRsForWavesPerEU: 40
; Occupancy: 16
; WaveLimiterHint : 0
; COMPUTE_PGM_RSRC2:SCRATCH_EN: 0
; COMPUTE_PGM_RSRC2:USER_SGPR: 15
; COMPUTE_PGM_RSRC2:TRAP_HANDLER: 0
; COMPUTE_PGM_RSRC2:TGID_X_EN: 1
; COMPUTE_PGM_RSRC2:TGID_Y_EN: 0
; COMPUTE_PGM_RSRC2:TGID_Z_EN: 0
; COMPUTE_PGM_RSRC2:TIDIG_COMP_CNT: 0
	.section	.text._ZN2at6native12_GLOBAL__N_125multi_tensor_apply_kernelINS1_18TensorListMetadataILi3EEENS1_24BinaryOpListAlphaFunctorIN3c104HalfELi3ELi2ELi2EEEJSt4plusIfEfEEEvT_T0_DpT1_,"axG",@progbits,_ZN2at6native12_GLOBAL__N_125multi_tensor_apply_kernelINS1_18TensorListMetadataILi3EEENS1_24BinaryOpListAlphaFunctorIN3c104HalfELi3ELi2ELi2EEEJSt4plusIfEfEEEvT_T0_DpT1_,comdat
	.globl	_ZN2at6native12_GLOBAL__N_125multi_tensor_apply_kernelINS1_18TensorListMetadataILi3EEENS1_24BinaryOpListAlphaFunctorIN3c104HalfELi3ELi2ELi2EEEJSt4plusIfEfEEEvT_T0_DpT1_ ; -- Begin function _ZN2at6native12_GLOBAL__N_125multi_tensor_apply_kernelINS1_18TensorListMetadataILi3EEENS1_24BinaryOpListAlphaFunctorIN3c104HalfELi3ELi2ELi2EEEJSt4plusIfEfEEEvT_T0_DpT1_
	.p2align	8
	.type	_ZN2at6native12_GLOBAL__N_125multi_tensor_apply_kernelINS1_18TensorListMetadataILi3EEENS1_24BinaryOpListAlphaFunctorIN3c104HalfELi3ELi2ELi2EEEJSt4plusIfEfEEEvT_T0_DpT1_,@function
_ZN2at6native12_GLOBAL__N_125multi_tensor_apply_kernelINS1_18TensorListMetadataILi3EEENS1_24BinaryOpListAlphaFunctorIN3c104HalfELi3ELi2ELi2EEEJSt4plusIfEfEEEvT_T0_DpT1_: ; @_ZN2at6native12_GLOBAL__N_125multi_tensor_apply_kernelINS1_18TensorListMetadataILi3EEENS1_24BinaryOpListAlphaFunctorIN3c104HalfELi3ELi2ELi2EEEJSt4plusIfEfEEEvT_T0_DpT1_
; %bb.0:
	v_mov_b32_e32 v1, s15
	s_add_u32 s2, s0, s15
	s_mul_hi_u32 s3, s15, 3
	s_mul_i32 s15, s15, 3
	s_addc_u32 s4, s1, 0
	global_load_u8 v1, v1, s[0:1] offset:1536
	s_load_b32 s16, s[0:1], 0xc4c
	s_add_u32 s2, s2, s15
	s_addc_u32 s3, s4, s3
	s_mov_b32 s25, 0
	s_load_b32 s2, s[2:3], 0x740
	s_mov_b32 s27, s25
	s_waitcnt vmcnt(0)
	v_readfirstlane_b32 s3, v1
	s_delay_alu instid0(VALU_DEP_1)
	s_lshl_b32 s3, s3, 3
	s_clause 0x3
	s_load_b64 s[10:11], s[0:1], s3 offset:0x0
	s_load_b64 s[12:13], s[0:1], s3 offset:0x180
	;; [unrolled: 1-line block ×4, first 2 shown]
	s_waitcnt lgkmcnt(0)
	s_ashr_i32 s3, s2, 31
	s_delay_alu instid0(SALU_CYCLE_1) | instskip(NEXT) | instid1(SALU_CYCLE_1)
	s_lshl_b64 s[4:5], s[2:3], 17
	s_add_u32 s8, s10, s4
	s_addc_u32 s9, s11, s5
	s_and_b32 s24, s8, 7
	s_add_u32 s17, s12, s4
	s_addc_u32 s18, s13, s5
	s_add_u32 s19, s14, s4
	s_addc_u32 s20, s15, s5
	s_or_b32 s6, s19, s17
	s_delay_alu instid0(SALU_CYCLE_1) | instskip(NEXT) | instid1(SALU_CYCLE_1)
	s_and_b32 s6, s6, 7
	s_cmp_lg_u32 s6, 0
	s_cselect_b32 s21, -1, 0
	s_lshl_b64 s[2:3], s[2:3], 16
	s_delay_alu instid0(SALU_CYCLE_1) | instskip(SKIP_2) | instid1(SALU_CYCLE_1)
	s_sub_u32 s6, s22, s2
	s_subb_u32 s7, s23, s3
	s_and_b32 s26, s22, 3
	s_or_b64 s[2:3], s[24:25], s[26:27]
	s_delay_alu instid0(SALU_CYCLE_1) | instskip(SKIP_1) | instid1(SALU_CYCLE_1)
	s_cmp_lg_u64 s[2:3], 0
	s_cselect_b32 s2, -1, 0
	s_or_b32 s2, s21, s2
	s_delay_alu instid0(SALU_CYCLE_1)
	s_and_not1_b32 vcc_lo, exec_lo, s2
	s_mov_b32 s2, -1
	s_cbranch_vccz .LBB23_5
; %bb.1:
	v_dual_mov_b32 v2, 0 :: v_dual_lshlrev_b32 v1, 2, v0
	s_mov_b32 s21, exec_lo
	s_delay_alu instid0(VALU_DEP_1)
	v_cmpx_gt_i64_e64 s[6:7], v[1:2]
	s_cbranch_execz .LBB23_4
; %bb.2:
	s_load_b32 s2, s[0:1], 0xc5c
	v_lshlrev_b32_e32 v3, 3, v0
	s_mov_b32 s22, 0
	s_waitcnt lgkmcnt(0)
	s_and_b32 s2, s2, 0xffff
	s_delay_alu instid0(SALU_CYCLE_1)
	v_add_lshl_u32 v1, v0, s2, 2
	s_lshl_b32 s23, s2, 2
	s_lshl_b32 s24, s2, 3
	s_set_inst_prefetch_distance 0x1
	.p2align	6
.LBB23_3:                               ; =>This Inner Loop Header: Depth=1
	v_add_co_u32 v4, s2, s8, v3
	s_delay_alu instid0(VALU_DEP_1) | instskip(SKIP_1) | instid1(VALU_DEP_1)
	v_add_co_ci_u32_e64 v5, null, s9, 0, s2
	v_add_co_u32 v6, s2, s17, v3
	v_add_co_ci_u32_e64 v7, null, s18, 0, s2
	global_load_b64 v[4:5], v[4:5], off
	global_load_b64 v[6:7], v[6:7], off
	v_cmp_le_i64_e32 vcc_lo, s[6:7], v[1:2]
	v_cmp_lt_u64_e64 s2, 0xffff, v[1:2]
	v_add_co_u32 v8, s3, s19, v3
	s_delay_alu instid0(VALU_DEP_1) | instskip(SKIP_1) | instid1(VALU_DEP_4)
	v_add_co_ci_u32_e64 v9, null, s20, 0, s3
	v_add_co_u32 v1, s3, v1, s23
	s_or_b32 s2, vcc_lo, s2
	s_add_u32 s8, s8, s24
	s_addc_u32 s9, s9, 0
	s_add_u32 s19, s19, s24
	s_addc_u32 s20, s20, 0
	s_add_u32 s17, s17, s24
	v_add_co_ci_u32_e64 v2, s3, 0, v2, s3
	s_addc_u32 s18, s18, 0
	s_and_b32 s2, exec_lo, s2
	s_delay_alu instid0(SALU_CYCLE_1) | instskip(SKIP_3) | instid1(VALU_DEP_2)
	s_or_b32 s22, s2, s22
	s_waitcnt vmcnt(0)
	v_fma_mixlo_f16 v11, v7, s16, v5 op_sel_hi:[1,0,1]
	v_fma_mixlo_f16 v10, v6, s16, v4 op_sel_hi:[1,0,1]
	v_fma_mixhi_f16 v11, v7, s16, v5 op_sel:[1,0,1] op_sel_hi:[1,0,1]
	s_delay_alu instid0(VALU_DEP_2)
	v_fma_mixhi_f16 v10, v6, s16, v4 op_sel:[1,0,1] op_sel_hi:[1,0,1]
	global_store_b64 v[8:9], v[10:11], off
	s_and_not1_b32 exec_lo, exec_lo, s22
	s_cbranch_execnz .LBB23_3
.LBB23_4:
	s_set_inst_prefetch_distance 0x2
	s_or_b32 exec_lo, exec_lo, s21
	s_mov_b32 s2, 0
.LBB23_5:
	s_delay_alu instid0(SALU_CYCLE_1)
	s_and_not1_b32 vcc_lo, exec_lo, s2
	s_cbranch_vccnz .LBB23_25
; %bb.6:
	v_cmp_lt_i64_e64 s2, s[6:7], 1
	s_delay_alu instid0(VALU_DEP_1)
	s_and_b32 vcc_lo, exec_lo, s2
	s_cbranch_vccnz .LBB23_25
; %bb.7:
	s_load_b32 s0, s[0:1], 0xc5c
	v_dual_mov_b32 v14, 0 :: v_dual_lshlrev_b32 v13, 1, v0
	v_cmp_gt_u64_e64 s1, 0x10000, s[6:7]
	s_delay_alu instid0(VALU_DEP_2) | instskip(NEXT) | instid1(VALU_DEP_1)
	v_add_co_u32 v1, s2, s10, v13
	v_add_co_ci_u32_e64 v2, null, s11, 0, s2
	v_add_co_u32 v3, s2, s12, v13
	s_delay_alu instid0(VALU_DEP_1) | instskip(SKIP_1) | instid1(VALU_DEP_1)
	v_add_co_ci_u32_e64 v4, null, s13, 0, s2
	v_add_co_u32 v5, s2, s14, v13
	v_add_co_ci_u32_e64 v6, null, s15, 0, s2
	s_waitcnt lgkmcnt(0)
	s_and_b32 s0, s0, 0xffff
	s_and_b32 s1, s1, exec_lo
	v_mad_u64_u32 v[11:12], null, s0, 6, v[13:14]
	s_cselect_b32 s9, s7, 0
	s_cselect_b32 s8, s6, 0x10000
	s_mul_i32 s2, s0, 3
	s_lshl_b32 s17, s0, 2
	s_lshl_b32 s1, s0, 1
	v_add_co_u32 v20, s3, s17, v13
	v_add_co_u32 v13, s2, s2, v0
	v_add_co_u32 v7, vcc_lo, s10, v11
	v_add_co_ci_u32_e64 v14, null, 0, 0, s2
	v_add_co_u32 v19, s2, v0, s0
	v_add_co_ci_u32_e32 v8, vcc_lo, s11, v12, vcc_lo
	v_add_co_u32 v9, vcc_lo, s12, v11
	v_add_co_ci_u32_e32 v10, vcc_lo, s13, v12, vcc_lo
	v_add_co_u32 v11, vcc_lo, s14, v11
	v_add_co_ci_u32_e64 v21, null, 0, 0, s3
	v_lshlrev_b32_e32 v29, 1, v19
	v_add_co_ci_u32_e32 v12, vcc_lo, s15, v12, vcc_lo
	v_add_co_u32 v15, vcc_lo, s10, v20
	v_add_co_u32 v23, s1, s1, v0
	v_add_co_ci_u32_e32 v16, vcc_lo, s11, v21, vcc_lo
	v_add_co_ci_u32_e64 v24, null, 0, 0, s1
	v_add_co_u32 v25, s1, s10, v29
	v_add_co_u32 v17, vcc_lo, s12, v20
	v_add_co_ci_u32_e64 v26, null, s11, 0, s1
	v_add_co_u32 v27, s1, s12, v29
	v_add_co_ci_u32_e32 v18, vcc_lo, s13, v21, vcc_lo
	v_add_co_u32 v20, vcc_lo, s14, v20
	v_add_co_ci_u32_e64 v28, null, s13, 0, s1
	v_add_co_u32 v29, s1, s14, v29
	v_add_co_ci_u32_e32 v21, vcc_lo, s15, v21, vcc_lo
	v_add_co_ci_u32_e64 v22, null, 0, 0, s2
	v_add_co_ci_u32_e64 v30, null, s15, 0, s1
	s_lshl_b32 s12, s0, 3
	s_mov_b64 s[10:11], 0
	s_branch .LBB23_9
.LBB23_8:                               ;   in Loop: Header=BB23_9 Depth=1
	s_or_b32 exec_lo, exec_lo, s0
	v_add_co_u32 v1, vcc_lo, v1, s12
	v_add_co_ci_u32_e32 v2, vcc_lo, 0, v2, vcc_lo
	v_add_co_u32 v3, vcc_lo, v3, s12
	v_add_co_ci_u32_e32 v4, vcc_lo, 0, v4, vcc_lo
	;; [unrolled: 2-line block ×9, first 2 shown]
	s_add_u32 s10, s10, s17
	v_add_co_u32 v25, vcc_lo, v25, s12
	s_addc_u32 s11, s11, 0
	v_add_co_ci_u32_e32 v26, vcc_lo, 0, v26, vcc_lo
	v_cmp_ge_i64_e64 s0, s[10:11], s[6:7]
	v_cmp_lt_u64_e64 s1, 0xffff, s[10:11]
	v_add_co_u32 v27, vcc_lo, v27, s12
	v_add_co_ci_u32_e32 v28, vcc_lo, 0, v28, vcc_lo
	v_add_co_u32 v29, vcc_lo, v29, s12
	v_add_co_ci_u32_e32 v30, vcc_lo, 0, v30, vcc_lo
	s_or_b32 s0, s0, s1
	s_delay_alu instid0(SALU_CYCLE_1)
	s_and_b32 vcc_lo, exec_lo, s0
	s_cbranch_vccnz .LBB23_25
.LBB23_9:                               ; =>This Inner Loop Header: Depth=1
	s_waitcnt vmcnt(1)
	v_add_co_u32 v31, s0, v0, s10
	s_waitcnt vmcnt(0)
	v_add_co_ci_u32_e64 v32, null, 0, s11, s0
	s_delay_alu instid0(VALU_DEP_1)
	v_cmp_gt_u64_e32 vcc_lo, s[8:9], v[31:32]
	v_dual_mov_b32 v31, 0 :: v_dual_mov_b32 v32, 0
	s_and_saveexec_b32 s1, vcc_lo
	s_cbranch_execz .LBB23_11
; %bb.10:                               ;   in Loop: Header=BB23_9 Depth=1
	v_add_co_u32 v31, s0, v1, s4
	s_delay_alu instid0(VALU_DEP_1) | instskip(SKIP_1) | instid1(VALU_DEP_1)
	v_add_co_ci_u32_e64 v32, s0, s5, v2, s0
	v_add_co_u32 v33, s0, v3, s4
	v_add_co_ci_u32_e64 v34, s0, s5, v4, s0
	global_load_u16 v31, v[31:32], off
	global_load_u16 v32, v[33:34], off
.LBB23_11:                              ;   in Loop: Header=BB23_9 Depth=1
	s_or_b32 exec_lo, exec_lo, s1
	v_add_co_u32 v34, s0, v19, s10
	s_delay_alu instid0(VALU_DEP_1) | instskip(SKIP_1) | instid1(VALU_DEP_2)
	v_add_co_ci_u32_e64 v35, s0, s11, v22, s0
	v_mov_b32_e32 v33, 0
	v_cmp_gt_u64_e64 s0, s[8:9], v[34:35]
	v_dual_mov_b32 v34, 0 :: v_dual_mov_b32 v35, 0
	s_delay_alu instid0(VALU_DEP_2)
	s_and_saveexec_b32 s2, s0
	s_cbranch_execz .LBB23_13
; %bb.12:                               ;   in Loop: Header=BB23_9 Depth=1
	v_add_co_u32 v34, s1, v25, s4
	s_delay_alu instid0(VALU_DEP_1) | instskip(SKIP_1) | instid1(VALU_DEP_1)
	v_add_co_ci_u32_e64 v35, s1, s5, v26, s1
	v_add_co_u32 v36, s1, v27, s4
	v_add_co_ci_u32_e64 v37, s1, s5, v28, s1
	global_load_u16 v34, v[34:35], off
	global_load_u16 v35, v[36:37], off
.LBB23_13:                              ;   in Loop: Header=BB23_9 Depth=1
	s_or_b32 exec_lo, exec_lo, s2
	v_add_co_u32 v36, s1, v23, s10
	s_delay_alu instid0(VALU_DEP_1) | instskip(NEXT) | instid1(VALU_DEP_1)
	v_add_co_ci_u32_e64 v37, s1, s11, v24, s1
	v_cmp_gt_u64_e64 s1, s[8:9], v[36:37]
	v_mov_b32_e32 v36, 0
	s_delay_alu instid0(VALU_DEP_2)
	s_and_saveexec_b32 s3, s1
	s_cbranch_execz .LBB23_15
; %bb.14:                               ;   in Loop: Header=BB23_9 Depth=1
	v_add_co_u32 v36, s2, v15, s4
	s_delay_alu instid0(VALU_DEP_1) | instskip(SKIP_1) | instid1(VALU_DEP_1)
	v_add_co_ci_u32_e64 v37, s2, s5, v16, s2
	v_add_co_u32 v38, s2, v17, s4
	v_add_co_ci_u32_e64 v39, s2, s5, v18, s2
	global_load_u16 v33, v[36:37], off
	global_load_u16 v36, v[38:39], off
.LBB23_15:                              ;   in Loop: Header=BB23_9 Depth=1
	s_or_b32 exec_lo, exec_lo, s3
	v_add_co_u32 v37, s2, v13, s10
	s_delay_alu instid0(VALU_DEP_1) | instskip(NEXT) | instid1(VALU_DEP_1)
	v_add_co_ci_u32_e64 v38, s2, s11, v14, s2
	v_cmp_gt_u64_e64 s2, s[8:9], v[37:38]
	v_dual_mov_b32 v37, 0 :: v_dual_mov_b32 v38, 0
	s_delay_alu instid0(VALU_DEP_2)
	s_and_saveexec_b32 s13, s2
	s_cbranch_execnz .LBB23_20
; %bb.16:                               ;   in Loop: Header=BB23_9 Depth=1
	s_or_b32 exec_lo, exec_lo, s13
	s_and_saveexec_b32 s3, vcc_lo
	s_cbranch_execnz .LBB23_21
.LBB23_17:                              ;   in Loop: Header=BB23_9 Depth=1
	s_or_b32 exec_lo, exec_lo, s3
	s_and_saveexec_b32 s3, s0
	s_cbranch_execnz .LBB23_22
.LBB23_18:                              ;   in Loop: Header=BB23_9 Depth=1
	s_or_b32 exec_lo, exec_lo, s3
	s_and_saveexec_b32 s0, s1
	s_cbranch_execnz .LBB23_23
.LBB23_19:                              ;   in Loop: Header=BB23_9 Depth=1
	s_or_b32 exec_lo, exec_lo, s0
	s_and_saveexec_b32 s0, s2
	s_cbranch_execz .LBB23_8
	s_branch .LBB23_24
.LBB23_20:                              ;   in Loop: Header=BB23_9 Depth=1
	v_add_co_u32 v37, s3, v7, s4
	s_delay_alu instid0(VALU_DEP_1) | instskip(SKIP_1) | instid1(VALU_DEP_1)
	v_add_co_ci_u32_e64 v38, s3, s5, v8, s3
	v_add_co_u32 v39, s3, v9, s4
	v_add_co_ci_u32_e64 v40, s3, s5, v10, s3
	global_load_u16 v37, v[37:38], off
	global_load_u16 v38, v[39:40], off
	s_or_b32 exec_lo, exec_lo, s13
	s_and_saveexec_b32 s3, vcc_lo
	s_cbranch_execz .LBB23_17
.LBB23_21:                              ;   in Loop: Header=BB23_9 Depth=1
	v_add_co_u32 v39, vcc_lo, v5, s4
	v_add_co_ci_u32_e32 v40, vcc_lo, s5, v6, vcc_lo
	s_waitcnt vmcnt(0)
	v_fma_mixlo_f16 v31, v32, s16, v31 op_sel_hi:[1,0,1]
	global_store_b16 v[39:40], v31, off
	s_or_b32 exec_lo, exec_lo, s3
	s_and_saveexec_b32 s3, s0
	s_cbranch_execz .LBB23_18
.LBB23_22:                              ;   in Loop: Header=BB23_9 Depth=1
	s_waitcnt vmcnt(1)
	v_add_co_u32 v31, vcc_lo, v29, s4
	s_waitcnt vmcnt(0)
	v_fma_mixlo_f16 v34, v35, s16, v34 op_sel_hi:[1,0,1]
	v_add_co_ci_u32_e32 v32, vcc_lo, s5, v30, vcc_lo
	global_store_b16 v[31:32], v34, off
	s_or_b32 exec_lo, exec_lo, s3
	s_and_saveexec_b32 s0, s1
	s_cbranch_execz .LBB23_19
.LBB23_23:                              ;   in Loop: Header=BB23_9 Depth=1
	s_waitcnt vmcnt(1)
	v_add_co_u32 v31, vcc_lo, v20, s4
	s_waitcnt vmcnt(0)
	v_fma_mixlo_f16 v33, v36, s16, v33 op_sel_hi:[1,0,1]
	v_add_co_ci_u32_e32 v32, vcc_lo, s5, v21, vcc_lo
	global_store_b16 v[31:32], v33, off
	s_or_b32 exec_lo, exec_lo, s0
	s_and_saveexec_b32 s0, s2
	s_cbranch_execz .LBB23_8
.LBB23_24:                              ;   in Loop: Header=BB23_9 Depth=1
	s_waitcnt vmcnt(1)
	v_add_co_u32 v31, vcc_lo, v11, s4
	s_waitcnt vmcnt(0)
	v_fma_mixlo_f16 v33, v38, s16, v37 op_sel_hi:[1,0,1]
	v_add_co_ci_u32_e32 v32, vcc_lo, s5, v12, vcc_lo
	global_store_b16 v[31:32], v33, off
	s_branch .LBB23_8
.LBB23_25:
	s_nop 0
	s_sendmsg sendmsg(MSG_DEALLOC_VGPRS)
	s_endpgm
	.section	.rodata,"a",@progbits
	.p2align	6, 0x0
	.amdhsa_kernel _ZN2at6native12_GLOBAL__N_125multi_tensor_apply_kernelINS1_18TensorListMetadataILi3EEENS1_24BinaryOpListAlphaFunctorIN3c104HalfELi3ELi2ELi2EEEJSt4plusIfEfEEEvT_T0_DpT1_
		.amdhsa_group_segment_fixed_size 0
		.amdhsa_private_segment_fixed_size 0
		.amdhsa_kernarg_size 3408
		.amdhsa_user_sgpr_count 15
		.amdhsa_user_sgpr_dispatch_ptr 0
		.amdhsa_user_sgpr_queue_ptr 0
		.amdhsa_user_sgpr_kernarg_segment_ptr 1
		.amdhsa_user_sgpr_dispatch_id 0
		.amdhsa_user_sgpr_private_segment_size 0
		.amdhsa_wavefront_size32 1
		.amdhsa_uses_dynamic_stack 0
		.amdhsa_enable_private_segment 0
		.amdhsa_system_sgpr_workgroup_id_x 1
		.amdhsa_system_sgpr_workgroup_id_y 0
		.amdhsa_system_sgpr_workgroup_id_z 0
		.amdhsa_system_sgpr_workgroup_info 0
		.amdhsa_system_vgpr_workitem_id 0
		.amdhsa_next_free_vgpr 41
		.amdhsa_next_free_sgpr 28
		.amdhsa_reserve_vcc 1
		.amdhsa_float_round_mode_32 0
		.amdhsa_float_round_mode_16_64 0
		.amdhsa_float_denorm_mode_32 3
		.amdhsa_float_denorm_mode_16_64 3
		.amdhsa_dx10_clamp 1
		.amdhsa_ieee_mode 1
		.amdhsa_fp16_overflow 0
		.amdhsa_workgroup_processor_mode 1
		.amdhsa_memory_ordered 1
		.amdhsa_forward_progress 0
		.amdhsa_shared_vgpr_count 0
		.amdhsa_exception_fp_ieee_invalid_op 0
		.amdhsa_exception_fp_denorm_src 0
		.amdhsa_exception_fp_ieee_div_zero 0
		.amdhsa_exception_fp_ieee_overflow 0
		.amdhsa_exception_fp_ieee_underflow 0
		.amdhsa_exception_fp_ieee_inexact 0
		.amdhsa_exception_int_div_zero 0
	.end_amdhsa_kernel
	.section	.text._ZN2at6native12_GLOBAL__N_125multi_tensor_apply_kernelINS1_18TensorListMetadataILi3EEENS1_24BinaryOpListAlphaFunctorIN3c104HalfELi3ELi2ELi2EEEJSt4plusIfEfEEEvT_T0_DpT1_,"axG",@progbits,_ZN2at6native12_GLOBAL__N_125multi_tensor_apply_kernelINS1_18TensorListMetadataILi3EEENS1_24BinaryOpListAlphaFunctorIN3c104HalfELi3ELi2ELi2EEEJSt4plusIfEfEEEvT_T0_DpT1_,comdat
.Lfunc_end23:
	.size	_ZN2at6native12_GLOBAL__N_125multi_tensor_apply_kernelINS1_18TensorListMetadataILi3EEENS1_24BinaryOpListAlphaFunctorIN3c104HalfELi3ELi2ELi2EEEJSt4plusIfEfEEEvT_T0_DpT1_, .Lfunc_end23-_ZN2at6native12_GLOBAL__N_125multi_tensor_apply_kernelINS1_18TensorListMetadataILi3EEENS1_24BinaryOpListAlphaFunctorIN3c104HalfELi3ELi2ELi2EEEJSt4plusIfEfEEEvT_T0_DpT1_
                                        ; -- End function
	.section	.AMDGPU.csdata,"",@progbits
; Kernel info:
; codeLenInByte = 1748
; NumSgprs: 30
; NumVgprs: 41
; ScratchSize: 0
; MemoryBound: 0
; FloatMode: 240
; IeeeMode: 1
; LDSByteSize: 0 bytes/workgroup (compile time only)
; SGPRBlocks: 3
; VGPRBlocks: 5
; NumSGPRsForWavesPerEU: 30
; NumVGPRsForWavesPerEU: 41
; Occupancy: 16
; WaveLimiterHint : 0
; COMPUTE_PGM_RSRC2:SCRATCH_EN: 0
; COMPUTE_PGM_RSRC2:USER_SGPR: 15
; COMPUTE_PGM_RSRC2:TRAP_HANDLER: 0
; COMPUTE_PGM_RSRC2:TGID_X_EN: 1
; COMPUTE_PGM_RSRC2:TGID_Y_EN: 0
; COMPUTE_PGM_RSRC2:TGID_Z_EN: 0
; COMPUTE_PGM_RSRC2:TIDIG_COMP_CNT: 0
	.section	.text._ZN2at6native12_GLOBAL__N_125multi_tensor_apply_kernelINS1_18TensorListMetadataILi2EEENS1_24BinaryOpListAlphaFunctorIhLi2ELi2ELi0EEEJSt5minusIhEhEEEvT_T0_DpT1_,"axG",@progbits,_ZN2at6native12_GLOBAL__N_125multi_tensor_apply_kernelINS1_18TensorListMetadataILi2EEENS1_24BinaryOpListAlphaFunctorIhLi2ELi2ELi0EEEJSt5minusIhEhEEEvT_T0_DpT1_,comdat
	.globl	_ZN2at6native12_GLOBAL__N_125multi_tensor_apply_kernelINS1_18TensorListMetadataILi2EEENS1_24BinaryOpListAlphaFunctorIhLi2ELi2ELi0EEEJSt5minusIhEhEEEvT_T0_DpT1_ ; -- Begin function _ZN2at6native12_GLOBAL__N_125multi_tensor_apply_kernelINS1_18TensorListMetadataILi2EEENS1_24BinaryOpListAlphaFunctorIhLi2ELi2ELi0EEEJSt5minusIhEhEEEvT_T0_DpT1_
	.p2align	8
	.type	_ZN2at6native12_GLOBAL__N_125multi_tensor_apply_kernelINS1_18TensorListMetadataILi2EEENS1_24BinaryOpListAlphaFunctorIhLi2ELi2ELi0EEEJSt5minusIhEhEEEvT_T0_DpT1_,@function
_ZN2at6native12_GLOBAL__N_125multi_tensor_apply_kernelINS1_18TensorListMetadataILi2EEENS1_24BinaryOpListAlphaFunctorIhLi2ELi2ELi0EEEJSt5minusIhEhEEEvT_T0_DpT1_: ; @_ZN2at6native12_GLOBAL__N_125multi_tensor_apply_kernelINS1_18TensorListMetadataILi2EEENS1_24BinaryOpListAlphaFunctorIhLi2ELi2ELi0EEEJSt5minusIhEhEEEvT_T0_DpT1_
; %bb.0:
	v_mov_b32_e32 v1, s15
	s_add_u32 s2, s0, s15
	s_mul_hi_u32 s3, s15, 3
	s_mul_i32 s15, s15, 3
	s_addc_u32 s4, s1, 0
	global_load_u8 v1, v1, s[0:1] offset:1536
	s_add_u32 s2, s2, s15
	s_addc_u32 s3, s4, s3
	s_load_b32 s4, s[2:3], 0x740
	s_waitcnt lgkmcnt(0)
	s_ashr_i32 s5, s4, 31
	s_delay_alu instid0(SALU_CYCLE_1) | instskip(SKIP_2) | instid1(VALU_DEP_1)
	s_lshl_b64 s[12:13], s[4:5], 16
	s_waitcnt vmcnt(0)
	v_readfirstlane_b32 s2, v1
	s_lshl_b32 s2, s2, 3
	s_clause 0x3
	s_load_b64 s[8:9], s[0:1], s2 offset:0x0
	s_load_b64 s[10:11], s[0:1], s2 offset:0x200
	;; [unrolled: 1-line block ×3, first 2 shown]
	s_load_b32 s3, s[0:1], 0xc48
	s_waitcnt lgkmcnt(0)
	s_add_u32 s6, s8, s12
	s_addc_u32 s7, s9, s13
	s_add_u32 s14, s10, s12
	s_addc_u32 s15, s11, s13
	s_or_b64 s[4:5], s[16:17], s[6:7]
	s_delay_alu instid0(SALU_CYCLE_1) | instskip(NEXT) | instid1(SALU_CYCLE_1)
	s_or_b32 s2, s14, s4
	s_and_b32 s2, s2, 3
	s_sub_u32 s4, s16, s12
	s_subb_u32 s5, s17, s13
	s_cmp_eq_u32 s2, 0
	s_mov_b32 s2, -1
	s_cbranch_scc0 .LBB24_5
; %bb.1:
	v_dual_mov_b32 v2, 0 :: v_dual_lshlrev_b32 v1, 2, v0
	s_mov_b32 s16, exec_lo
	s_delay_alu instid0(VALU_DEP_1)
	v_cmpx_gt_i64_e64 s[4:5], v[1:2]
	s_cbranch_execz .LBB24_4
; %bb.2:
	s_load_b32 s2, s[0:1], 0xc5c
	s_mov_b32 s17, 0
	s_lshr_b32 s19, s3, 16
	s_waitcnt lgkmcnt(0)
	s_and_b32 s2, s2, 0xffff
	s_delay_alu instid0(SALU_CYCLE_1)
	s_lshl_b32 s18, s2, 2
.LBB24_3:                               ; =>This Inner Loop Header: Depth=1
	v_add_co_u32 v3, vcc_lo, s14, v1
	v_add_co_ci_u32_e32 v4, vcc_lo, s15, v2, vcc_lo
	v_add_co_u32 v5, vcc_lo, s6, v1
	v_add_co_ci_u32_e32 v6, vcc_lo, s7, v2, vcc_lo
	v_add_co_u32 v1, vcc_lo, s18, v1
	global_load_b32 v3, v[3:4], off
	global_load_b32 v4, v[5:6], off
	v_add_co_ci_u32_e32 v2, vcc_lo, 0, v2, vcc_lo
	s_delay_alu instid0(VALU_DEP_1) | instskip(SKIP_1) | instid1(VALU_DEP_1)
	v_cmp_le_i64_e32 vcc_lo, s[4:5], v[1:2]
	v_cmp_lt_u64_e64 s2, 0xffff, v[1:2]
	s_or_b32 s2, vcc_lo, s2
	s_delay_alu instid0(SALU_CYCLE_1) | instskip(NEXT) | instid1(SALU_CYCLE_1)
	s_and_b32 s2, exec_lo, s2
	s_or_b32 s17, s2, s17
	s_waitcnt vmcnt(1)
	v_lshrrev_b32_e32 v8, 8, v3
	v_lshrrev_b32_e32 v9, 16, v3
	v_mul_lo_u16 v7, v3, s19
	s_waitcnt vmcnt(0)
	v_lshrrev_b32_e32 v10, 8, v4
	v_lshrrev_b32_e32 v11, 16, v4
	;; [unrolled: 1-line block ×3, first 2 shown]
	v_mul_lo_u16 v8, v8, s19
	v_mul_lo_u16 v9, v9, s19
	v_lshrrev_b32_e32 v12, 24, v4
	v_sub_nc_u16 v4, v4, v7
	v_mul_lo_u16 v3, v3, s19
	v_sub_nc_u16 v8, v10, v8
	v_sub_nc_u16 v9, v11, v9
	s_delay_alu instid0(VALU_DEP_3) | instskip(NEXT) | instid1(VALU_DEP_3)
	v_sub_nc_u16 v3, v12, v3
	v_and_b32_e32 v7, 0xff, v8
	s_delay_alu instid0(VALU_DEP_3) | instskip(NEXT) | instid1(VALU_DEP_3)
	v_and_b32_e32 v8, 0xff, v9
	v_lshlrev_b32_e32 v3, 24, v3
	s_delay_alu instid0(VALU_DEP_3) | instskip(NEXT) | instid1(VALU_DEP_3)
	v_perm_b32 v4, v7, v4, 0x6050400
	v_lshlrev_b32_e32 v7, 16, v8
	s_delay_alu instid0(VALU_DEP_1)
	v_or3_b32 v3, v4, v7, v3
	global_store_b32 v[5:6], v3, off
	s_and_not1_b32 exec_lo, exec_lo, s17
	s_cbranch_execnz .LBB24_3
.LBB24_4:
	s_or_b32 exec_lo, exec_lo, s16
	s_mov_b32 s2, 0
.LBB24_5:
	s_delay_alu instid0(SALU_CYCLE_1)
	s_and_not1_b32 vcc_lo, exec_lo, s2
	s_cbranch_vccnz .LBB24_25
; %bb.6:
	v_cmp_lt_i64_e64 s2, s[4:5], 1
	s_delay_alu instid0(VALU_DEP_1)
	s_and_b32 vcc_lo, exec_lo, s2
	s_cbranch_vccnz .LBB24_25
; %bb.7:
	s_load_b32 s0, s[0:1], 0xc5c
	v_add_co_u32 v15, s1, s12, v0
	s_delay_alu instid0(VALU_DEP_1) | instskip(SKIP_1) | instid1(VALU_DEP_3)
	v_add_co_ci_u32_e64 v16, null, s13, 0, s1
	v_cmp_gt_u64_e64 s1, 0x10000, s[4:5]
	v_add_co_u32 v1, vcc_lo, s8, v15
	s_delay_alu instid0(VALU_DEP_3)
	v_add_co_ci_u32_e32 v2, vcc_lo, s9, v16, vcc_lo
	v_add_co_u32 v3, vcc_lo, s10, v15
	v_add_co_ci_u32_e32 v4, vcc_lo, s11, v16, vcc_lo
	s_waitcnt lgkmcnt(0)
	s_and_b32 s0, s0, 0xffff
	s_and_b32 s1, s1, exec_lo
	s_mul_i32 s2, s0, 3
	s_cselect_b32 s7, s5, 0
	s_cselect_b32 s6, s4, 0x10000
	s_lshl_b32 s1, s0, 1
	s_lshl_b32 s14, s0, 2
	s_add_u32 s15, s12, s2
	s_addc_u32 s16, s13, 0
	v_add_co_u32 v7, s15, s15, v0
	s_delay_alu instid0(VALU_DEP_1) | instskip(SKIP_1) | instid1(VALU_DEP_2)
	v_add_co_ci_u32_e64 v8, null, s16, 0, s15
	s_add_u32 s12, s12, s1
	v_add_co_u32 v5, vcc_lo, s8, v7
	s_addc_u32 s13, s13, 0
	v_add_co_u32 v13, s12, s12, v0
	v_add_co_ci_u32_e32 v6, vcc_lo, s9, v8, vcc_lo
	v_add_co_u32 v7, vcc_lo, s10, v7
	v_add_co_ci_u32_e64 v14, null, s13, 0, s12
	v_add_co_ci_u32_e32 v8, vcc_lo, s11, v8, vcc_lo
	v_add_co_u32 v11, vcc_lo, s8, v13
	s_delay_alu instid0(VALU_DEP_3)
	v_add_co_ci_u32_e32 v12, vcc_lo, s9, v14, vcc_lo
	v_add_co_u32 v13, vcc_lo, s10, v13
	v_add_co_ci_u32_e32 v14, vcc_lo, s11, v14, vcc_lo
	v_add_co_u32 v19, vcc_lo, v15, s0
	v_add_co_ci_u32_e32 v20, vcc_lo, 0, v16, vcc_lo
	v_add_co_u32 v9, s2, s2, v0
	s_delay_alu instid0(VALU_DEP_3) | instskip(NEXT) | instid1(VALU_DEP_3)
	v_add_co_u32 v17, vcc_lo, s8, v19
	v_add_co_ci_u32_e32 v18, vcc_lo, s9, v20, vcc_lo
	v_add_co_u32 v15, s1, s1, v0
	v_add_co_u32 v19, vcc_lo, s10, v19
	v_add_co_u32 v21, s0, v0, s0
	v_add_co_ci_u32_e64 v10, null, 0, 0, s2
	v_add_co_ci_u32_e64 v16, null, 0, 0, s1
	v_add_co_ci_u32_e32 v20, vcc_lo, s11, v20, vcc_lo
	v_add_co_ci_u32_e64 v22, null, 0, 0, s0
	s_mov_b64 s[8:9], 0
	s_lshr_b32 s10, s3, 16
	s_branch .LBB24_9
.LBB24_8:                               ;   in Loop: Header=BB24_9 Depth=1
	s_or_b32 exec_lo, exec_lo, s0
	s_add_u32 s8, s8, s14
	s_addc_u32 s9, s9, 0
	s_delay_alu instid0(SALU_CYCLE_1) | instskip(SKIP_1) | instid1(VALU_DEP_1)
	v_cmp_ge_i64_e64 s0, s[8:9], s[4:5]
	v_cmp_lt_u64_e64 s1, 0xffff, s[8:9]
	s_or_b32 s0, s0, s1
	s_delay_alu instid0(SALU_CYCLE_1)
	s_and_b32 vcc_lo, exec_lo, s0
	s_cbranch_vccnz .LBB24_25
.LBB24_9:                               ; =>This Inner Loop Header: Depth=1
	s_waitcnt vmcnt(0)
	v_add_co_u32 v25, s0, v0, s8
	s_delay_alu instid0(VALU_DEP_1) | instskip(SKIP_1) | instid1(VALU_DEP_2)
	v_add_co_ci_u32_e64 v26, null, 0, s9, s0
	v_dual_mov_b32 v24, 0 :: v_dual_mov_b32 v23, 0
	v_cmp_gt_u64_e32 vcc_lo, s[6:7], v[25:26]
	v_mov_b32_e32 v25, 0
	s_and_saveexec_b32 s1, vcc_lo
	s_cbranch_execz .LBB24_11
; %bb.10:                               ;   in Loop: Header=BB24_9 Depth=1
	v_add_co_u32 v25, s0, v1, s8
	s_delay_alu instid0(VALU_DEP_1) | instskip(SKIP_1) | instid1(VALU_DEP_1)
	v_add_co_ci_u32_e64 v26, s0, s9, v2, s0
	v_add_co_u32 v27, s0, v3, s8
	v_add_co_ci_u32_e64 v28, s0, s9, v4, s0
	global_load_u8 v23, v[25:26], off
	global_load_u8 v25, v[27:28], off
.LBB24_11:                              ;   in Loop: Header=BB24_9 Depth=1
	s_or_b32 exec_lo, exec_lo, s1
	v_add_co_u32 v26, s0, v21, s8
	s_delay_alu instid0(VALU_DEP_1) | instskip(NEXT) | instid1(VALU_DEP_1)
	v_add_co_ci_u32_e64 v27, s0, s9, v22, s0
	v_cmp_gt_u64_e64 s0, s[6:7], v[26:27]
	s_delay_alu instid0(VALU_DEP_1)
	s_and_saveexec_b32 s2, s0
	s_cbranch_execz .LBB24_13
; %bb.12:                               ;   in Loop: Header=BB24_9 Depth=1
	v_add_co_u32 v26, s1, v17, s8
	s_delay_alu instid0(VALU_DEP_1) | instskip(SKIP_2) | instid1(VALU_DEP_1)
	v_add_co_ci_u32_e64 v27, s1, s9, v18, s1
	global_load_u8 v28, v[26:27], off
	v_add_co_u32 v26, s1, v19, s8
	v_add_co_ci_u32_e64 v27, s1, s9, v20, s1
	global_load_u8 v24, v[26:27], off
	s_waitcnt vmcnt(1)
	v_lshl_or_b32 v23, v28, 8, v23
.LBB24_13:                              ;   in Loop: Header=BB24_9 Depth=1
	s_or_b32 exec_lo, exec_lo, s2
	v_add_co_u32 v26, s1, v15, s8
	s_delay_alu instid0(VALU_DEP_1) | instskip(NEXT) | instid1(VALU_DEP_1)
	v_add_co_ci_u32_e64 v27, s1, s9, v16, s1
	v_cmp_gt_u64_e64 s1, s[6:7], v[26:27]
	v_dual_mov_b32 v26, 0 :: v_dual_mov_b32 v27, 0
	s_delay_alu instid0(VALU_DEP_2)
	s_and_saveexec_b32 s3, s1
	s_cbranch_execz .LBB24_15
; %bb.14:                               ;   in Loop: Header=BB24_9 Depth=1
	v_add_co_u32 v27, s2, v11, s8
	s_delay_alu instid0(VALU_DEP_1) | instskip(SKIP_2) | instid1(VALU_DEP_1)
	v_add_co_ci_u32_e64 v28, s2, s9, v12, s2
	global_load_u8 v29, v[27:28], off
	v_add_co_u32 v27, s2, v13, s8
	v_add_co_ci_u32_e64 v28, s2, s9, v14, s2
	global_load_u8 v27, v[27:28], off
	s_waitcnt vmcnt(1)
	v_lshl_or_b32 v23, v29, 16, v23
.LBB24_15:                              ;   in Loop: Header=BB24_9 Depth=1
	s_or_b32 exec_lo, exec_lo, s3
	v_add_co_u32 v28, s2, v9, s8
	s_delay_alu instid0(VALU_DEP_1) | instskip(NEXT) | instid1(VALU_DEP_1)
	v_add_co_ci_u32_e64 v29, s2, s9, v10, s2
	v_cmp_gt_u64_e64 s2, s[6:7], v[28:29]
	s_delay_alu instid0(VALU_DEP_1)
	s_and_saveexec_b32 s11, s2
	s_cbranch_execnz .LBB24_20
; %bb.16:                               ;   in Loop: Header=BB24_9 Depth=1
	s_or_b32 exec_lo, exec_lo, s11
	s_and_saveexec_b32 s3, vcc_lo
	s_cbranch_execnz .LBB24_21
.LBB24_17:                              ;   in Loop: Header=BB24_9 Depth=1
	s_or_b32 exec_lo, exec_lo, s3
	s_and_saveexec_b32 s3, s0
	s_cbranch_execnz .LBB24_22
.LBB24_18:                              ;   in Loop: Header=BB24_9 Depth=1
	s_or_b32 exec_lo, exec_lo, s3
	s_and_saveexec_b32 s0, s1
	s_cbranch_execnz .LBB24_23
.LBB24_19:                              ;   in Loop: Header=BB24_9 Depth=1
	s_or_b32 exec_lo, exec_lo, s0
	s_and_saveexec_b32 s0, s2
	s_cbranch_execz .LBB24_8
	s_branch .LBB24_24
.LBB24_20:                              ;   in Loop: Header=BB24_9 Depth=1
	v_add_co_u32 v28, s3, v5, s8
	s_delay_alu instid0(VALU_DEP_1) | instskip(SKIP_2) | instid1(VALU_DEP_1)
	v_add_co_ci_u32_e64 v29, s3, s9, v6, s3
	global_load_u8 v30, v[28:29], off
	v_add_co_u32 v28, s3, v7, s8
	v_add_co_ci_u32_e64 v29, s3, s9, v8, s3
	global_load_u8 v26, v[28:29], off
	s_waitcnt vmcnt(1)
	v_lshl_or_b32 v23, v30, 24, v23
	s_or_b32 exec_lo, exec_lo, s11
	s_and_saveexec_b32 s3, vcc_lo
	s_cbranch_execz .LBB24_17
.LBB24_21:                              ;   in Loop: Header=BB24_9 Depth=1
	s_waitcnt vmcnt(0)
	v_mul_lo_u16 v25, v25, s10
	v_add_co_u32 v28, vcc_lo, v1, s8
	v_add_co_ci_u32_e32 v29, vcc_lo, s9, v2, vcc_lo
	s_delay_alu instid0(VALU_DEP_3)
	v_sub_nc_u16 v25, v23, v25
	global_store_b8 v[28:29], v25, off
	s_or_b32 exec_lo, exec_lo, s3
	s_and_saveexec_b32 s3, s0
	s_cbranch_execz .LBB24_18
.LBB24_22:                              ;   in Loop: Header=BB24_9 Depth=1
	s_waitcnt vmcnt(0)
	v_lshrrev_b32_e32 v25, 8, v23
	v_mul_lo_u16 v24, v24, s10
	s_delay_alu instid0(VALU_DEP_1)
	v_sub_nc_u16 v28, v25, v24
	v_add_co_u32 v24, vcc_lo, v17, s8
	v_add_co_ci_u32_e32 v25, vcc_lo, s9, v18, vcc_lo
	global_store_b8 v[24:25], v28, off
	s_or_b32 exec_lo, exec_lo, s3
	s_and_saveexec_b32 s0, s1
	s_cbranch_execz .LBB24_19
.LBB24_23:                              ;   in Loop: Header=BB24_9 Depth=1
	s_waitcnt vmcnt(0)
	v_lshrrev_b32_e32 v24, 16, v23
	v_mul_lo_u16 v25, v27, s10
	s_delay_alu instid0(VALU_DEP_1)
	v_sub_nc_u16 v27, v24, v25
	v_add_co_u32 v24, vcc_lo, v11, s8
	v_add_co_ci_u32_e32 v25, vcc_lo, s9, v12, vcc_lo
	global_store_b8 v[24:25], v27, off
	s_or_b32 exec_lo, exec_lo, s0
	s_and_saveexec_b32 s0, s2
	s_cbranch_execz .LBB24_8
.LBB24_24:                              ;   in Loop: Header=BB24_9 Depth=1
	s_waitcnt vmcnt(1)
	v_lshrrev_b32_e32 v23, 24, v23
	s_waitcnt vmcnt(0)
	v_mul_lo_u16 v24, v26, s10
	s_delay_alu instid0(VALU_DEP_1)
	v_sub_nc_u16 v25, v23, v24
	v_add_co_u32 v23, vcc_lo, v5, s8
	v_add_co_ci_u32_e32 v24, vcc_lo, s9, v6, vcc_lo
	global_store_b8 v[23:24], v25, off
	s_branch .LBB24_8
.LBB24_25:
	s_nop 0
	s_sendmsg sendmsg(MSG_DEALLOC_VGPRS)
	s_endpgm
	.section	.rodata,"a",@progbits
	.p2align	6, 0x0
	.amdhsa_kernel _ZN2at6native12_GLOBAL__N_125multi_tensor_apply_kernelINS1_18TensorListMetadataILi2EEENS1_24BinaryOpListAlphaFunctorIhLi2ELi2ELi0EEEJSt5minusIhEhEEEvT_T0_DpT1_
		.amdhsa_group_segment_fixed_size 0
		.amdhsa_private_segment_fixed_size 0
		.amdhsa_kernarg_size 3408
		.amdhsa_user_sgpr_count 15
		.amdhsa_user_sgpr_dispatch_ptr 0
		.amdhsa_user_sgpr_queue_ptr 0
		.amdhsa_user_sgpr_kernarg_segment_ptr 1
		.amdhsa_user_sgpr_dispatch_id 0
		.amdhsa_user_sgpr_private_segment_size 0
		.amdhsa_wavefront_size32 1
		.amdhsa_uses_dynamic_stack 0
		.amdhsa_enable_private_segment 0
		.amdhsa_system_sgpr_workgroup_id_x 1
		.amdhsa_system_sgpr_workgroup_id_y 0
		.amdhsa_system_sgpr_workgroup_id_z 0
		.amdhsa_system_sgpr_workgroup_info 0
		.amdhsa_system_vgpr_workitem_id 0
		.amdhsa_next_free_vgpr 31
		.amdhsa_next_free_sgpr 20
		.amdhsa_reserve_vcc 1
		.amdhsa_float_round_mode_32 0
		.amdhsa_float_round_mode_16_64 0
		.amdhsa_float_denorm_mode_32 3
		.amdhsa_float_denorm_mode_16_64 3
		.amdhsa_dx10_clamp 1
		.amdhsa_ieee_mode 1
		.amdhsa_fp16_overflow 0
		.amdhsa_workgroup_processor_mode 1
		.amdhsa_memory_ordered 1
		.amdhsa_forward_progress 0
		.amdhsa_shared_vgpr_count 0
		.amdhsa_exception_fp_ieee_invalid_op 0
		.amdhsa_exception_fp_denorm_src 0
		.amdhsa_exception_fp_ieee_div_zero 0
		.amdhsa_exception_fp_ieee_overflow 0
		.amdhsa_exception_fp_ieee_underflow 0
		.amdhsa_exception_fp_ieee_inexact 0
		.amdhsa_exception_int_div_zero 0
	.end_amdhsa_kernel
	.section	.text._ZN2at6native12_GLOBAL__N_125multi_tensor_apply_kernelINS1_18TensorListMetadataILi2EEENS1_24BinaryOpListAlphaFunctorIhLi2ELi2ELi0EEEJSt5minusIhEhEEEvT_T0_DpT1_,"axG",@progbits,_ZN2at6native12_GLOBAL__N_125multi_tensor_apply_kernelINS1_18TensorListMetadataILi2EEENS1_24BinaryOpListAlphaFunctorIhLi2ELi2ELi0EEEJSt5minusIhEhEEEvT_T0_DpT1_,comdat
.Lfunc_end24:
	.size	_ZN2at6native12_GLOBAL__N_125multi_tensor_apply_kernelINS1_18TensorListMetadataILi2EEENS1_24BinaryOpListAlphaFunctorIhLi2ELi2ELi0EEEJSt5minusIhEhEEEvT_T0_DpT1_, .Lfunc_end24-_ZN2at6native12_GLOBAL__N_125multi_tensor_apply_kernelINS1_18TensorListMetadataILi2EEENS1_24BinaryOpListAlphaFunctorIhLi2ELi2ELi0EEEJSt5minusIhEhEEEvT_T0_DpT1_
                                        ; -- End function
	.section	.AMDGPU.csdata,"",@progbits
; Kernel info:
; codeLenInByte = 1632
; NumSgprs: 22
; NumVgprs: 31
; ScratchSize: 0
; MemoryBound: 0
; FloatMode: 240
; IeeeMode: 1
; LDSByteSize: 0 bytes/workgroup (compile time only)
; SGPRBlocks: 2
; VGPRBlocks: 3
; NumSGPRsForWavesPerEU: 22
; NumVGPRsForWavesPerEU: 31
; Occupancy: 16
; WaveLimiterHint : 0
; COMPUTE_PGM_RSRC2:SCRATCH_EN: 0
; COMPUTE_PGM_RSRC2:USER_SGPR: 15
; COMPUTE_PGM_RSRC2:TRAP_HANDLER: 0
; COMPUTE_PGM_RSRC2:TGID_X_EN: 1
; COMPUTE_PGM_RSRC2:TGID_Y_EN: 0
; COMPUTE_PGM_RSRC2:TGID_Z_EN: 0
; COMPUTE_PGM_RSRC2:TIDIG_COMP_CNT: 0
	.section	.text._ZN2at6native12_GLOBAL__N_125multi_tensor_apply_kernelINS1_18TensorListMetadataILi2EEENS1_24BinaryOpListAlphaFunctorIaLi2ELi2ELi0EEEJSt5minusIaEaEEEvT_T0_DpT1_,"axG",@progbits,_ZN2at6native12_GLOBAL__N_125multi_tensor_apply_kernelINS1_18TensorListMetadataILi2EEENS1_24BinaryOpListAlphaFunctorIaLi2ELi2ELi0EEEJSt5minusIaEaEEEvT_T0_DpT1_,comdat
	.globl	_ZN2at6native12_GLOBAL__N_125multi_tensor_apply_kernelINS1_18TensorListMetadataILi2EEENS1_24BinaryOpListAlphaFunctorIaLi2ELi2ELi0EEEJSt5minusIaEaEEEvT_T0_DpT1_ ; -- Begin function _ZN2at6native12_GLOBAL__N_125multi_tensor_apply_kernelINS1_18TensorListMetadataILi2EEENS1_24BinaryOpListAlphaFunctorIaLi2ELi2ELi0EEEJSt5minusIaEaEEEvT_T0_DpT1_
	.p2align	8
	.type	_ZN2at6native12_GLOBAL__N_125multi_tensor_apply_kernelINS1_18TensorListMetadataILi2EEENS1_24BinaryOpListAlphaFunctorIaLi2ELi2ELi0EEEJSt5minusIaEaEEEvT_T0_DpT1_,@function
_ZN2at6native12_GLOBAL__N_125multi_tensor_apply_kernelINS1_18TensorListMetadataILi2EEENS1_24BinaryOpListAlphaFunctorIaLi2ELi2ELi0EEEJSt5minusIaEaEEEvT_T0_DpT1_: ; @_ZN2at6native12_GLOBAL__N_125multi_tensor_apply_kernelINS1_18TensorListMetadataILi2EEENS1_24BinaryOpListAlphaFunctorIaLi2ELi2ELi0EEEJSt5minusIaEaEEEvT_T0_DpT1_
; %bb.0:
	v_mov_b32_e32 v1, s15
	s_add_u32 s2, s0, s15
	s_mul_hi_u32 s3, s15, 3
	s_mul_i32 s15, s15, 3
	s_addc_u32 s4, s1, 0
	global_load_u8 v1, v1, s[0:1] offset:1536
	s_add_u32 s2, s2, s15
	s_addc_u32 s3, s4, s3
	s_load_b32 s4, s[2:3], 0x740
	s_waitcnt lgkmcnt(0)
	s_ashr_i32 s5, s4, 31
	s_delay_alu instid0(SALU_CYCLE_1) | instskip(SKIP_2) | instid1(VALU_DEP_1)
	s_lshl_b64 s[12:13], s[4:5], 16
	s_waitcnt vmcnt(0)
	v_readfirstlane_b32 s2, v1
	s_lshl_b32 s2, s2, 3
	s_clause 0x3
	s_load_b64 s[8:9], s[0:1], s2 offset:0x0
	s_load_b64 s[10:11], s[0:1], s2 offset:0x200
	;; [unrolled: 1-line block ×3, first 2 shown]
	s_load_b32 s3, s[0:1], 0xc48
	s_waitcnt lgkmcnt(0)
	s_add_u32 s6, s8, s12
	s_addc_u32 s7, s9, s13
	s_add_u32 s14, s10, s12
	s_addc_u32 s15, s11, s13
	s_or_b64 s[4:5], s[16:17], s[6:7]
	s_delay_alu instid0(SALU_CYCLE_1) | instskip(NEXT) | instid1(SALU_CYCLE_1)
	s_or_b32 s2, s14, s4
	s_and_b32 s2, s2, 3
	s_sub_u32 s4, s16, s12
	s_subb_u32 s5, s17, s13
	s_cmp_eq_u32 s2, 0
	s_mov_b32 s2, -1
	s_cbranch_scc0 .LBB25_5
; %bb.1:
	v_dual_mov_b32 v2, 0 :: v_dual_lshlrev_b32 v1, 2, v0
	s_mov_b32 s16, exec_lo
	s_delay_alu instid0(VALU_DEP_1)
	v_cmpx_gt_i64_e64 s[4:5], v[1:2]
	s_cbranch_execz .LBB25_4
; %bb.2:
	s_load_b32 s2, s[0:1], 0xc5c
	s_mov_b32 s17, 0
	s_lshr_b32 s19, s3, 16
	s_waitcnt lgkmcnt(0)
	s_and_b32 s2, s2, 0xffff
	s_delay_alu instid0(SALU_CYCLE_1)
	s_lshl_b32 s18, s2, 2
.LBB25_3:                               ; =>This Inner Loop Header: Depth=1
	v_add_co_u32 v3, vcc_lo, s14, v1
	v_add_co_ci_u32_e32 v4, vcc_lo, s15, v2, vcc_lo
	v_add_co_u32 v5, vcc_lo, s6, v1
	v_add_co_ci_u32_e32 v6, vcc_lo, s7, v2, vcc_lo
	v_add_co_u32 v1, vcc_lo, s18, v1
	global_load_b32 v3, v[3:4], off
	global_load_b32 v4, v[5:6], off
	v_add_co_ci_u32_e32 v2, vcc_lo, 0, v2, vcc_lo
	s_delay_alu instid0(VALU_DEP_1) | instskip(SKIP_1) | instid1(VALU_DEP_1)
	v_cmp_le_i64_e32 vcc_lo, s[4:5], v[1:2]
	v_cmp_lt_u64_e64 s2, 0xffff, v[1:2]
	s_or_b32 s2, vcc_lo, s2
	s_delay_alu instid0(SALU_CYCLE_1) | instskip(NEXT) | instid1(SALU_CYCLE_1)
	s_and_b32 s2, exec_lo, s2
	s_or_b32 s17, s2, s17
	s_waitcnt vmcnt(1)
	v_lshrrev_b32_e32 v8, 8, v3
	v_lshrrev_b32_e32 v9, 16, v3
	v_mul_lo_u16 v7, v3, s19
	s_waitcnt vmcnt(0)
	v_lshrrev_b32_e32 v10, 8, v4
	v_lshrrev_b32_e32 v11, 16, v4
	;; [unrolled: 1-line block ×3, first 2 shown]
	v_mul_lo_u16 v8, v8, s19
	v_mul_lo_u16 v9, v9, s19
	v_lshrrev_b32_e32 v12, 24, v4
	v_sub_nc_u16 v4, v4, v7
	v_mul_lo_u16 v3, v3, s19
	v_sub_nc_u16 v8, v10, v8
	v_sub_nc_u16 v9, v11, v9
	s_delay_alu instid0(VALU_DEP_3) | instskip(NEXT) | instid1(VALU_DEP_3)
	v_sub_nc_u16 v3, v12, v3
	v_and_b32_e32 v7, 0xff, v8
	s_delay_alu instid0(VALU_DEP_3) | instskip(NEXT) | instid1(VALU_DEP_3)
	v_and_b32_e32 v8, 0xff, v9
	v_lshlrev_b32_e32 v3, 24, v3
	s_delay_alu instid0(VALU_DEP_3) | instskip(NEXT) | instid1(VALU_DEP_3)
	v_perm_b32 v4, v7, v4, 0x6050400
	v_lshlrev_b32_e32 v7, 16, v8
	s_delay_alu instid0(VALU_DEP_1)
	v_or3_b32 v3, v4, v7, v3
	global_store_b32 v[5:6], v3, off
	s_and_not1_b32 exec_lo, exec_lo, s17
	s_cbranch_execnz .LBB25_3
.LBB25_4:
	s_or_b32 exec_lo, exec_lo, s16
	s_mov_b32 s2, 0
.LBB25_5:
	s_delay_alu instid0(SALU_CYCLE_1)
	s_and_not1_b32 vcc_lo, exec_lo, s2
	s_cbranch_vccnz .LBB25_25
; %bb.6:
	v_cmp_lt_i64_e64 s2, s[4:5], 1
	s_delay_alu instid0(VALU_DEP_1)
	s_and_b32 vcc_lo, exec_lo, s2
	s_cbranch_vccnz .LBB25_25
; %bb.7:
	s_load_b32 s0, s[0:1], 0xc5c
	v_add_co_u32 v15, s1, s12, v0
	s_delay_alu instid0(VALU_DEP_1) | instskip(SKIP_1) | instid1(VALU_DEP_3)
	v_add_co_ci_u32_e64 v16, null, s13, 0, s1
	v_cmp_gt_u64_e64 s1, 0x10000, s[4:5]
	v_add_co_u32 v1, vcc_lo, s8, v15
	s_delay_alu instid0(VALU_DEP_3)
	v_add_co_ci_u32_e32 v2, vcc_lo, s9, v16, vcc_lo
	v_add_co_u32 v3, vcc_lo, s10, v15
	v_add_co_ci_u32_e32 v4, vcc_lo, s11, v16, vcc_lo
	s_waitcnt lgkmcnt(0)
	s_and_b32 s0, s0, 0xffff
	s_and_b32 s1, s1, exec_lo
	s_mul_i32 s2, s0, 3
	s_cselect_b32 s7, s5, 0
	s_cselect_b32 s6, s4, 0x10000
	s_lshl_b32 s1, s0, 1
	s_lshl_b32 s14, s0, 2
	s_add_u32 s15, s12, s2
	s_addc_u32 s16, s13, 0
	v_add_co_u32 v7, s15, s15, v0
	s_delay_alu instid0(VALU_DEP_1) | instskip(SKIP_1) | instid1(VALU_DEP_2)
	v_add_co_ci_u32_e64 v8, null, s16, 0, s15
	s_add_u32 s12, s12, s1
	v_add_co_u32 v5, vcc_lo, s8, v7
	s_addc_u32 s13, s13, 0
	v_add_co_u32 v13, s12, s12, v0
	v_add_co_ci_u32_e32 v6, vcc_lo, s9, v8, vcc_lo
	v_add_co_u32 v7, vcc_lo, s10, v7
	v_add_co_ci_u32_e64 v14, null, s13, 0, s12
	v_add_co_ci_u32_e32 v8, vcc_lo, s11, v8, vcc_lo
	v_add_co_u32 v11, vcc_lo, s8, v13
	s_delay_alu instid0(VALU_DEP_3)
	v_add_co_ci_u32_e32 v12, vcc_lo, s9, v14, vcc_lo
	v_add_co_u32 v13, vcc_lo, s10, v13
	v_add_co_ci_u32_e32 v14, vcc_lo, s11, v14, vcc_lo
	v_add_co_u32 v19, vcc_lo, v15, s0
	v_add_co_ci_u32_e32 v20, vcc_lo, 0, v16, vcc_lo
	v_add_co_u32 v9, s2, s2, v0
	s_delay_alu instid0(VALU_DEP_3) | instskip(NEXT) | instid1(VALU_DEP_3)
	v_add_co_u32 v17, vcc_lo, s8, v19
	v_add_co_ci_u32_e32 v18, vcc_lo, s9, v20, vcc_lo
	v_add_co_u32 v15, s1, s1, v0
	v_add_co_u32 v19, vcc_lo, s10, v19
	v_add_co_u32 v21, s0, v0, s0
	v_add_co_ci_u32_e64 v10, null, 0, 0, s2
	v_add_co_ci_u32_e64 v16, null, 0, 0, s1
	v_add_co_ci_u32_e32 v20, vcc_lo, s11, v20, vcc_lo
	v_add_co_ci_u32_e64 v22, null, 0, 0, s0
	s_mov_b64 s[8:9], 0
	s_lshr_b32 s10, s3, 16
	s_branch .LBB25_9
.LBB25_8:                               ;   in Loop: Header=BB25_9 Depth=1
	s_or_b32 exec_lo, exec_lo, s0
	s_add_u32 s8, s8, s14
	s_addc_u32 s9, s9, 0
	s_delay_alu instid0(SALU_CYCLE_1) | instskip(SKIP_1) | instid1(VALU_DEP_1)
	v_cmp_ge_i64_e64 s0, s[8:9], s[4:5]
	v_cmp_lt_u64_e64 s1, 0xffff, s[8:9]
	s_or_b32 s0, s0, s1
	s_delay_alu instid0(SALU_CYCLE_1)
	s_and_b32 vcc_lo, exec_lo, s0
	s_cbranch_vccnz .LBB25_25
.LBB25_9:                               ; =>This Inner Loop Header: Depth=1
	s_waitcnt vmcnt(0)
	v_add_co_u32 v25, s0, v0, s8
	s_delay_alu instid0(VALU_DEP_1) | instskip(SKIP_1) | instid1(VALU_DEP_2)
	v_add_co_ci_u32_e64 v26, null, 0, s9, s0
	v_dual_mov_b32 v24, 0 :: v_dual_mov_b32 v23, 0
	v_cmp_gt_u64_e32 vcc_lo, s[6:7], v[25:26]
	v_mov_b32_e32 v25, 0
	s_and_saveexec_b32 s1, vcc_lo
	s_cbranch_execz .LBB25_11
; %bb.10:                               ;   in Loop: Header=BB25_9 Depth=1
	v_add_co_u32 v25, s0, v1, s8
	s_delay_alu instid0(VALU_DEP_1) | instskip(SKIP_1) | instid1(VALU_DEP_1)
	v_add_co_ci_u32_e64 v26, s0, s9, v2, s0
	v_add_co_u32 v27, s0, v3, s8
	v_add_co_ci_u32_e64 v28, s0, s9, v4, s0
	global_load_u8 v23, v[25:26], off
	global_load_u8 v25, v[27:28], off
.LBB25_11:                              ;   in Loop: Header=BB25_9 Depth=1
	s_or_b32 exec_lo, exec_lo, s1
	v_add_co_u32 v26, s0, v21, s8
	s_delay_alu instid0(VALU_DEP_1) | instskip(NEXT) | instid1(VALU_DEP_1)
	v_add_co_ci_u32_e64 v27, s0, s9, v22, s0
	v_cmp_gt_u64_e64 s0, s[6:7], v[26:27]
	s_delay_alu instid0(VALU_DEP_1)
	s_and_saveexec_b32 s2, s0
	s_cbranch_execz .LBB25_13
; %bb.12:                               ;   in Loop: Header=BB25_9 Depth=1
	v_add_co_u32 v26, s1, v17, s8
	s_delay_alu instid0(VALU_DEP_1) | instskip(SKIP_2) | instid1(VALU_DEP_1)
	v_add_co_ci_u32_e64 v27, s1, s9, v18, s1
	global_load_u8 v28, v[26:27], off
	v_add_co_u32 v26, s1, v19, s8
	v_add_co_ci_u32_e64 v27, s1, s9, v20, s1
	global_load_u8 v24, v[26:27], off
	s_waitcnt vmcnt(1)
	v_lshl_or_b32 v23, v28, 8, v23
.LBB25_13:                              ;   in Loop: Header=BB25_9 Depth=1
	s_or_b32 exec_lo, exec_lo, s2
	v_add_co_u32 v26, s1, v15, s8
	s_delay_alu instid0(VALU_DEP_1) | instskip(NEXT) | instid1(VALU_DEP_1)
	v_add_co_ci_u32_e64 v27, s1, s9, v16, s1
	v_cmp_gt_u64_e64 s1, s[6:7], v[26:27]
	v_dual_mov_b32 v26, 0 :: v_dual_mov_b32 v27, 0
	s_delay_alu instid0(VALU_DEP_2)
	s_and_saveexec_b32 s3, s1
	s_cbranch_execz .LBB25_15
; %bb.14:                               ;   in Loop: Header=BB25_9 Depth=1
	v_add_co_u32 v27, s2, v11, s8
	s_delay_alu instid0(VALU_DEP_1) | instskip(SKIP_2) | instid1(VALU_DEP_1)
	v_add_co_ci_u32_e64 v28, s2, s9, v12, s2
	global_load_u8 v29, v[27:28], off
	v_add_co_u32 v27, s2, v13, s8
	v_add_co_ci_u32_e64 v28, s2, s9, v14, s2
	global_load_u8 v27, v[27:28], off
	s_waitcnt vmcnt(1)
	v_lshl_or_b32 v23, v29, 16, v23
.LBB25_15:                              ;   in Loop: Header=BB25_9 Depth=1
	s_or_b32 exec_lo, exec_lo, s3
	v_add_co_u32 v28, s2, v9, s8
	s_delay_alu instid0(VALU_DEP_1) | instskip(NEXT) | instid1(VALU_DEP_1)
	v_add_co_ci_u32_e64 v29, s2, s9, v10, s2
	v_cmp_gt_u64_e64 s2, s[6:7], v[28:29]
	s_delay_alu instid0(VALU_DEP_1)
	s_and_saveexec_b32 s11, s2
	s_cbranch_execnz .LBB25_20
; %bb.16:                               ;   in Loop: Header=BB25_9 Depth=1
	s_or_b32 exec_lo, exec_lo, s11
	s_and_saveexec_b32 s3, vcc_lo
	s_cbranch_execnz .LBB25_21
.LBB25_17:                              ;   in Loop: Header=BB25_9 Depth=1
	s_or_b32 exec_lo, exec_lo, s3
	s_and_saveexec_b32 s3, s0
	s_cbranch_execnz .LBB25_22
.LBB25_18:                              ;   in Loop: Header=BB25_9 Depth=1
	s_or_b32 exec_lo, exec_lo, s3
	s_and_saveexec_b32 s0, s1
	s_cbranch_execnz .LBB25_23
.LBB25_19:                              ;   in Loop: Header=BB25_9 Depth=1
	s_or_b32 exec_lo, exec_lo, s0
	s_and_saveexec_b32 s0, s2
	s_cbranch_execz .LBB25_8
	s_branch .LBB25_24
.LBB25_20:                              ;   in Loop: Header=BB25_9 Depth=1
	v_add_co_u32 v28, s3, v5, s8
	s_delay_alu instid0(VALU_DEP_1) | instskip(SKIP_2) | instid1(VALU_DEP_1)
	v_add_co_ci_u32_e64 v29, s3, s9, v6, s3
	global_load_u8 v30, v[28:29], off
	v_add_co_u32 v28, s3, v7, s8
	v_add_co_ci_u32_e64 v29, s3, s9, v8, s3
	global_load_u8 v26, v[28:29], off
	s_waitcnt vmcnt(1)
	v_lshl_or_b32 v23, v30, 24, v23
	s_or_b32 exec_lo, exec_lo, s11
	s_and_saveexec_b32 s3, vcc_lo
	s_cbranch_execz .LBB25_17
.LBB25_21:                              ;   in Loop: Header=BB25_9 Depth=1
	s_waitcnt vmcnt(0)
	v_mul_lo_u16 v25, v25, s10
	v_add_co_u32 v28, vcc_lo, v1, s8
	v_add_co_ci_u32_e32 v29, vcc_lo, s9, v2, vcc_lo
	s_delay_alu instid0(VALU_DEP_3)
	v_sub_nc_u16 v25, v23, v25
	global_store_b8 v[28:29], v25, off
	s_or_b32 exec_lo, exec_lo, s3
	s_and_saveexec_b32 s3, s0
	s_cbranch_execz .LBB25_18
.LBB25_22:                              ;   in Loop: Header=BB25_9 Depth=1
	s_waitcnt vmcnt(0)
	v_lshrrev_b32_e32 v25, 8, v23
	v_mul_lo_u16 v24, v24, s10
	s_delay_alu instid0(VALU_DEP_1)
	v_sub_nc_u16 v28, v25, v24
	v_add_co_u32 v24, vcc_lo, v17, s8
	v_add_co_ci_u32_e32 v25, vcc_lo, s9, v18, vcc_lo
	global_store_b8 v[24:25], v28, off
	s_or_b32 exec_lo, exec_lo, s3
	s_and_saveexec_b32 s0, s1
	s_cbranch_execz .LBB25_19
.LBB25_23:                              ;   in Loop: Header=BB25_9 Depth=1
	s_waitcnt vmcnt(0)
	v_lshrrev_b32_e32 v24, 16, v23
	v_mul_lo_u16 v25, v27, s10
	s_delay_alu instid0(VALU_DEP_1)
	v_sub_nc_u16 v27, v24, v25
	v_add_co_u32 v24, vcc_lo, v11, s8
	v_add_co_ci_u32_e32 v25, vcc_lo, s9, v12, vcc_lo
	global_store_b8 v[24:25], v27, off
	s_or_b32 exec_lo, exec_lo, s0
	s_and_saveexec_b32 s0, s2
	s_cbranch_execz .LBB25_8
.LBB25_24:                              ;   in Loop: Header=BB25_9 Depth=1
	s_waitcnt vmcnt(1)
	v_lshrrev_b32_e32 v23, 24, v23
	s_waitcnt vmcnt(0)
	v_mul_lo_u16 v24, v26, s10
	s_delay_alu instid0(VALU_DEP_1)
	v_sub_nc_u16 v25, v23, v24
	v_add_co_u32 v23, vcc_lo, v5, s8
	v_add_co_ci_u32_e32 v24, vcc_lo, s9, v6, vcc_lo
	global_store_b8 v[23:24], v25, off
	s_branch .LBB25_8
.LBB25_25:
	s_nop 0
	s_sendmsg sendmsg(MSG_DEALLOC_VGPRS)
	s_endpgm
	.section	.rodata,"a",@progbits
	.p2align	6, 0x0
	.amdhsa_kernel _ZN2at6native12_GLOBAL__N_125multi_tensor_apply_kernelINS1_18TensorListMetadataILi2EEENS1_24BinaryOpListAlphaFunctorIaLi2ELi2ELi0EEEJSt5minusIaEaEEEvT_T0_DpT1_
		.amdhsa_group_segment_fixed_size 0
		.amdhsa_private_segment_fixed_size 0
		.amdhsa_kernarg_size 3408
		.amdhsa_user_sgpr_count 15
		.amdhsa_user_sgpr_dispatch_ptr 0
		.amdhsa_user_sgpr_queue_ptr 0
		.amdhsa_user_sgpr_kernarg_segment_ptr 1
		.amdhsa_user_sgpr_dispatch_id 0
		.amdhsa_user_sgpr_private_segment_size 0
		.amdhsa_wavefront_size32 1
		.amdhsa_uses_dynamic_stack 0
		.amdhsa_enable_private_segment 0
		.amdhsa_system_sgpr_workgroup_id_x 1
		.amdhsa_system_sgpr_workgroup_id_y 0
		.amdhsa_system_sgpr_workgroup_id_z 0
		.amdhsa_system_sgpr_workgroup_info 0
		.amdhsa_system_vgpr_workitem_id 0
		.amdhsa_next_free_vgpr 31
		.amdhsa_next_free_sgpr 20
		.amdhsa_reserve_vcc 1
		.amdhsa_float_round_mode_32 0
		.amdhsa_float_round_mode_16_64 0
		.amdhsa_float_denorm_mode_32 3
		.amdhsa_float_denorm_mode_16_64 3
		.amdhsa_dx10_clamp 1
		.amdhsa_ieee_mode 1
		.amdhsa_fp16_overflow 0
		.amdhsa_workgroup_processor_mode 1
		.amdhsa_memory_ordered 1
		.amdhsa_forward_progress 0
		.amdhsa_shared_vgpr_count 0
		.amdhsa_exception_fp_ieee_invalid_op 0
		.amdhsa_exception_fp_denorm_src 0
		.amdhsa_exception_fp_ieee_div_zero 0
		.amdhsa_exception_fp_ieee_overflow 0
		.amdhsa_exception_fp_ieee_underflow 0
		.amdhsa_exception_fp_ieee_inexact 0
		.amdhsa_exception_int_div_zero 0
	.end_amdhsa_kernel
	.section	.text._ZN2at6native12_GLOBAL__N_125multi_tensor_apply_kernelINS1_18TensorListMetadataILi2EEENS1_24BinaryOpListAlphaFunctorIaLi2ELi2ELi0EEEJSt5minusIaEaEEEvT_T0_DpT1_,"axG",@progbits,_ZN2at6native12_GLOBAL__N_125multi_tensor_apply_kernelINS1_18TensorListMetadataILi2EEENS1_24BinaryOpListAlphaFunctorIaLi2ELi2ELi0EEEJSt5minusIaEaEEEvT_T0_DpT1_,comdat
.Lfunc_end25:
	.size	_ZN2at6native12_GLOBAL__N_125multi_tensor_apply_kernelINS1_18TensorListMetadataILi2EEENS1_24BinaryOpListAlphaFunctorIaLi2ELi2ELi0EEEJSt5minusIaEaEEEvT_T0_DpT1_, .Lfunc_end25-_ZN2at6native12_GLOBAL__N_125multi_tensor_apply_kernelINS1_18TensorListMetadataILi2EEENS1_24BinaryOpListAlphaFunctorIaLi2ELi2ELi0EEEJSt5minusIaEaEEEvT_T0_DpT1_
                                        ; -- End function
	.section	.AMDGPU.csdata,"",@progbits
; Kernel info:
; codeLenInByte = 1632
; NumSgprs: 22
; NumVgprs: 31
; ScratchSize: 0
; MemoryBound: 0
; FloatMode: 240
; IeeeMode: 1
; LDSByteSize: 0 bytes/workgroup (compile time only)
; SGPRBlocks: 2
; VGPRBlocks: 3
; NumSGPRsForWavesPerEU: 22
; NumVGPRsForWavesPerEU: 31
; Occupancy: 16
; WaveLimiterHint : 0
; COMPUTE_PGM_RSRC2:SCRATCH_EN: 0
; COMPUTE_PGM_RSRC2:USER_SGPR: 15
; COMPUTE_PGM_RSRC2:TRAP_HANDLER: 0
; COMPUTE_PGM_RSRC2:TGID_X_EN: 1
; COMPUTE_PGM_RSRC2:TGID_Y_EN: 0
; COMPUTE_PGM_RSRC2:TGID_Z_EN: 0
; COMPUTE_PGM_RSRC2:TIDIG_COMP_CNT: 0
	.section	.text._ZN2at6native12_GLOBAL__N_125multi_tensor_apply_kernelINS1_18TensorListMetadataILi2EEENS1_24BinaryOpListAlphaFunctorIiLi2ELi2ELi0EEEJSt5minusIiEiEEEvT_T0_DpT1_,"axG",@progbits,_ZN2at6native12_GLOBAL__N_125multi_tensor_apply_kernelINS1_18TensorListMetadataILi2EEENS1_24BinaryOpListAlphaFunctorIiLi2ELi2ELi0EEEJSt5minusIiEiEEEvT_T0_DpT1_,comdat
	.globl	_ZN2at6native12_GLOBAL__N_125multi_tensor_apply_kernelINS1_18TensorListMetadataILi2EEENS1_24BinaryOpListAlphaFunctorIiLi2ELi2ELi0EEEJSt5minusIiEiEEEvT_T0_DpT1_ ; -- Begin function _ZN2at6native12_GLOBAL__N_125multi_tensor_apply_kernelINS1_18TensorListMetadataILi2EEENS1_24BinaryOpListAlphaFunctorIiLi2ELi2ELi0EEEJSt5minusIiEiEEEvT_T0_DpT1_
	.p2align	8
	.type	_ZN2at6native12_GLOBAL__N_125multi_tensor_apply_kernelINS1_18TensorListMetadataILi2EEENS1_24BinaryOpListAlphaFunctorIiLi2ELi2ELi0EEEJSt5minusIiEiEEEvT_T0_DpT1_,@function
_ZN2at6native12_GLOBAL__N_125multi_tensor_apply_kernelINS1_18TensorListMetadataILi2EEENS1_24BinaryOpListAlphaFunctorIiLi2ELi2ELi0EEEJSt5minusIiEiEEEvT_T0_DpT1_: ; @_ZN2at6native12_GLOBAL__N_125multi_tensor_apply_kernelINS1_18TensorListMetadataILi2EEENS1_24BinaryOpListAlphaFunctorIiLi2ELi2ELi0EEEJSt5minusIiEiEEEvT_T0_DpT1_
; %bb.0:
	v_mov_b32_e32 v1, s15
	s_add_u32 s2, s0, s15
	s_mul_hi_u32 s3, s15, 3
	s_mul_i32 s15, s15, 3
	s_addc_u32 s4, s1, 0
	global_load_u8 v1, v1, s[0:1] offset:1536
	s_add_u32 s2, s2, s15
	s_addc_u32 s3, s4, s3
	s_mov_b32 s19, 0
	s_load_b32 s2, s[2:3], 0x740
	s_mov_b32 s21, s19
	s_mov_b32 s23, s19
	s_waitcnt vmcnt(0)
	v_readfirstlane_b32 s3, v1
	s_delay_alu instid0(VALU_DEP_1)
	s_lshl_b32 s3, s3, 3
	s_clause 0x3
	s_load_b64 s[10:11], s[0:1], s3 offset:0x0
	s_load_b64 s[12:13], s[0:1], s3 offset:0x200
	;; [unrolled: 1-line block ×3, first 2 shown]
	s_load_b32 s14, s[0:1], 0xc4c
	s_waitcnt lgkmcnt(0)
	s_ashr_i32 s3, s2, 31
	s_delay_alu instid0(SALU_CYCLE_1) | instskip(NEXT) | instid1(SALU_CYCLE_1)
	s_lshl_b64 s[4:5], s[2:3], 18
	s_add_u32 s8, s10, s4
	s_addc_u32 s9, s11, s5
	s_and_b32 s18, s8, 15
	s_add_u32 s15, s12, s4
	s_addc_u32 s16, s13, s5
	s_and_b32 s20, s6, 3
	s_and_b32 s22, s15, 15
	s_or_b64 s[18:19], s[18:19], s[20:21]
	s_lshl_b64 s[2:3], s[2:3], 16
	s_or_b64 s[18:19], s[22:23], s[18:19]
	s_sub_u32 s6, s6, s2
	s_subb_u32 s7, s7, s3
	s_cmp_eq_u64 s[18:19], 0
	s_mov_b32 s2, -1
	s_cbranch_scc0 .LBB26_5
; %bb.1:
	v_dual_mov_b32 v2, 0 :: v_dual_lshlrev_b32 v1, 2, v0
	s_mov_b32 s17, exec_lo
	s_delay_alu instid0(VALU_DEP_1)
	v_cmpx_gt_i64_e64 s[6:7], v[1:2]
	s_cbranch_execz .LBB26_4
; %bb.2:
	s_load_b32 s2, s[0:1], 0xc5c
	v_lshlrev_b32_e32 v3, 4, v0
	s_mov_b32 s18, 0
	s_waitcnt lgkmcnt(0)
	s_and_b32 s2, s2, 0xffff
	s_delay_alu instid0(SALU_CYCLE_1)
	v_add_lshl_u32 v1, v0, s2, 2
	s_lshl_b32 s19, s2, 2
	s_lshl_b32 s20, s2, 4
	s_set_inst_prefetch_distance 0x1
	.p2align	6
.LBB26_3:                               ; =>This Inner Loop Header: Depth=1
	v_add_co_u32 v4, s2, s15, v3
	s_delay_alu instid0(VALU_DEP_1) | instskip(SKIP_1) | instid1(VALU_DEP_1)
	v_add_co_ci_u32_e64 v5, null, s16, 0, s2
	v_add_co_u32 v12, s2, s8, v3
	v_add_co_ci_u32_e64 v13, null, s9, 0, s2
	global_load_b128 v[4:7], v[4:5], off
	v_cmp_le_i64_e32 vcc_lo, s[6:7], v[1:2]
	v_cmp_lt_u64_e64 s2, 0xffff, v[1:2]
	global_load_b128 v[8:11], v[12:13], off
	v_add_co_u32 v1, s3, v1, s19
	s_delay_alu instid0(VALU_DEP_1)
	v_add_co_ci_u32_e64 v2, s3, 0, v2, s3
	s_or_b32 s2, vcc_lo, s2
	s_add_u32 s8, s8, s20
	s_addc_u32 s9, s9, 0
	s_add_u32 s15, s15, s20
	s_addc_u32 s16, s16, 0
	s_and_b32 s2, exec_lo, s2
	s_delay_alu instid0(SALU_CYCLE_1)
	s_or_b32 s18, s2, s18
	s_waitcnt vmcnt(1)
	v_mul_lo_u32 v4, v4, s14
	v_mul_lo_u32 v5, v5, s14
	;; [unrolled: 1-line block ×4, first 2 shown]
	s_waitcnt vmcnt(0)
	s_delay_alu instid0(VALU_DEP_4) | instskip(NEXT) | instid1(VALU_DEP_4)
	v_sub_nc_u32_e32 v4, v8, v4
	v_sub_nc_u32_e32 v5, v9, v5
	s_delay_alu instid0(VALU_DEP_4) | instskip(NEXT) | instid1(VALU_DEP_4)
	v_sub_nc_u32_e32 v6, v10, v6
	v_sub_nc_u32_e32 v7, v11, v7
	global_store_b128 v[12:13], v[4:7], off
	s_and_not1_b32 exec_lo, exec_lo, s18
	s_cbranch_execnz .LBB26_3
.LBB26_4:
	s_set_inst_prefetch_distance 0x2
	s_or_b32 exec_lo, exec_lo, s17
	s_mov_b32 s2, 0
.LBB26_5:
	s_delay_alu instid0(SALU_CYCLE_1)
	s_and_not1_b32 vcc_lo, exec_lo, s2
	s_cbranch_vccnz .LBB26_25
; %bb.6:
	v_cmp_lt_i64_e64 s2, s[6:7], 1
	s_delay_alu instid0(VALU_DEP_1)
	s_and_b32 vcc_lo, exec_lo, s2
	s_cbranch_vccnz .LBB26_25
; %bb.7:
	s_load_b32 s0, s[0:1], 0xc5c
	v_dual_mov_b32 v10, 0 :: v_dual_lshlrev_b32 v9, 2, v0
	v_cmp_gt_u64_e64 s1, 0x10000, s[6:7]
	s_delay_alu instid0(VALU_DEP_2) | instskip(NEXT) | instid1(VALU_DEP_1)
	v_add_co_u32 v1, s2, s10, v9
	v_add_co_ci_u32_e64 v2, null, s11, 0, s2
	v_add_co_u32 v3, s2, s12, v9
	s_delay_alu instid0(VALU_DEP_1)
	v_add_co_ci_u32_e64 v4, null, s13, 0, s2
	s_waitcnt lgkmcnt(0)
	s_and_b32 s0, s0, 0xffff
	s_and_b32 s1, s1, exec_lo
	v_mad_u64_u32 v[7:8], null, s0, 12, v[9:10]
	s_cselect_b32 s9, s7, 0
	s_cselect_b32 s8, s6, 0x10000
	s_mul_i32 s2, s0, 3
	s_lshl_b32 s3, s0, 3
	s_lshl_b32 s1, s0, 1
	v_add_co_u32 v14, s3, s3, v9
	v_add_co_u32 v9, s2, s2, v0
	s_delay_alu instid0(VALU_DEP_1) | instskip(SKIP_3) | instid1(VALU_DEP_3)
	v_add_co_ci_u32_e64 v10, null, 0, 0, s2
	v_add_co_u32 v13, s2, v0, s0
	v_add_co_u32 v5, vcc_lo, s10, v7
	v_add_co_ci_u32_e32 v6, vcc_lo, s11, v8, vcc_lo
	v_lshlrev_b32_e32 v21, 2, v13
	v_add_co_u32 v7, vcc_lo, s12, v7
	v_add_co_ci_u32_e64 v15, null, 0, 0, s3
	v_add_co_ci_u32_e32 v8, vcc_lo, s13, v8, vcc_lo
	v_add_co_u32 v17, s1, s1, v0
	v_add_co_u32 v11, vcc_lo, s10, v14
	v_add_co_ci_u32_e64 v18, null, 0, 0, s1
	v_add_co_u32 v19, s1, s10, v21
	v_add_co_ci_u32_e32 v12, vcc_lo, s11, v15, vcc_lo
	v_add_co_u32 v14, vcc_lo, s12, v14
	v_add_co_ci_u32_e64 v20, null, s11, 0, s1
	v_add_co_u32 v21, s1, s12, v21
	v_add_co_ci_u32_e32 v15, vcc_lo, s13, v15, vcc_lo
	v_add_co_ci_u32_e64 v16, null, 0, 0, s2
	v_add_co_ci_u32_e64 v22, null, s13, 0, s1
	s_lshl_b32 s12, s0, 2
	s_lshl_b32 s13, s0, 4
	s_mov_b64 s[10:11], 0
	s_branch .LBB26_9
.LBB26_8:                               ;   in Loop: Header=BB26_9 Depth=1
	s_or_b32 exec_lo, exec_lo, s0
	v_add_co_u32 v1, vcc_lo, v1, s13
	v_add_co_ci_u32_e32 v2, vcc_lo, 0, v2, vcc_lo
	v_add_co_u32 v3, vcc_lo, v3, s13
	v_add_co_ci_u32_e32 v4, vcc_lo, 0, v4, vcc_lo
	;; [unrolled: 2-line block ×5, first 2 shown]
	s_add_u32 s10, s10, s12
	v_add_co_u32 v14, vcc_lo, v14, s13
	s_addc_u32 s11, s11, 0
	v_add_co_ci_u32_e32 v15, vcc_lo, 0, v15, vcc_lo
	v_cmp_ge_i64_e64 s0, s[10:11], s[6:7]
	v_cmp_lt_u64_e64 s1, 0xffff, s[10:11]
	v_add_co_u32 v19, vcc_lo, v19, s13
	v_add_co_ci_u32_e32 v20, vcc_lo, 0, v20, vcc_lo
	v_add_co_u32 v21, vcc_lo, v21, s13
	v_add_co_ci_u32_e32 v22, vcc_lo, 0, v22, vcc_lo
	s_or_b32 s0, s0, s1
	s_delay_alu instid0(SALU_CYCLE_1)
	s_and_b32 vcc_lo, exec_lo, s0
	s_cbranch_vccnz .LBB26_25
.LBB26_9:                               ; =>This Inner Loop Header: Depth=1
	s_waitcnt vmcnt(1)
	v_add_co_u32 v23, s0, v0, s10
	s_waitcnt vmcnt(0)
	v_add_co_ci_u32_e64 v24, null, 0, s11, s0
	s_delay_alu instid0(VALU_DEP_1)
	v_cmp_gt_u64_e32 vcc_lo, s[8:9], v[23:24]
	v_dual_mov_b32 v23, 0 :: v_dual_mov_b32 v24, 0
	s_and_saveexec_b32 s1, vcc_lo
	s_cbranch_execz .LBB26_11
; %bb.10:                               ;   in Loop: Header=BB26_9 Depth=1
	v_add_co_u32 v23, s0, v1, s4
	s_delay_alu instid0(VALU_DEP_1) | instskip(SKIP_1) | instid1(VALU_DEP_1)
	v_add_co_ci_u32_e64 v24, s0, s5, v2, s0
	v_add_co_u32 v25, s0, v3, s4
	v_add_co_ci_u32_e64 v26, s0, s5, v4, s0
	global_load_b32 v23, v[23:24], off
	global_load_b32 v24, v[25:26], off
.LBB26_11:                              ;   in Loop: Header=BB26_9 Depth=1
	s_or_b32 exec_lo, exec_lo, s1
	v_add_co_u32 v26, s0, v13, s10
	s_delay_alu instid0(VALU_DEP_1) | instskip(SKIP_1) | instid1(VALU_DEP_2)
	v_add_co_ci_u32_e64 v27, s0, s11, v16, s0
	v_mov_b32_e32 v25, 0
	v_cmp_gt_u64_e64 s0, s[8:9], v[26:27]
	v_dual_mov_b32 v26, 0 :: v_dual_mov_b32 v27, 0
	s_delay_alu instid0(VALU_DEP_2)
	s_and_saveexec_b32 s2, s0
	s_cbranch_execz .LBB26_13
; %bb.12:                               ;   in Loop: Header=BB26_9 Depth=1
	v_add_co_u32 v26, s1, v19, s4
	s_delay_alu instid0(VALU_DEP_1) | instskip(SKIP_1) | instid1(VALU_DEP_1)
	v_add_co_ci_u32_e64 v27, s1, s5, v20, s1
	v_add_co_u32 v28, s1, v21, s4
	v_add_co_ci_u32_e64 v29, s1, s5, v22, s1
	global_load_b32 v26, v[26:27], off
	global_load_b32 v27, v[28:29], off
.LBB26_13:                              ;   in Loop: Header=BB26_9 Depth=1
	s_or_b32 exec_lo, exec_lo, s2
	v_add_co_u32 v28, s1, v17, s10
	s_delay_alu instid0(VALU_DEP_1) | instskip(NEXT) | instid1(VALU_DEP_1)
	v_add_co_ci_u32_e64 v29, s1, s11, v18, s1
	v_cmp_gt_u64_e64 s1, s[8:9], v[28:29]
	v_mov_b32_e32 v28, 0
	s_delay_alu instid0(VALU_DEP_2)
	s_and_saveexec_b32 s3, s1
	s_cbranch_execz .LBB26_15
; %bb.14:                               ;   in Loop: Header=BB26_9 Depth=1
	v_add_co_u32 v28, s2, v11, s4
	s_delay_alu instid0(VALU_DEP_1) | instskip(SKIP_1) | instid1(VALU_DEP_1)
	v_add_co_ci_u32_e64 v29, s2, s5, v12, s2
	v_add_co_u32 v30, s2, v14, s4
	v_add_co_ci_u32_e64 v31, s2, s5, v15, s2
	global_load_b32 v25, v[28:29], off
	global_load_b32 v28, v[30:31], off
.LBB26_15:                              ;   in Loop: Header=BB26_9 Depth=1
	s_or_b32 exec_lo, exec_lo, s3
	v_add_co_u32 v29, s2, v9, s10
	s_delay_alu instid0(VALU_DEP_1) | instskip(NEXT) | instid1(VALU_DEP_1)
	v_add_co_ci_u32_e64 v30, s2, s11, v10, s2
	v_cmp_gt_u64_e64 s2, s[8:9], v[29:30]
	v_dual_mov_b32 v29, 0 :: v_dual_mov_b32 v30, 0
	s_delay_alu instid0(VALU_DEP_2)
	s_and_saveexec_b32 s15, s2
	s_cbranch_execnz .LBB26_20
; %bb.16:                               ;   in Loop: Header=BB26_9 Depth=1
	s_or_b32 exec_lo, exec_lo, s15
	s_and_saveexec_b32 s3, vcc_lo
	s_cbranch_execnz .LBB26_21
.LBB26_17:                              ;   in Loop: Header=BB26_9 Depth=1
	s_or_b32 exec_lo, exec_lo, s3
	s_and_saveexec_b32 s3, s0
	s_cbranch_execnz .LBB26_22
.LBB26_18:                              ;   in Loop: Header=BB26_9 Depth=1
	s_or_b32 exec_lo, exec_lo, s3
	s_and_saveexec_b32 s0, s1
	s_cbranch_execnz .LBB26_23
.LBB26_19:                              ;   in Loop: Header=BB26_9 Depth=1
	s_or_b32 exec_lo, exec_lo, s0
	s_and_saveexec_b32 s0, s2
	s_cbranch_execz .LBB26_8
	s_branch .LBB26_24
.LBB26_20:                              ;   in Loop: Header=BB26_9 Depth=1
	v_add_co_u32 v29, s3, v5, s4
	s_delay_alu instid0(VALU_DEP_1) | instskip(SKIP_1) | instid1(VALU_DEP_1)
	v_add_co_ci_u32_e64 v30, s3, s5, v6, s3
	v_add_co_u32 v31, s3, v7, s4
	v_add_co_ci_u32_e64 v32, s3, s5, v8, s3
	global_load_b32 v29, v[29:30], off
	global_load_b32 v30, v[31:32], off
	s_or_b32 exec_lo, exec_lo, s15
	s_and_saveexec_b32 s3, vcc_lo
	s_cbranch_execz .LBB26_17
.LBB26_21:                              ;   in Loop: Header=BB26_9 Depth=1
	s_waitcnt vmcnt(0)
	v_mul_lo_u32 v24, v24, s14
	v_add_co_u32 v31, vcc_lo, v1, s4
	v_add_co_ci_u32_e32 v32, vcc_lo, s5, v2, vcc_lo
	s_delay_alu instid0(VALU_DEP_3)
	v_sub_nc_u32_e32 v23, v23, v24
	global_store_b32 v[31:32], v23, off
	s_or_b32 exec_lo, exec_lo, s3
	s_and_saveexec_b32 s3, s0
	s_cbranch_execz .LBB26_18
.LBB26_22:                              ;   in Loop: Header=BB26_9 Depth=1
	s_waitcnt vmcnt(0)
	v_mul_lo_u32 v23, v27, s14
	s_delay_alu instid0(VALU_DEP_1)
	v_sub_nc_u32_e32 v26, v26, v23
	v_add_co_u32 v23, vcc_lo, v19, s4
	v_add_co_ci_u32_e32 v24, vcc_lo, s5, v20, vcc_lo
	global_store_b32 v[23:24], v26, off
	s_or_b32 exec_lo, exec_lo, s3
	s_and_saveexec_b32 s0, s1
	s_cbranch_execz .LBB26_19
.LBB26_23:                              ;   in Loop: Header=BB26_9 Depth=1
	s_waitcnt vmcnt(0)
	v_mul_lo_u32 v23, v28, s14
	s_delay_alu instid0(VALU_DEP_1)
	v_sub_nc_u32_e32 v25, v25, v23
	v_add_co_u32 v23, vcc_lo, v11, s4
	v_add_co_ci_u32_e32 v24, vcc_lo, s5, v12, vcc_lo
	global_store_b32 v[23:24], v25, off
	s_or_b32 exec_lo, exec_lo, s0
	s_and_saveexec_b32 s0, s2
	s_cbranch_execz .LBB26_8
.LBB26_24:                              ;   in Loop: Header=BB26_9 Depth=1
	s_waitcnt vmcnt(0)
	v_mul_lo_u32 v23, v30, s14
	s_delay_alu instid0(VALU_DEP_1)
	v_sub_nc_u32_e32 v25, v29, v23
	v_add_co_u32 v23, vcc_lo, v5, s4
	v_add_co_ci_u32_e32 v24, vcc_lo, s5, v6, vcc_lo
	global_store_b32 v[23:24], v25, off
	s_branch .LBB26_8
.LBB26_25:
	s_nop 0
	s_sendmsg sendmsg(MSG_DEALLOC_VGPRS)
	s_endpgm
	.section	.rodata,"a",@progbits
	.p2align	6, 0x0
	.amdhsa_kernel _ZN2at6native12_GLOBAL__N_125multi_tensor_apply_kernelINS1_18TensorListMetadataILi2EEENS1_24BinaryOpListAlphaFunctorIiLi2ELi2ELi0EEEJSt5minusIiEiEEEvT_T0_DpT1_
		.amdhsa_group_segment_fixed_size 0
		.amdhsa_private_segment_fixed_size 0
		.amdhsa_kernarg_size 3408
		.amdhsa_user_sgpr_count 15
		.amdhsa_user_sgpr_dispatch_ptr 0
		.amdhsa_user_sgpr_queue_ptr 0
		.amdhsa_user_sgpr_kernarg_segment_ptr 1
		.amdhsa_user_sgpr_dispatch_id 0
		.amdhsa_user_sgpr_private_segment_size 0
		.amdhsa_wavefront_size32 1
		.amdhsa_uses_dynamic_stack 0
		.amdhsa_enable_private_segment 0
		.amdhsa_system_sgpr_workgroup_id_x 1
		.amdhsa_system_sgpr_workgroup_id_y 0
		.amdhsa_system_sgpr_workgroup_id_z 0
		.amdhsa_system_sgpr_workgroup_info 0
		.amdhsa_system_vgpr_workitem_id 0
		.amdhsa_next_free_vgpr 33
		.amdhsa_next_free_sgpr 24
		.amdhsa_reserve_vcc 1
		.amdhsa_float_round_mode_32 0
		.amdhsa_float_round_mode_16_64 0
		.amdhsa_float_denorm_mode_32 3
		.amdhsa_float_denorm_mode_16_64 3
		.amdhsa_dx10_clamp 1
		.amdhsa_ieee_mode 1
		.amdhsa_fp16_overflow 0
		.amdhsa_workgroup_processor_mode 1
		.amdhsa_memory_ordered 1
		.amdhsa_forward_progress 0
		.amdhsa_shared_vgpr_count 0
		.amdhsa_exception_fp_ieee_invalid_op 0
		.amdhsa_exception_fp_denorm_src 0
		.amdhsa_exception_fp_ieee_div_zero 0
		.amdhsa_exception_fp_ieee_overflow 0
		.amdhsa_exception_fp_ieee_underflow 0
		.amdhsa_exception_fp_ieee_inexact 0
		.amdhsa_exception_int_div_zero 0
	.end_amdhsa_kernel
	.section	.text._ZN2at6native12_GLOBAL__N_125multi_tensor_apply_kernelINS1_18TensorListMetadataILi2EEENS1_24BinaryOpListAlphaFunctorIiLi2ELi2ELi0EEEJSt5minusIiEiEEEvT_T0_DpT1_,"axG",@progbits,_ZN2at6native12_GLOBAL__N_125multi_tensor_apply_kernelINS1_18TensorListMetadataILi2EEENS1_24BinaryOpListAlphaFunctorIiLi2ELi2ELi0EEEJSt5minusIiEiEEEvT_T0_DpT1_,comdat
.Lfunc_end26:
	.size	_ZN2at6native12_GLOBAL__N_125multi_tensor_apply_kernelINS1_18TensorListMetadataILi2EEENS1_24BinaryOpListAlphaFunctorIiLi2ELi2ELi0EEEJSt5minusIiEiEEEvT_T0_DpT1_, .Lfunc_end26-_ZN2at6native12_GLOBAL__N_125multi_tensor_apply_kernelINS1_18TensorListMetadataILi2EEENS1_24BinaryOpListAlphaFunctorIiLi2ELi2ELi0EEEJSt5minusIiEiEEEvT_T0_DpT1_
                                        ; -- End function
	.section	.AMDGPU.csdata,"",@progbits
; Kernel info:
; codeLenInByte = 1624
; NumSgprs: 26
; NumVgprs: 33
; ScratchSize: 0
; MemoryBound: 0
; FloatMode: 240
; IeeeMode: 1
; LDSByteSize: 0 bytes/workgroup (compile time only)
; SGPRBlocks: 3
; VGPRBlocks: 4
; NumSGPRsForWavesPerEU: 26
; NumVGPRsForWavesPerEU: 33
; Occupancy: 16
; WaveLimiterHint : 0
; COMPUTE_PGM_RSRC2:SCRATCH_EN: 0
; COMPUTE_PGM_RSRC2:USER_SGPR: 15
; COMPUTE_PGM_RSRC2:TRAP_HANDLER: 0
; COMPUTE_PGM_RSRC2:TGID_X_EN: 1
; COMPUTE_PGM_RSRC2:TGID_Y_EN: 0
; COMPUTE_PGM_RSRC2:TGID_Z_EN: 0
; COMPUTE_PGM_RSRC2:TIDIG_COMP_CNT: 0
	.section	.text._ZN2at6native12_GLOBAL__N_125multi_tensor_apply_kernelINS1_18TensorListMetadataILi2EEENS1_24BinaryOpListAlphaFunctorIlLi2ELi2ELi0EEEJSt5minusIlElEEEvT_T0_DpT1_,"axG",@progbits,_ZN2at6native12_GLOBAL__N_125multi_tensor_apply_kernelINS1_18TensorListMetadataILi2EEENS1_24BinaryOpListAlphaFunctorIlLi2ELi2ELi0EEEJSt5minusIlElEEEvT_T0_DpT1_,comdat
	.globl	_ZN2at6native12_GLOBAL__N_125multi_tensor_apply_kernelINS1_18TensorListMetadataILi2EEENS1_24BinaryOpListAlphaFunctorIlLi2ELi2ELi0EEEJSt5minusIlElEEEvT_T0_DpT1_ ; -- Begin function _ZN2at6native12_GLOBAL__N_125multi_tensor_apply_kernelINS1_18TensorListMetadataILi2EEENS1_24BinaryOpListAlphaFunctorIlLi2ELi2ELi0EEEJSt5minusIlElEEEvT_T0_DpT1_
	.p2align	8
	.type	_ZN2at6native12_GLOBAL__N_125multi_tensor_apply_kernelINS1_18TensorListMetadataILi2EEENS1_24BinaryOpListAlphaFunctorIlLi2ELi2ELi0EEEJSt5minusIlElEEEvT_T0_DpT1_,@function
_ZN2at6native12_GLOBAL__N_125multi_tensor_apply_kernelINS1_18TensorListMetadataILi2EEENS1_24BinaryOpListAlphaFunctorIlLi2ELi2ELi0EEEJSt5minusIlElEEEvT_T0_DpT1_: ; @_ZN2at6native12_GLOBAL__N_125multi_tensor_apply_kernelINS1_18TensorListMetadataILi2EEENS1_24BinaryOpListAlphaFunctorIlLi2ELi2ELi0EEEJSt5minusIlElEEEvT_T0_DpT1_
; %bb.0:
	v_mov_b32_e32 v1, s15
	s_add_u32 s2, s0, s15
	s_mul_hi_u32 s3, s15, 3
	s_mul_i32 s15, s15, 3
	s_addc_u32 s4, s1, 0
	global_load_u8 v1, v1, s[0:1] offset:1536
	s_add_u32 s2, s2, s15
	s_addc_u32 s3, s4, s3
	s_mov_b32 s21, 0
	s_load_b32 s2, s[2:3], 0x740
	s_mov_b32 s23, s21
	s_mov_b32 s25, s21
	s_waitcnt vmcnt(0)
	v_readfirstlane_b32 s3, v1
	s_delay_alu instid0(VALU_DEP_1)
	s_lshl_b32 s3, s3, 3
	s_clause 0x3
	s_load_b64 s[12:13], s[0:1], s3 offset:0x0
	s_load_b64 s[14:15], s[0:1], s3 offset:0x200
	;; [unrolled: 1-line block ×3, first 2 shown]
	s_load_b64 s[6:7], s[0:1], 0xc50
	s_waitcnt lgkmcnt(0)
	s_ashr_i32 s3, s2, 31
	s_delay_alu instid0(SALU_CYCLE_1) | instskip(NEXT) | instid1(SALU_CYCLE_1)
	s_lshl_b64 s[8:9], s[2:3], 19
	s_add_u32 s5, s12, s8
	s_addc_u32 s16, s13, s9
	s_and_b32 s20, s5, 31
	s_add_u32 s17, s14, s8
	s_addc_u32 s18, s15, s9
	s_and_b32 s22, s10, 3
	s_and_b32 s24, s17, 31
	s_or_b64 s[20:21], s[20:21], s[22:23]
	s_lshl_b64 s[2:3], s[2:3], 16
	s_or_b64 s[20:21], s[24:25], s[20:21]
	s_sub_u32 s10, s10, s2
	s_subb_u32 s11, s11, s3
	s_cmp_eq_u64 s[20:21], 0
	s_mov_b32 s2, -1
	s_cbranch_scc0 .LBB27_5
; %bb.1:
	v_dual_mov_b32 v2, 0 :: v_dual_lshlrev_b32 v1, 2, v0
	s_mov_b32 s19, exec_lo
	s_delay_alu instid0(VALU_DEP_1)
	v_cmpx_gt_i64_e64 s[10:11], v[1:2]
	s_cbranch_execz .LBB27_4
; %bb.2:
	s_load_b32 s2, s[0:1], 0xc64
	v_lshlrev_b32_e32 v3, 5, v0
	s_mov_b32 s20, 0
	s_waitcnt lgkmcnt(0)
	s_and_b32 s2, s2, 0xffff
	s_delay_alu instid0(SALU_CYCLE_1)
	v_add_lshl_u32 v1, v0, s2, 2
	s_lshl_b32 s21, s2, 2
	s_lshl_b32 s22, s2, 5
.LBB27_3:                               ; =>This Inner Loop Header: Depth=1
	v_add_co_u32 v8, s2, s17, v3
	s_delay_alu instid0(VALU_DEP_1) | instskip(SKIP_1) | instid1(VALU_DEP_1)
	v_add_co_ci_u32_e64 v9, null, s18, 0, s2
	v_add_co_u32 v20, s2, s5, v3
	v_add_co_ci_u32_e64 v21, null, s16, 0, s2
	s_clause 0x1
	global_load_b128 v[4:7], v[8:9], off
	global_load_b128 v[8:11], v[8:9], off offset:16
	s_clause 0x1
	global_load_b128 v[12:15], v[20:21], off
	global_load_b128 v[16:19], v[20:21], off offset:16
	v_cmp_le_i64_e32 vcc_lo, s[10:11], v[1:2]
	v_cmp_lt_u64_e64 s2, 0xffff, v[1:2]
	v_add_co_u32 v1, s3, v1, s21
	s_delay_alu instid0(VALU_DEP_1) | instskip(NEXT) | instid1(VALU_DEP_3)
	v_add_co_ci_u32_e64 v2, s3, 0, v2, s3
	s_or_b32 s23, vcc_lo, s2
	s_add_u32 s5, s5, s22
	s_addc_u32 s16, s16, 0
	s_add_u32 s17, s17, s22
	s_addc_u32 s18, s18, 0
	s_waitcnt vmcnt(3)
	v_mul_lo_u32 v28, v5, s6
	v_mul_lo_u32 v29, v4, s7
	v_mad_u64_u32 v[22:23], null, v4, s6, 0
	v_mul_lo_u32 v7, v7, s6
	v_mul_lo_u32 v30, v6, s7
	v_mad_u64_u32 v[4:5], null, v6, s6, 0
	s_waitcnt vmcnt(2)
	v_mul_lo_u32 v9, v9, s6
	v_mul_lo_u32 v31, v8, s7
	v_mad_u64_u32 v[24:25], null, v8, s6, 0
	v_mul_lo_u32 v11, v11, s6
	v_mul_lo_u32 v32, v10, s7
	v_mad_u64_u32 v[26:27], null, v10, s6, 0
	v_add3_u32 v23, v23, v29, v28
	v_add3_u32 v7, v5, v30, v7
	;; [unrolled: 1-line block ×3, first 2 shown]
	s_waitcnt vmcnt(1)
	v_sub_co_u32 v6, vcc_lo, v14, v4
	v_sub_co_u32 v4, s4, v12, v22
	v_add3_u32 v11, v27, v32, v11
	s_waitcnt vmcnt(0)
	v_sub_co_u32 v8, s2, v16, v24
	v_sub_co_u32 v10, s3, v18, v26
	v_sub_co_ci_u32_e64 v5, s4, v13, v23, s4
	v_sub_co_ci_u32_e32 v7, vcc_lo, v15, v7, vcc_lo
	v_sub_co_ci_u32_e64 v9, vcc_lo, v17, v9, s2
	v_sub_co_ci_u32_e64 v11, vcc_lo, v19, v11, s3
	s_and_b32 s2, exec_lo, s23
	s_clause 0x1
	global_store_b128 v[20:21], v[4:7], off
	global_store_b128 v[20:21], v[8:11], off offset:16
	s_or_b32 s20, s2, s20
	s_delay_alu instid0(SALU_CYCLE_1)
	s_and_not1_b32 exec_lo, exec_lo, s20
	s_cbranch_execnz .LBB27_3
.LBB27_4:
	s_or_b32 exec_lo, exec_lo, s19
	s_mov_b32 s2, 0
.LBB27_5:
	s_delay_alu instid0(SALU_CYCLE_1)
	s_and_not1_b32 vcc_lo, exec_lo, s2
	s_cbranch_vccnz .LBB27_25
; %bb.6:
	v_cmp_lt_i64_e64 s2, s[10:11], 1
	s_delay_alu instid0(VALU_DEP_1)
	s_and_b32 vcc_lo, exec_lo, s2
	s_cbranch_vccnz .LBB27_25
; %bb.7:
	s_load_b32 s0, s[0:1], 0xc64
	v_dual_mov_b32 v2, 0 :: v_dual_lshlrev_b32 v1, 3, v0
	v_cmp_gt_u64_e64 s1, 0x10000, s[10:11]
	s_delay_alu instid0(VALU_DEP_2) | instskip(NEXT) | instid1(VALU_DEP_1)
	v_add_co_u32 v17, s2, s12, v1
	v_add_co_ci_u32_e64 v18, null, s13, 0, s2
	v_add_co_u32 v19, s2, s14, v1
	s_delay_alu instid0(VALU_DEP_1)
	v_add_co_ci_u32_e64 v20, null, s15, 0, s2
	s_waitcnt lgkmcnt(0)
	s_and_b32 s0, s0, 0xffff
	s_and_b32 s1, s1, exec_lo
	v_mad_u64_u32 v[3:4], null, s0, 24, v[1:2]
	s_cselect_b32 s5, s11, 0
	s_cselect_b32 s4, s10, 0x10000
	s_lshl_b32 s3, s0, 4
	s_mul_i32 s2, s0, 3
	v_add_co_u32 v1, s3, s3, v1
	s_delay_alu instid0(VALU_DEP_2) | instskip(NEXT) | instid1(VALU_DEP_3)
	v_add_co_u32 v21, vcc_lo, s12, v3
	v_add_co_ci_u32_e32 v22, vcc_lo, s13, v4, vcc_lo
	v_add_co_u32 v25, s2, s2, v0
	v_add_co_u32 v23, vcc_lo, s14, v3
	v_add_co_ci_u32_e64 v2, null, 0, 0, s3
	v_add_co_ci_u32_e64 v26, null, 0, 0, s2
	v_add_co_u32 v29, s2, v0, s0
	v_add_co_ci_u32_e32 v24, vcc_lo, s15, v4, vcc_lo
	v_add_co_u32 v27, vcc_lo, s12, v1
	v_add_co_ci_u32_e32 v28, vcc_lo, s13, v2, vcc_lo
	v_add_co_u32 v30, vcc_lo, s14, v1
	v_lshlrev_b32_e32 v1, 3, v29
	s_lshl_b32 s1, s0, 1
	v_add_co_ci_u32_e32 v31, vcc_lo, s15, v2, vcc_lo
	v_add_co_u32 v33, s1, s1, v0
	s_delay_alu instid0(VALU_DEP_1) | instskip(SKIP_1) | instid1(VALU_DEP_1)
	v_add_co_ci_u32_e64 v34, null, 0, 0, s1
	v_add_co_u32 v35, s1, s12, v1
	v_add_co_ci_u32_e64 v36, null, s13, 0, s1
	v_add_co_u32 v37, s1, s14, v1
	v_add_co_ci_u32_e64 v32, null, 0, 0, s2
	v_add_co_ci_u32_e64 v38, null, s15, 0, s1
	s_lshl_b32 s14, s0, 2
	s_lshl_b32 s15, s0, 5
	s_mov_b64 s[12:13], 0
	s_branch .LBB27_9
.LBB27_8:                               ;   in Loop: Header=BB27_9 Depth=1
	s_or_b32 exec_lo, exec_lo, s0
	v_add_co_u32 v17, vcc_lo, v17, s15
	v_add_co_ci_u32_e32 v18, vcc_lo, 0, v18, vcc_lo
	v_add_co_u32 v19, vcc_lo, v19, s15
	v_add_co_ci_u32_e32 v20, vcc_lo, 0, v20, vcc_lo
	;; [unrolled: 2-line block ×5, first 2 shown]
	s_add_u32 s12, s12, s14
	v_add_co_u32 v30, vcc_lo, v30, s15
	s_addc_u32 s13, s13, 0
	v_add_co_ci_u32_e32 v31, vcc_lo, 0, v31, vcc_lo
	v_cmp_ge_i64_e64 s0, s[12:13], s[10:11]
	v_cmp_lt_u64_e64 s1, 0xffff, s[12:13]
	v_add_co_u32 v35, vcc_lo, v35, s15
	v_add_co_ci_u32_e32 v36, vcc_lo, 0, v36, vcc_lo
	v_add_co_u32 v37, vcc_lo, v37, s15
	v_add_co_ci_u32_e32 v38, vcc_lo, 0, v38, vcc_lo
	s_or_b32 s0, s0, s1
	s_delay_alu instid0(SALU_CYCLE_1)
	s_and_b32 vcc_lo, exec_lo, s0
	s_cbranch_vccnz .LBB27_25
.LBB27_9:                               ; =>This Inner Loop Header: Depth=1
	s_waitcnt vmcnt(1)
	v_add_co_u32 v3, s0, v0, s12
	s_delay_alu instid0(VALU_DEP_1) | instskip(SKIP_2) | instid1(VALU_DEP_3)
	v_add_co_ci_u32_e64 v4, null, 0, s13, s0
	v_mov_b32_e32 v1, 0
	v_mov_b32_e32 v2, 0
	v_cmp_gt_u64_e32 vcc_lo, s[4:5], v[3:4]
	s_delay_alu instid0(VALU_DEP_2)
	v_dual_mov_b32 v6, v2 :: v_dual_mov_b32 v5, v1
	s_waitcnt vmcnt(0)
	v_dual_mov_b32 v8, v2 :: v_dual_mov_b32 v7, v1
	s_and_saveexec_b32 s1, vcc_lo
	s_cbranch_execz .LBB27_11
; %bb.10:                               ;   in Loop: Header=BB27_9 Depth=1
	v_add_co_u32 v3, s0, v17, s8
	s_delay_alu instid0(VALU_DEP_1) | instskip(SKIP_1) | instid1(VALU_DEP_1)
	v_add_co_ci_u32_e64 v4, s0, s9, v18, s0
	v_add_co_u32 v7, s0, v19, s8
	v_add_co_ci_u32_e64 v8, s0, s9, v20, s0
	global_load_b64 v[5:6], v[3:4], off
	global_load_b64 v[7:8], v[7:8], off
.LBB27_11:                              ;   in Loop: Header=BB27_9 Depth=1
	s_or_b32 exec_lo, exec_lo, s1
	v_add_co_u32 v3, s0, v29, s12
	s_delay_alu instid0(VALU_DEP_1) | instskip(SKIP_1) | instid1(VALU_DEP_2)
	v_add_co_ci_u32_e64 v4, s0, s13, v32, s0
	v_dual_mov_b32 v10, v2 :: v_dual_mov_b32 v9, v1
	v_cmp_gt_u64_e64 s0, s[4:5], v[3:4]
	s_delay_alu instid0(VALU_DEP_1)
	s_and_saveexec_b32 s2, s0
	s_cbranch_execz .LBB27_13
; %bb.12:                               ;   in Loop: Header=BB27_9 Depth=1
	v_add_co_u32 v1, s1, v35, s8
	s_delay_alu instid0(VALU_DEP_1) | instskip(SKIP_1) | instid1(VALU_DEP_1)
	v_add_co_ci_u32_e64 v2, s1, s9, v36, s1
	v_add_co_u32 v3, s1, v37, s8
	v_add_co_ci_u32_e64 v4, s1, s9, v38, s1
	global_load_b64 v[1:2], v[1:2], off
	global_load_b64 v[9:10], v[3:4], off
.LBB27_13:                              ;   in Loop: Header=BB27_9 Depth=1
	s_or_b32 exec_lo, exec_lo, s2
	v_add_co_u32 v11, s1, v33, s12
	s_delay_alu instid0(VALU_DEP_1) | instskip(SKIP_2) | instid1(VALU_DEP_3)
	v_add_co_ci_u32_e64 v12, s1, s13, v34, s1
	v_mov_b32_e32 v3, 0
	v_mov_b32_e32 v4, 0
	v_cmp_gt_u64_e64 s1, s[4:5], v[11:12]
	s_delay_alu instid0(VALU_DEP_2) | instskip(SKIP_1) | instid1(VALU_DEP_3)
	v_dual_mov_b32 v12, v4 :: v_dual_mov_b32 v11, v3
	v_dual_mov_b32 v14, v4 :: v_dual_mov_b32 v13, v3
	s_and_saveexec_b32 s3, s1
	s_cbranch_execz .LBB27_15
; %bb.14:                               ;   in Loop: Header=BB27_9 Depth=1
	v_add_co_u32 v11, s2, v27, s8
	s_delay_alu instid0(VALU_DEP_1) | instskip(SKIP_1) | instid1(VALU_DEP_1)
	v_add_co_ci_u32_e64 v12, s2, s9, v28, s2
	v_add_co_u32 v13, s2, v30, s8
	v_add_co_ci_u32_e64 v14, s2, s9, v31, s2
	global_load_b64 v[11:12], v[11:12], off
	global_load_b64 v[13:14], v[13:14], off
.LBB27_15:                              ;   in Loop: Header=BB27_9 Depth=1
	s_or_b32 exec_lo, exec_lo, s3
	v_add_co_u32 v15, s2, v25, s12
	s_delay_alu instid0(VALU_DEP_1) | instskip(NEXT) | instid1(VALU_DEP_1)
	v_add_co_ci_u32_e64 v16, s2, s13, v26, s2
	v_cmp_gt_u64_e64 s2, s[4:5], v[15:16]
	v_dual_mov_b32 v16, v4 :: v_dual_mov_b32 v15, v3
	s_delay_alu instid0(VALU_DEP_2)
	s_and_saveexec_b32 s16, s2
	s_cbranch_execnz .LBB27_20
; %bb.16:                               ;   in Loop: Header=BB27_9 Depth=1
	s_or_b32 exec_lo, exec_lo, s16
	s_and_saveexec_b32 s3, vcc_lo
	s_cbranch_execnz .LBB27_21
.LBB27_17:                              ;   in Loop: Header=BB27_9 Depth=1
	s_or_b32 exec_lo, exec_lo, s3
	s_and_saveexec_b32 s3, s0
	s_cbranch_execnz .LBB27_22
.LBB27_18:                              ;   in Loop: Header=BB27_9 Depth=1
	s_or_b32 exec_lo, exec_lo, s3
	s_and_saveexec_b32 s0, s1
	s_cbranch_execnz .LBB27_23
.LBB27_19:                              ;   in Loop: Header=BB27_9 Depth=1
	s_or_b32 exec_lo, exec_lo, s0
	s_and_saveexec_b32 s0, s2
	s_cbranch_execz .LBB27_8
	s_branch .LBB27_24
.LBB27_20:                              ;   in Loop: Header=BB27_9 Depth=1
	v_add_co_u32 v3, s3, v21, s8
	s_delay_alu instid0(VALU_DEP_1) | instskip(SKIP_1) | instid1(VALU_DEP_1)
	v_add_co_ci_u32_e64 v4, s3, s9, v22, s3
	v_add_co_u32 v15, s3, v23, s8
	v_add_co_ci_u32_e64 v16, s3, s9, v24, s3
	global_load_b64 v[3:4], v[3:4], off
	global_load_b64 v[15:16], v[15:16], off
	s_or_b32 exec_lo, exec_lo, s16
	s_and_saveexec_b32 s3, vcc_lo
	s_cbranch_execz .LBB27_17
.LBB27_21:                              ;   in Loop: Header=BB27_9 Depth=1
	s_waitcnt vmcnt(0)
	v_mul_lo_u32 v8, v8, s6
	v_mul_lo_u32 v41, v7, s7
	v_mad_u64_u32 v[39:40], null, v7, s6, 0
	s_delay_alu instid0(VALU_DEP_1) | instskip(NEXT) | instid1(VALU_DEP_2)
	v_add3_u32 v7, v40, v41, v8
	v_sub_co_u32 v5, vcc_lo, v5, v39
	s_delay_alu instid0(VALU_DEP_2)
	v_sub_co_ci_u32_e32 v6, vcc_lo, v6, v7, vcc_lo
	v_add_co_u32 v7, vcc_lo, v17, s8
	v_add_co_ci_u32_e32 v8, vcc_lo, s9, v18, vcc_lo
	global_store_b64 v[7:8], v[5:6], off
	s_or_b32 exec_lo, exec_lo, s3
	s_and_saveexec_b32 s3, s0
	s_cbranch_execz .LBB27_18
.LBB27_22:                              ;   in Loop: Header=BB27_9 Depth=1
	s_waitcnt vmcnt(0)
	v_mul_lo_u32 v7, v10, s6
	v_mul_lo_u32 v8, v9, s7
	v_mad_u64_u32 v[5:6], null, v9, s6, 0
	s_delay_alu instid0(VALU_DEP_1) | instskip(NEXT) | instid1(VALU_DEP_2)
	v_add3_u32 v6, v6, v8, v7
	v_sub_co_u32 v1, vcc_lo, v1, v5
	s_delay_alu instid0(VALU_DEP_2)
	v_sub_co_ci_u32_e32 v2, vcc_lo, v2, v6, vcc_lo
	v_add_co_u32 v5, vcc_lo, v35, s8
	v_add_co_ci_u32_e32 v6, vcc_lo, s9, v36, vcc_lo
	global_store_b64 v[5:6], v[1:2], off
	s_or_b32 exec_lo, exec_lo, s3
	s_and_saveexec_b32 s0, s1
	s_cbranch_execz .LBB27_19
.LBB27_23:                              ;   in Loop: Header=BB27_9 Depth=1
	s_waitcnt vmcnt(0)
	v_mul_lo_u32 v5, v14, s6
	v_mul_lo_u32 v6, v13, s7
	v_mad_u64_u32 v[1:2], null, v13, s6, 0
	s_delay_alu instid0(VALU_DEP_1) | instskip(NEXT) | instid1(VALU_DEP_2)
	v_add3_u32 v2, v2, v6, v5
	v_sub_co_u32 v1, vcc_lo, v11, v1
	s_delay_alu instid0(VALU_DEP_2)
	v_sub_co_ci_u32_e32 v2, vcc_lo, v12, v2, vcc_lo
	v_add_co_u32 v5, vcc_lo, v27, s8
	v_add_co_ci_u32_e32 v6, vcc_lo, s9, v28, vcc_lo
	global_store_b64 v[5:6], v[1:2], off
	s_or_b32 exec_lo, exec_lo, s0
	s_and_saveexec_b32 s0, s2
	s_cbranch_execz .LBB27_8
.LBB27_24:                              ;   in Loop: Header=BB27_9 Depth=1
	s_waitcnt vmcnt(0)
	v_mul_lo_u32 v5, v16, s6
	v_mul_lo_u32 v6, v15, s7
	v_mad_u64_u32 v[1:2], null, v15, s6, 0
	s_delay_alu instid0(VALU_DEP_1) | instskip(NEXT) | instid1(VALU_DEP_2)
	v_add3_u32 v2, v2, v6, v5
	v_sub_co_u32 v1, vcc_lo, v3, v1
	s_delay_alu instid0(VALU_DEP_2)
	v_sub_co_ci_u32_e32 v2, vcc_lo, v4, v2, vcc_lo
	v_add_co_u32 v3, vcc_lo, v21, s8
	v_add_co_ci_u32_e32 v4, vcc_lo, s9, v22, vcc_lo
	global_store_b64 v[3:4], v[1:2], off
	s_branch .LBB27_8
.LBB27_25:
	s_nop 0
	s_sendmsg sendmsg(MSG_DEALLOC_VGPRS)
	s_endpgm
	.section	.rodata,"a",@progbits
	.p2align	6, 0x0
	.amdhsa_kernel _ZN2at6native12_GLOBAL__N_125multi_tensor_apply_kernelINS1_18TensorListMetadataILi2EEENS1_24BinaryOpListAlphaFunctorIlLi2ELi2ELi0EEEJSt5minusIlElEEEvT_T0_DpT1_
		.amdhsa_group_segment_fixed_size 0
		.amdhsa_private_segment_fixed_size 0
		.amdhsa_kernarg_size 3416
		.amdhsa_user_sgpr_count 15
		.amdhsa_user_sgpr_dispatch_ptr 0
		.amdhsa_user_sgpr_queue_ptr 0
		.amdhsa_user_sgpr_kernarg_segment_ptr 1
		.amdhsa_user_sgpr_dispatch_id 0
		.amdhsa_user_sgpr_private_segment_size 0
		.amdhsa_wavefront_size32 1
		.amdhsa_uses_dynamic_stack 0
		.amdhsa_enable_private_segment 0
		.amdhsa_system_sgpr_workgroup_id_x 1
		.amdhsa_system_sgpr_workgroup_id_y 0
		.amdhsa_system_sgpr_workgroup_id_z 0
		.amdhsa_system_sgpr_workgroup_info 0
		.amdhsa_system_vgpr_workitem_id 0
		.amdhsa_next_free_vgpr 42
		.amdhsa_next_free_sgpr 26
		.amdhsa_reserve_vcc 1
		.amdhsa_float_round_mode_32 0
		.amdhsa_float_round_mode_16_64 0
		.amdhsa_float_denorm_mode_32 3
		.amdhsa_float_denorm_mode_16_64 3
		.amdhsa_dx10_clamp 1
		.amdhsa_ieee_mode 1
		.amdhsa_fp16_overflow 0
		.amdhsa_workgroup_processor_mode 1
		.amdhsa_memory_ordered 1
		.amdhsa_forward_progress 0
		.amdhsa_shared_vgpr_count 0
		.amdhsa_exception_fp_ieee_invalid_op 0
		.amdhsa_exception_fp_denorm_src 0
		.amdhsa_exception_fp_ieee_div_zero 0
		.amdhsa_exception_fp_ieee_overflow 0
		.amdhsa_exception_fp_ieee_underflow 0
		.amdhsa_exception_fp_ieee_inexact 0
		.amdhsa_exception_int_div_zero 0
	.end_amdhsa_kernel
	.section	.text._ZN2at6native12_GLOBAL__N_125multi_tensor_apply_kernelINS1_18TensorListMetadataILi2EEENS1_24BinaryOpListAlphaFunctorIlLi2ELi2ELi0EEEJSt5minusIlElEEEvT_T0_DpT1_,"axG",@progbits,_ZN2at6native12_GLOBAL__N_125multi_tensor_apply_kernelINS1_18TensorListMetadataILi2EEENS1_24BinaryOpListAlphaFunctorIlLi2ELi2ELi0EEEJSt5minusIlElEEEvT_T0_DpT1_,comdat
.Lfunc_end27:
	.size	_ZN2at6native12_GLOBAL__N_125multi_tensor_apply_kernelINS1_18TensorListMetadataILi2EEENS1_24BinaryOpListAlphaFunctorIlLi2ELi2ELi0EEEJSt5minusIlElEEEvT_T0_DpT1_, .Lfunc_end27-_ZN2at6native12_GLOBAL__N_125multi_tensor_apply_kernelINS1_18TensorListMetadataILi2EEENS1_24BinaryOpListAlphaFunctorIlLi2ELi2ELi0EEEJSt5minusIlElEEEvT_T0_DpT1_
                                        ; -- End function
	.section	.AMDGPU.csdata,"",@progbits
; Kernel info:
; codeLenInByte = 1976
; NumSgprs: 28
; NumVgprs: 42
; ScratchSize: 0
; MemoryBound: 0
; FloatMode: 240
; IeeeMode: 1
; LDSByteSize: 0 bytes/workgroup (compile time only)
; SGPRBlocks: 3
; VGPRBlocks: 5
; NumSGPRsForWavesPerEU: 28
; NumVGPRsForWavesPerEU: 42
; Occupancy: 16
; WaveLimiterHint : 0
; COMPUTE_PGM_RSRC2:SCRATCH_EN: 0
; COMPUTE_PGM_RSRC2:USER_SGPR: 15
; COMPUTE_PGM_RSRC2:TRAP_HANDLER: 0
; COMPUTE_PGM_RSRC2:TGID_X_EN: 1
; COMPUTE_PGM_RSRC2:TGID_Y_EN: 0
; COMPUTE_PGM_RSRC2:TGID_Z_EN: 0
; COMPUTE_PGM_RSRC2:TIDIG_COMP_CNT: 0
	.section	.text._ZN2at6native12_GLOBAL__N_125multi_tensor_apply_kernelINS1_18TensorListMetadataILi2EEENS1_24BinaryOpListAlphaFunctorIsLi2ELi2ELi0EEEJSt5minusIsEsEEEvT_T0_DpT1_,"axG",@progbits,_ZN2at6native12_GLOBAL__N_125multi_tensor_apply_kernelINS1_18TensorListMetadataILi2EEENS1_24BinaryOpListAlphaFunctorIsLi2ELi2ELi0EEEJSt5minusIsEsEEEvT_T0_DpT1_,comdat
	.globl	_ZN2at6native12_GLOBAL__N_125multi_tensor_apply_kernelINS1_18TensorListMetadataILi2EEENS1_24BinaryOpListAlphaFunctorIsLi2ELi2ELi0EEEJSt5minusIsEsEEEvT_T0_DpT1_ ; -- Begin function _ZN2at6native12_GLOBAL__N_125multi_tensor_apply_kernelINS1_18TensorListMetadataILi2EEENS1_24BinaryOpListAlphaFunctorIsLi2ELi2ELi0EEEJSt5minusIsEsEEEvT_T0_DpT1_
	.p2align	8
	.type	_ZN2at6native12_GLOBAL__N_125multi_tensor_apply_kernelINS1_18TensorListMetadataILi2EEENS1_24BinaryOpListAlphaFunctorIsLi2ELi2ELi0EEEJSt5minusIsEsEEEvT_T0_DpT1_,@function
_ZN2at6native12_GLOBAL__N_125multi_tensor_apply_kernelINS1_18TensorListMetadataILi2EEENS1_24BinaryOpListAlphaFunctorIsLi2ELi2ELi0EEEJSt5minusIsEsEEEvT_T0_DpT1_: ; @_ZN2at6native12_GLOBAL__N_125multi_tensor_apply_kernelINS1_18TensorListMetadataILi2EEENS1_24BinaryOpListAlphaFunctorIsLi2ELi2ELi0EEEJSt5minusIsEsEEEvT_T0_DpT1_
; %bb.0:
	v_mov_b32_e32 v1, s15
	s_mul_i32 s4, s15, 3
	s_mul_hi_u32 s3, s15, 3
	s_mov_b32 s9, 0
	s_load_b32 s2, s[0:1], 0xc48
	global_load_u8 v1, v1, s[0:1] offset:1536
	s_mov_b32 s19, s9
	s_mov_b32 s17, s9
	s_waitcnt lgkmcnt(0)
	s_lshr_b32 s14, s2, 16
	s_add_u32 s2, s0, s15
	s_addc_u32 s5, s1, 0
	s_add_u32 s2, s2, s4
	s_addc_u32 s3, s5, s3
	s_load_b32 s2, s[2:3], 0x740
	s_waitcnt vmcnt(0)
	v_readfirstlane_b32 s6, v1
	s_delay_alu instid0(VALU_DEP_1)
	s_lshl_b32 s3, s6, 3
	s_clause 0x2
	s_load_b64 s[10:11], s[0:1], s3 offset:0x0
	s_load_b64 s[12:13], s[0:1], s3 offset:0x200
	;; [unrolled: 1-line block ×3, first 2 shown]
	s_waitcnt lgkmcnt(0)
	s_ashr_i32 s3, s2, 31
	s_delay_alu instid0(SALU_CYCLE_1) | instskip(SKIP_4) | instid1(SALU_CYCLE_1)
	s_lshl_b64 s[4:5], s[2:3], 17
	s_lshl_b64 s[2:3], s[2:3], 16
	s_and_b32 s8, s10, 7
	s_and_b32 s16, s12, 7
	;; [unrolled: 1-line block ×3, first 2 shown]
	s_or_b64 s[8:9], s[8:9], s[18:19]
	s_delay_alu instid0(SALU_CYCLE_1)
	s_or_b64 s[8:9], s[16:17], s[8:9]
	s_sub_u32 s6, s6, s2
	s_subb_u32 s7, s7, s3
	s_cmp_eq_u64 s[8:9], 0
	s_mov_b32 s2, -1
	s_cbranch_scc0 .LBB28_5
; %bb.1:
	v_dual_mov_b32 v2, 0 :: v_dual_lshlrev_b32 v1, 2, v0
	s_mov_b32 s8, exec_lo
	s_delay_alu instid0(VALU_DEP_1)
	v_cmpx_gt_i64_e64 s[6:7], v[1:2]
	s_cbranch_execz .LBB28_4
; %bb.2:
	s_load_b32 s2, s[0:1], 0xc5c
	v_lshlrev_b32_e32 v1, 3, v0
	s_mov_b32 s9, 0
	s_delay_alu instid0(VALU_DEP_1) | instskip(NEXT) | instid1(VALU_DEP_1)
	v_add_co_u32 v3, s3, s4, v1
	v_add_co_ci_u32_e64 v4, null, s5, 0, s3
	s_waitcnt lgkmcnt(0)
	s_and_b32 s2, s2, 0xffff
	s_delay_alu instid0(SALU_CYCLE_1)
	v_add_lshl_u32 v1, v0, s2, 2
	s_lshl_b32 s15, s2, 3
	s_lshl_b32 s16, s2, 2
.LBB28_3:                               ; =>This Inner Loop Header: Depth=1
	v_add_co_u32 v5, vcc_lo, s12, v3
	v_add_co_ci_u32_e32 v6, vcc_lo, s13, v4, vcc_lo
	v_add_co_u32 v7, vcc_lo, s10, v3
	v_add_co_ci_u32_e32 v8, vcc_lo, s11, v4, vcc_lo
	v_cmp_le_i64_e32 vcc_lo, s[6:7], v[1:2]
	global_load_b64 v[5:6], v[5:6], off
	global_load_b64 v[9:10], v[7:8], off
	v_cmp_lt_u64_e64 s2, 0xffff, v[1:2]
	v_add_co_u32 v3, s3, v3, s15
	s_delay_alu instid0(VALU_DEP_1) | instskip(SKIP_1) | instid1(VALU_DEP_4)
	v_add_co_ci_u32_e64 v4, s3, 0, v4, s3
	v_add_co_u32 v1, s3, v1, s16
	s_or_b32 s2, vcc_lo, s2
	v_add_co_ci_u32_e64 v2, s3, 0, v2, s3
	s_and_b32 s2, exec_lo, s2
	s_delay_alu instid0(SALU_CYCLE_1)
	s_or_b32 s9, s2, s9
	s_waitcnt vmcnt(1)
	v_lshrrev_b32_e32 v11, 16, v5
	v_mul_lo_u16 v5, v5, s14
	s_waitcnt vmcnt(0)
	v_lshrrev_b32_e32 v12, 16, v9
	v_mul_lo_u16 v13, v6, s14
	v_lshrrev_b32_e32 v6, 16, v6
	v_mul_lo_u16 v11, v11, s14
	v_lshrrev_b32_e32 v14, 16, v10
	v_sub_nc_u16 v5, v9, v5
	v_sub_nc_u16 v10, v10, v13
	v_mul_lo_u16 v6, v6, s14
	v_sub_nc_u16 v9, v12, v11
	s_delay_alu instid0(VALU_DEP_4) | instskip(NEXT) | instid1(VALU_DEP_4)
	v_and_b32_e32 v5, 0xffff, v5
	v_and_b32_e32 v10, 0xffff, v10
	s_delay_alu instid0(VALU_DEP_4) | instskip(NEXT) | instid1(VALU_DEP_4)
	v_sub_nc_u16 v6, v14, v6
	v_lshlrev_b32_e32 v9, 16, v9
	s_delay_alu instid0(VALU_DEP_2) | instskip(NEXT) | instid1(VALU_DEP_2)
	v_lshlrev_b32_e32 v6, 16, v6
	v_or_b32_e32 v5, v9, v5
	s_delay_alu instid0(VALU_DEP_2) | instskip(NEXT) | instid1(VALU_DEP_2)
	v_or3_b32 v6, 0, v10, v6
	v_or3_b32 v5, v5, 0, 0
	global_store_b64 v[7:8], v[5:6], off
	s_and_not1_b32 exec_lo, exec_lo, s9
	s_cbranch_execnz .LBB28_3
.LBB28_4:
	s_or_b32 exec_lo, exec_lo, s8
	s_mov_b32 s2, 0
.LBB28_5:
	s_delay_alu instid0(SALU_CYCLE_1)
	s_and_not1_b32 vcc_lo, exec_lo, s2
	s_cbranch_vccnz .LBB28_25
; %bb.6:
	v_cmp_lt_i64_e64 s2, s[6:7], 1
	s_delay_alu instid0(VALU_DEP_1)
	s_and_b32 vcc_lo, exec_lo, s2
	s_cbranch_vccnz .LBB28_25
; %bb.7:
	s_load_b32 s0, s[0:1], 0xc5c
	v_dual_mov_b32 v2, 0 :: v_dual_lshlrev_b32 v1, 1, v0
	v_cmp_gt_u64_e64 s1, 0x10000, s[6:7]
	s_delay_alu instid0(VALU_DEP_2) | instskip(NEXT) | instid1(VALU_DEP_1)
	v_add_co_u32 v3, s2, s10, v1
	v_add_co_ci_u32_e64 v4, null, s11, 0, s2
	v_add_co_u32 v5, s2, s12, v1
	s_delay_alu instid0(VALU_DEP_1)
	v_add_co_ci_u32_e64 v6, null, s13, 0, s2
	s_waitcnt lgkmcnt(0)
	s_and_b32 s0, s0, 0xffff
	s_and_b32 s1, s1, exec_lo
	v_mad_u64_u32 v[9:10], null, s0, 6, v[1:2]
	s_cselect_b32 s9, s7, 0
	s_cselect_b32 s8, s6, 0x10000
	s_lshl_b32 s15, s0, 2
	s_mul_i32 s2, s0, 3
	v_add_co_u32 v1, s3, s15, v1
	s_delay_alu instid0(VALU_DEP_2) | instskip(NEXT) | instid1(VALU_DEP_3)
	v_add_co_u32 v7, vcc_lo, s10, v9
	v_add_co_ci_u32_e32 v8, vcc_lo, s11, v10, vcc_lo
	v_add_co_u32 v11, s2, s2, v0
	v_add_co_u32 v9, vcc_lo, s12, v9
	v_add_co_ci_u32_e64 v2, null, 0, 0, s3
	v_add_co_ci_u32_e64 v12, null, 0, 0, s2
	v_add_co_u32 v15, s2, v0, s0
	v_add_co_ci_u32_e32 v10, vcc_lo, s13, v10, vcc_lo
	v_add_co_u32 v13, vcc_lo, s10, v1
	v_add_co_ci_u32_e32 v14, vcc_lo, s11, v2, vcc_lo
	v_add_co_u32 v16, vcc_lo, s12, v1
	v_lshlrev_b32_e32 v1, 1, v15
	s_lshl_b32 s1, s0, 1
	v_add_co_ci_u32_e32 v17, vcc_lo, s13, v2, vcc_lo
	v_add_co_u32 v19, s1, s1, v0
	s_delay_alu instid0(VALU_DEP_1) | instskip(SKIP_1) | instid1(VALU_DEP_1)
	v_add_co_ci_u32_e64 v20, null, 0, 0, s1
	v_add_co_u32 v21, s1, s10, v1
	v_add_co_ci_u32_e64 v22, null, s11, 0, s1
	v_add_co_u32 v23, s1, s12, v1
	v_add_co_ci_u32_e64 v18, null, 0, 0, s2
	v_add_co_ci_u32_e64 v24, null, s13, 0, s1
	s_mov_b32 s12, 0
	s_lshl_b32 s13, s0, 3
	s_mov_b64 s[10:11], 0
	s_branch .LBB28_9
.LBB28_8:                               ;   in Loop: Header=BB28_9 Depth=1
	s_or_b32 exec_lo, exec_lo, s0
	v_add_co_u32 v3, vcc_lo, v3, s13
	v_add_co_ci_u32_e32 v4, vcc_lo, 0, v4, vcc_lo
	v_add_co_u32 v5, vcc_lo, v5, s13
	v_add_co_ci_u32_e32 v6, vcc_lo, 0, v6, vcc_lo
	;; [unrolled: 2-line block ×5, first 2 shown]
	s_add_u32 s10, s10, s15
	v_add_co_u32 v16, vcc_lo, v16, s13
	s_addc_u32 s11, s11, 0
	v_add_co_ci_u32_e32 v17, vcc_lo, 0, v17, vcc_lo
	v_cmp_ge_i64_e64 s0, s[10:11], s[6:7]
	v_cmp_lt_u64_e64 s1, 0xffff, s[10:11]
	v_add_co_u32 v21, vcc_lo, v21, s13
	v_add_co_ci_u32_e32 v22, vcc_lo, 0, v22, vcc_lo
	v_add_co_u32 v23, vcc_lo, v23, s13
	v_add_co_ci_u32_e32 v24, vcc_lo, 0, v24, vcc_lo
	s_or_b32 s0, s0, s1
	s_delay_alu instid0(SALU_CYCLE_1)
	s_and_b32 vcc_lo, exec_lo, s0
	s_cbranch_vccnz .LBB28_25
.LBB28_9:                               ; =>This Inner Loop Header: Depth=1
	v_add_co_u32 v1, s0, v0, s10
	s_delay_alu instid0(VALU_DEP_1) | instskip(SKIP_2) | instid1(VALU_DEP_2)
	v_add_co_ci_u32_e64 v2, null, 0, s11, s0
	s_waitcnt vmcnt(0)
	v_mov_b32_e32 v25, 0
	v_cmp_gt_u64_e32 vcc_lo, s[8:9], v[1:2]
	v_mov_b32_e32 v1, 0
	v_mov_b32_e32 v2, 0
	s_and_saveexec_b32 s1, vcc_lo
	s_cbranch_execz .LBB28_11
; %bb.10:                               ;   in Loop: Header=BB28_9 Depth=1
	v_add_co_u32 v1, s0, v3, s4
	s_delay_alu instid0(VALU_DEP_1) | instskip(SKIP_2) | instid1(VALU_DEP_1)
	v_add_co_ci_u32_e64 v2, s0, s5, v4, s0
	global_load_u16 v26, v[1:2], off
	v_add_co_u32 v1, s0, v5, s4
	v_add_co_ci_u32_e64 v2, s0, s5, v6, s0
	global_load_u16 v25, v[1:2], off
	s_waitcnt vmcnt(1)
	v_dual_mov_b32 v2, s12 :: v_dual_and_b32 v1, 0xffff, v26
.LBB28_11:                              ;   in Loop: Header=BB28_9 Depth=1
	s_or_b32 exec_lo, exec_lo, s1
	v_add_co_u32 v26, s0, v15, s10
	s_delay_alu instid0(VALU_DEP_1) | instskip(NEXT) | instid1(VALU_DEP_1)
	v_add_co_ci_u32_e64 v27, s0, s11, v18, s0
	v_cmp_gt_u64_e64 s0, s[8:9], v[26:27]
	v_dual_mov_b32 v26, 0 :: v_dual_mov_b32 v27, 0
	s_delay_alu instid0(VALU_DEP_2)
	s_and_saveexec_b32 s2, s0
	s_cbranch_execz .LBB28_13
; %bb.12:                               ;   in Loop: Header=BB28_9 Depth=1
	v_add_co_u32 v27, s1, v21, s4
	s_delay_alu instid0(VALU_DEP_1) | instskip(SKIP_2) | instid1(VALU_DEP_1)
	v_add_co_ci_u32_e64 v28, s1, s5, v22, s1
	global_load_u16 v29, v[27:28], off
	v_add_co_u32 v27, s1, v23, s4
	v_add_co_ci_u32_e64 v28, s1, s5, v24, s1
	global_load_u16 v27, v[27:28], off
	s_waitcnt vmcnt(1)
	v_lshl_or_b32 v1, v29, 16, v1
.LBB28_13:                              ;   in Loop: Header=BB28_9 Depth=1
	s_or_b32 exec_lo, exec_lo, s2
	v_add_co_u32 v28, s1, v19, s10
	s_delay_alu instid0(VALU_DEP_1) | instskip(NEXT) | instid1(VALU_DEP_1)
	v_add_co_ci_u32_e64 v29, s1, s11, v20, s1
	v_cmp_gt_u64_e64 s1, s[8:9], v[28:29]
	s_delay_alu instid0(VALU_DEP_1)
	s_and_saveexec_b32 s3, s1
	s_cbranch_execz .LBB28_15
; %bb.14:                               ;   in Loop: Header=BB28_9 Depth=1
	v_add_co_u32 v28, s2, v13, s4
	s_delay_alu instid0(VALU_DEP_1) | instskip(SKIP_2) | instid1(VALU_DEP_1)
	v_add_co_ci_u32_e64 v29, s2, s5, v14, s2
	global_load_u16 v30, v[28:29], off
	v_add_co_u32 v28, s2, v16, s4
	v_add_co_ci_u32_e64 v29, s2, s5, v17, s2
	global_load_u16 v26, v[28:29], off
	s_waitcnt vmcnt(1)
	v_or_b32_e32 v2, v30, v2
.LBB28_15:                              ;   in Loop: Header=BB28_9 Depth=1
	s_or_b32 exec_lo, exec_lo, s3
	v_add_co_u32 v28, s2, v11, s10
	s_delay_alu instid0(VALU_DEP_1) | instskip(NEXT) | instid1(VALU_DEP_1)
	v_add_co_ci_u32_e64 v29, s2, s11, v12, s2
	v_cmp_gt_u64_e64 s2, s[8:9], v[28:29]
	v_mov_b32_e32 v28, 0
	s_delay_alu instid0(VALU_DEP_2)
	s_and_saveexec_b32 s16, s2
	s_cbranch_execnz .LBB28_20
; %bb.16:                               ;   in Loop: Header=BB28_9 Depth=1
	s_or_b32 exec_lo, exec_lo, s16
	s_and_saveexec_b32 s3, vcc_lo
	s_cbranch_execnz .LBB28_21
.LBB28_17:                              ;   in Loop: Header=BB28_9 Depth=1
	s_or_b32 exec_lo, exec_lo, s3
	s_and_saveexec_b32 s3, s0
	s_cbranch_execnz .LBB28_22
.LBB28_18:                              ;   in Loop: Header=BB28_9 Depth=1
	s_or_b32 exec_lo, exec_lo, s3
	s_and_saveexec_b32 s0, s1
	s_cbranch_execnz .LBB28_23
.LBB28_19:                              ;   in Loop: Header=BB28_9 Depth=1
	s_or_b32 exec_lo, exec_lo, s0
	s_and_saveexec_b32 s0, s2
	s_cbranch_execz .LBB28_8
	s_branch .LBB28_24
.LBB28_20:                              ;   in Loop: Header=BB28_9 Depth=1
	v_add_co_u32 v28, s3, v7, s4
	s_delay_alu instid0(VALU_DEP_1) | instskip(SKIP_3) | instid1(VALU_DEP_1)
	v_add_co_ci_u32_e64 v29, s3, s5, v8, s3
	v_mov_b32_e32 v30, 0
	global_load_d16_hi_b16 v30, v[28:29], off
	v_add_co_u32 v28, s3, v9, s4
	v_add_co_ci_u32_e64 v29, s3, s5, v10, s3
	global_load_u16 v28, v[28:29], off
	s_waitcnt vmcnt(1)
	v_or_b32_e32 v2, v30, v2
	s_or_b32 exec_lo, exec_lo, s16
	s_and_saveexec_b32 s3, vcc_lo
	s_cbranch_execz .LBB28_17
.LBB28_21:                              ;   in Loop: Header=BB28_9 Depth=1
	s_waitcnt vmcnt(0)
	v_mul_lo_u16 v25, v25, s14
	v_add_co_u32 v29, vcc_lo, v3, s4
	v_add_co_ci_u32_e32 v30, vcc_lo, s5, v4, vcc_lo
	s_delay_alu instid0(VALU_DEP_3)
	v_sub_nc_u16 v25, v1, v25
	global_store_b16 v[29:30], v25, off
	s_or_b32 exec_lo, exec_lo, s3
	s_and_saveexec_b32 s3, s0
	s_cbranch_execz .LBB28_18
.LBB28_22:                              ;   in Loop: Header=BB28_9 Depth=1
	v_lshrrev_b32_e32 v1, 16, v1
	s_waitcnt vmcnt(0)
	v_mul_lo_u16 v25, v27, s14
	v_add_co_u32 v29, vcc_lo, v21, s4
	v_add_co_ci_u32_e32 v30, vcc_lo, s5, v22, vcc_lo
	s_delay_alu instid0(VALU_DEP_3)
	v_sub_nc_u16 v1, v1, v25
	global_store_b16 v[29:30], v1, off
	s_or_b32 exec_lo, exec_lo, s3
	s_and_saveexec_b32 s0, s1
	s_cbranch_execz .LBB28_19
.LBB28_23:                              ;   in Loop: Header=BB28_9 Depth=1
	s_waitcnt vmcnt(0)
	v_mul_lo_u16 v1, v26, s14
	v_add_co_u32 v25, vcc_lo, v13, s4
	v_add_co_ci_u32_e32 v26, vcc_lo, s5, v14, vcc_lo
	s_delay_alu instid0(VALU_DEP_3)
	v_sub_nc_u16 v1, v2, v1
	global_store_b16 v[25:26], v1, off
	s_or_b32 exec_lo, exec_lo, s0
	s_and_saveexec_b32 s0, s2
	s_cbranch_execz .LBB28_8
.LBB28_24:                              ;   in Loop: Header=BB28_9 Depth=1
	v_lshrrev_b32_e32 v1, 16, v2
	s_waitcnt vmcnt(0)
	v_mul_lo_u16 v2, v28, s14
	s_delay_alu instid0(VALU_DEP_1)
	v_sub_nc_u16 v25, v1, v2
	v_add_co_u32 v1, vcc_lo, v7, s4
	v_add_co_ci_u32_e32 v2, vcc_lo, s5, v8, vcc_lo
	global_store_b16 v[1:2], v25, off
	s_branch .LBB28_8
.LBB28_25:
	s_nop 0
	s_sendmsg sendmsg(MSG_DEALLOC_VGPRS)
	s_endpgm
	.section	.rodata,"a",@progbits
	.p2align	6, 0x0
	.amdhsa_kernel _ZN2at6native12_GLOBAL__N_125multi_tensor_apply_kernelINS1_18TensorListMetadataILi2EEENS1_24BinaryOpListAlphaFunctorIsLi2ELi2ELi0EEEJSt5minusIsEsEEEvT_T0_DpT1_
		.amdhsa_group_segment_fixed_size 0
		.amdhsa_private_segment_fixed_size 0
		.amdhsa_kernarg_size 3408
		.amdhsa_user_sgpr_count 15
		.amdhsa_user_sgpr_dispatch_ptr 0
		.amdhsa_user_sgpr_queue_ptr 0
		.amdhsa_user_sgpr_kernarg_segment_ptr 1
		.amdhsa_user_sgpr_dispatch_id 0
		.amdhsa_user_sgpr_private_segment_size 0
		.amdhsa_wavefront_size32 1
		.amdhsa_uses_dynamic_stack 0
		.amdhsa_enable_private_segment 0
		.amdhsa_system_sgpr_workgroup_id_x 1
		.amdhsa_system_sgpr_workgroup_id_y 0
		.amdhsa_system_sgpr_workgroup_id_z 0
		.amdhsa_system_sgpr_workgroup_info 0
		.amdhsa_system_vgpr_workitem_id 0
		.amdhsa_next_free_vgpr 31
		.amdhsa_next_free_sgpr 20
		.amdhsa_reserve_vcc 1
		.amdhsa_float_round_mode_32 0
		.amdhsa_float_round_mode_16_64 0
		.amdhsa_float_denorm_mode_32 3
		.amdhsa_float_denorm_mode_16_64 3
		.amdhsa_dx10_clamp 1
		.amdhsa_ieee_mode 1
		.amdhsa_fp16_overflow 0
		.amdhsa_workgroup_processor_mode 1
		.amdhsa_memory_ordered 1
		.amdhsa_forward_progress 0
		.amdhsa_shared_vgpr_count 0
		.amdhsa_exception_fp_ieee_invalid_op 0
		.amdhsa_exception_fp_denorm_src 0
		.amdhsa_exception_fp_ieee_div_zero 0
		.amdhsa_exception_fp_ieee_overflow 0
		.amdhsa_exception_fp_ieee_underflow 0
		.amdhsa_exception_fp_ieee_inexact 0
		.amdhsa_exception_int_div_zero 0
	.end_amdhsa_kernel
	.section	.text._ZN2at6native12_GLOBAL__N_125multi_tensor_apply_kernelINS1_18TensorListMetadataILi2EEENS1_24BinaryOpListAlphaFunctorIsLi2ELi2ELi0EEEJSt5minusIsEsEEEvT_T0_DpT1_,"axG",@progbits,_ZN2at6native12_GLOBAL__N_125multi_tensor_apply_kernelINS1_18TensorListMetadataILi2EEENS1_24BinaryOpListAlphaFunctorIsLi2ELi2ELi0EEEJSt5minusIsEsEEEvT_T0_DpT1_,comdat
.Lfunc_end28:
	.size	_ZN2at6native12_GLOBAL__N_125multi_tensor_apply_kernelINS1_18TensorListMetadataILi2EEENS1_24BinaryOpListAlphaFunctorIsLi2ELi2ELi0EEEJSt5minusIsEsEEEvT_T0_DpT1_, .Lfunc_end28-_ZN2at6native12_GLOBAL__N_125multi_tensor_apply_kernelINS1_18TensorListMetadataILi2EEENS1_24BinaryOpListAlphaFunctorIsLi2ELi2ELi0EEEJSt5minusIsEsEEEvT_T0_DpT1_
                                        ; -- End function
	.section	.AMDGPU.csdata,"",@progbits
; Kernel info:
; codeLenInByte = 1768
; NumSgprs: 22
; NumVgprs: 31
; ScratchSize: 0
; MemoryBound: 0
; FloatMode: 240
; IeeeMode: 1
; LDSByteSize: 0 bytes/workgroup (compile time only)
; SGPRBlocks: 2
; VGPRBlocks: 3
; NumSGPRsForWavesPerEU: 22
; NumVGPRsForWavesPerEU: 31
; Occupancy: 16
; WaveLimiterHint : 0
; COMPUTE_PGM_RSRC2:SCRATCH_EN: 0
; COMPUTE_PGM_RSRC2:USER_SGPR: 15
; COMPUTE_PGM_RSRC2:TRAP_HANDLER: 0
; COMPUTE_PGM_RSRC2:TGID_X_EN: 1
; COMPUTE_PGM_RSRC2:TGID_Y_EN: 0
; COMPUTE_PGM_RSRC2:TGID_Z_EN: 0
; COMPUTE_PGM_RSRC2:TIDIG_COMP_CNT: 0
	.section	.text._ZN2at6native12_GLOBAL__N_125multi_tensor_apply_kernelINS1_18TensorListMetadataILi2EEENS1_24BinaryOpListAlphaFunctorIdLi2ELi2ELi0EEEJSt5minusIdEdEEEvT_T0_DpT1_,"axG",@progbits,_ZN2at6native12_GLOBAL__N_125multi_tensor_apply_kernelINS1_18TensorListMetadataILi2EEENS1_24BinaryOpListAlphaFunctorIdLi2ELi2ELi0EEEJSt5minusIdEdEEEvT_T0_DpT1_,comdat
	.globl	_ZN2at6native12_GLOBAL__N_125multi_tensor_apply_kernelINS1_18TensorListMetadataILi2EEENS1_24BinaryOpListAlphaFunctorIdLi2ELi2ELi0EEEJSt5minusIdEdEEEvT_T0_DpT1_ ; -- Begin function _ZN2at6native12_GLOBAL__N_125multi_tensor_apply_kernelINS1_18TensorListMetadataILi2EEENS1_24BinaryOpListAlphaFunctorIdLi2ELi2ELi0EEEJSt5minusIdEdEEEvT_T0_DpT1_
	.p2align	8
	.type	_ZN2at6native12_GLOBAL__N_125multi_tensor_apply_kernelINS1_18TensorListMetadataILi2EEENS1_24BinaryOpListAlphaFunctorIdLi2ELi2ELi0EEEJSt5minusIdEdEEEvT_T0_DpT1_,@function
_ZN2at6native12_GLOBAL__N_125multi_tensor_apply_kernelINS1_18TensorListMetadataILi2EEENS1_24BinaryOpListAlphaFunctorIdLi2ELi2ELi0EEEJSt5minusIdEdEEEvT_T0_DpT1_: ; @_ZN2at6native12_GLOBAL__N_125multi_tensor_apply_kernelINS1_18TensorListMetadataILi2EEENS1_24BinaryOpListAlphaFunctorIdLi2ELi2ELi0EEEJSt5minusIdEdEEEvT_T0_DpT1_
; %bb.0:
	v_mov_b32_e32 v1, s15
	s_add_u32 s2, s0, s15
	s_mul_hi_u32 s3, s15, 3
	s_mul_i32 s15, s15, 3
	s_addc_u32 s4, s1, 0
	global_load_u8 v1, v1, s[0:1] offset:1536
	s_add_u32 s2, s2, s15
	s_addc_u32 s3, s4, s3
	s_mov_b32 s19, 0
	s_load_b32 s2, s[2:3], 0x740
	s_mov_b32 s21, s19
	s_mov_b32 s23, s19
	s_waitcnt vmcnt(0)
	v_readfirstlane_b32 s3, v1
	s_delay_alu instid0(VALU_DEP_1)
	s_lshl_b32 s3, s3, 3
	s_clause 0x3
	s_load_b64 s[12:13], s[0:1], s3 offset:0x0
	s_load_b64 s[14:15], s[0:1], s3 offset:0x200
	;; [unrolled: 1-line block ×3, first 2 shown]
	s_load_b64 s[4:5], s[0:1], 0xc50
	s_waitcnt lgkmcnt(0)
	s_ashr_i32 s3, s2, 31
	s_delay_alu instid0(SALU_CYCLE_1) | instskip(NEXT) | instid1(SALU_CYCLE_1)
	s_lshl_b64 s[6:7], s[2:3], 19
	s_add_u32 s10, s12, s6
	s_addc_u32 s11, s13, s7
	s_and_b32 s18, s10, 31
	s_add_u32 s16, s14, s6
	s_addc_u32 s17, s15, s7
	s_and_b32 s20, s8, 3
	s_and_b32 s22, s16, 31
	s_or_b64 s[18:19], s[18:19], s[20:21]
	s_lshl_b64 s[2:3], s[2:3], 16
	s_or_b64 s[18:19], s[22:23], s[18:19]
	s_sub_u32 s8, s8, s2
	s_subb_u32 s9, s9, s3
	s_cmp_eq_u64 s[18:19], 0
	s_mov_b32 s2, -1
	s_cbranch_scc0 .LBB29_5
; %bb.1:
	v_dual_mov_b32 v2, 0 :: v_dual_lshlrev_b32 v1, 2, v0
	s_mov_b32 s18, exec_lo
	s_delay_alu instid0(VALU_DEP_1)
	v_cmpx_gt_i64_e64 s[8:9], v[1:2]
	s_cbranch_execz .LBB29_4
; %bb.2:
	s_load_b32 s2, s[0:1], 0xc64
	v_lshlrev_b32_e32 v3, 5, v0
	s_mov_b32 s19, 0
	s_waitcnt lgkmcnt(0)
	s_and_b32 s2, s2, 0xffff
	s_delay_alu instid0(SALU_CYCLE_1)
	v_add_lshl_u32 v1, v0, s2, 2
	s_lshl_b32 s20, s2, 2
	s_lshl_b32 s21, s2, 5
	s_set_inst_prefetch_distance 0x1
	.p2align	6
.LBB29_3:                               ; =>This Inner Loop Header: Depth=1
	v_add_co_u32 v20, s2, s10, v3
	s_delay_alu instid0(VALU_DEP_1) | instskip(SKIP_1) | instid1(VALU_DEP_1)
	v_add_co_ci_u32_e64 v21, null, s11, 0, s2
	v_add_co_u32 v16, s2, s16, v3
	v_add_co_ci_u32_e64 v17, null, s17, 0, s2
	global_load_b128 v[4:7], v[20:21], off
	global_load_b128 v[8:11], v[16:17], off
	global_load_b128 v[12:15], v[20:21], off offset:16
	global_load_b128 v[16:19], v[16:17], off offset:16
	v_cmp_le_i64_e32 vcc_lo, s[8:9], v[1:2]
	v_cmp_lt_u64_e64 s2, 0xffff, v[1:2]
	v_add_co_u32 v1, s3, v1, s20
	s_delay_alu instid0(VALU_DEP_1) | instskip(NEXT) | instid1(VALU_DEP_3)
	v_add_co_ci_u32_e64 v2, s3, 0, v2, s3
	s_or_b32 s2, vcc_lo, s2
	s_add_u32 s10, s10, s21
	s_addc_u32 s11, s11, 0
	s_add_u32 s16, s16, s21
	s_addc_u32 s17, s17, 0
	s_and_b32 s2, exec_lo, s2
	s_delay_alu instid0(SALU_CYCLE_1)
	s_or_b32 s19, s2, s19
	s_waitcnt vmcnt(2)
	v_fma_f64 v[4:5], -v[8:9], s[4:5], v[4:5]
	v_fma_f64 v[6:7], -v[10:11], s[4:5], v[6:7]
	s_waitcnt vmcnt(0)
	v_fma_f64 v[8:9], -v[16:17], s[4:5], v[12:13]
	v_fma_f64 v[10:11], -v[18:19], s[4:5], v[14:15]
	s_clause 0x1
	global_store_b128 v[20:21], v[4:7], off
	global_store_b128 v[20:21], v[8:11], off offset:16
	s_and_not1_b32 exec_lo, exec_lo, s19
	s_cbranch_execnz .LBB29_3
.LBB29_4:
	s_set_inst_prefetch_distance 0x2
	s_or_b32 exec_lo, exec_lo, s18
	s_mov_b32 s2, 0
.LBB29_5:
	s_delay_alu instid0(SALU_CYCLE_1)
	s_and_not1_b32 vcc_lo, exec_lo, s2
	s_cbranch_vccnz .LBB29_25
; %bb.6:
	v_cmp_lt_i64_e64 s2, s[8:9], 1
	s_delay_alu instid0(VALU_DEP_1)
	s_and_b32 vcc_lo, exec_lo, s2
	s_cbranch_vccnz .LBB29_25
; %bb.7:
	s_load_b32 s0, s[0:1], 0xc64
	v_dual_mov_b32 v2, 0 :: v_dual_lshlrev_b32 v1, 3, v0
	v_cmp_gt_u64_e64 s1, 0x10000, s[8:9]
	s_delay_alu instid0(VALU_DEP_2) | instskip(NEXT) | instid1(VALU_DEP_1)
	v_add_co_u32 v17, s2, s12, v1
	v_add_co_ci_u32_e64 v18, null, s13, 0, s2
	v_add_co_u32 v19, s2, s14, v1
	s_delay_alu instid0(VALU_DEP_1)
	v_add_co_ci_u32_e64 v20, null, s15, 0, s2
	s_waitcnt lgkmcnt(0)
	s_and_b32 s0, s0, 0xffff
	s_and_b32 s1, s1, exec_lo
	v_mad_u64_u32 v[3:4], null, s0, 24, v[1:2]
	s_cselect_b32 s11, s9, 0
	s_cselect_b32 s10, s8, 0x10000
	s_lshl_b32 s3, s0, 4
	s_mul_i32 s2, s0, 3
	v_add_co_u32 v1, s3, s3, v1
	s_delay_alu instid0(VALU_DEP_2) | instskip(NEXT) | instid1(VALU_DEP_3)
	v_add_co_u32 v21, vcc_lo, s12, v3
	v_add_co_ci_u32_e32 v22, vcc_lo, s13, v4, vcc_lo
	v_add_co_u32 v25, s2, s2, v0
	v_add_co_u32 v23, vcc_lo, s14, v3
	v_add_co_ci_u32_e64 v2, null, 0, 0, s3
	v_add_co_ci_u32_e64 v26, null, 0, 0, s2
	v_add_co_u32 v29, s2, v0, s0
	v_add_co_ci_u32_e32 v24, vcc_lo, s15, v4, vcc_lo
	v_add_co_u32 v27, vcc_lo, s12, v1
	v_add_co_ci_u32_e32 v28, vcc_lo, s13, v2, vcc_lo
	v_add_co_u32 v30, vcc_lo, s14, v1
	v_lshlrev_b32_e32 v1, 3, v29
	s_lshl_b32 s1, s0, 1
	v_add_co_ci_u32_e32 v31, vcc_lo, s15, v2, vcc_lo
	v_add_co_u32 v33, s1, s1, v0
	s_delay_alu instid0(VALU_DEP_1) | instskip(SKIP_1) | instid1(VALU_DEP_1)
	v_add_co_ci_u32_e64 v34, null, 0, 0, s1
	v_add_co_u32 v35, s1, s12, v1
	v_add_co_ci_u32_e64 v36, null, s13, 0, s1
	v_add_co_u32 v37, s1, s14, v1
	v_add_co_ci_u32_e64 v32, null, 0, 0, s2
	v_add_co_ci_u32_e64 v38, null, s15, 0, s1
	s_lshl_b32 s14, s0, 2
	s_lshl_b32 s15, s0, 5
	s_mov_b64 s[12:13], 0
	s_branch .LBB29_9
.LBB29_8:                               ;   in Loop: Header=BB29_9 Depth=1
	s_or_b32 exec_lo, exec_lo, s0
	v_add_co_u32 v17, vcc_lo, v17, s15
	v_add_co_ci_u32_e32 v18, vcc_lo, 0, v18, vcc_lo
	v_add_co_u32 v19, vcc_lo, v19, s15
	v_add_co_ci_u32_e32 v20, vcc_lo, 0, v20, vcc_lo
	;; [unrolled: 2-line block ×5, first 2 shown]
	s_add_u32 s12, s12, s14
	v_add_co_u32 v30, vcc_lo, v30, s15
	s_addc_u32 s13, s13, 0
	v_add_co_ci_u32_e32 v31, vcc_lo, 0, v31, vcc_lo
	v_cmp_ge_i64_e64 s0, s[12:13], s[8:9]
	v_cmp_lt_u64_e64 s1, 0xffff, s[12:13]
	v_add_co_u32 v35, vcc_lo, v35, s15
	v_add_co_ci_u32_e32 v36, vcc_lo, 0, v36, vcc_lo
	v_add_co_u32 v37, vcc_lo, v37, s15
	v_add_co_ci_u32_e32 v38, vcc_lo, 0, v38, vcc_lo
	s_or_b32 s0, s0, s1
	s_delay_alu instid0(SALU_CYCLE_1)
	s_and_b32 vcc_lo, exec_lo, s0
	s_cbranch_vccnz .LBB29_25
.LBB29_9:                               ; =>This Inner Loop Header: Depth=1
	s_waitcnt vmcnt(1)
	v_add_co_u32 v3, s0, v0, s12
	s_delay_alu instid0(VALU_DEP_1) | instskip(SKIP_2) | instid1(VALU_DEP_3)
	v_add_co_ci_u32_e64 v4, null, 0, s13, s0
	v_mov_b32_e32 v1, 0
	v_mov_b32_e32 v2, 0
	v_cmp_gt_u64_e32 vcc_lo, s[10:11], v[3:4]
	s_delay_alu instid0(VALU_DEP_2)
	v_dual_mov_b32 v4, v2 :: v_dual_mov_b32 v3, v1
	s_waitcnt vmcnt(0)
	v_dual_mov_b32 v6, v2 :: v_dual_mov_b32 v5, v1
	s_and_saveexec_b32 s1, vcc_lo
	s_cbranch_execz .LBB29_11
; %bb.10:                               ;   in Loop: Header=BB29_9 Depth=1
	v_add_co_u32 v3, s0, v17, s6
	s_delay_alu instid0(VALU_DEP_1) | instskip(SKIP_1) | instid1(VALU_DEP_1)
	v_add_co_ci_u32_e64 v4, s0, s7, v18, s0
	v_add_co_u32 v5, s0, v19, s6
	v_add_co_ci_u32_e64 v6, s0, s7, v20, s0
	global_load_b64 v[3:4], v[3:4], off
	global_load_b64 v[5:6], v[5:6], off
.LBB29_11:                              ;   in Loop: Header=BB29_9 Depth=1
	s_or_b32 exec_lo, exec_lo, s1
	v_add_co_u32 v7, s0, v29, s12
	s_delay_alu instid0(VALU_DEP_1) | instskip(NEXT) | instid1(VALU_DEP_1)
	v_add_co_ci_u32_e64 v8, s0, s13, v32, s0
	v_cmp_gt_u64_e64 s0, s[10:11], v[7:8]
	v_dual_mov_b32 v8, v2 :: v_dual_mov_b32 v7, v1
	s_delay_alu instid0(VALU_DEP_2)
	s_and_saveexec_b32 s2, s0
	s_cbranch_execz .LBB29_13
; %bb.12:                               ;   in Loop: Header=BB29_9 Depth=1
	v_add_co_u32 v1, s1, v35, s6
	s_delay_alu instid0(VALU_DEP_1) | instskip(SKIP_1) | instid1(VALU_DEP_1)
	v_add_co_ci_u32_e64 v2, s1, s7, v36, s1
	v_add_co_u32 v7, s1, v37, s6
	v_add_co_ci_u32_e64 v8, s1, s7, v38, s1
	global_load_b64 v[1:2], v[1:2], off
	global_load_b64 v[7:8], v[7:8], off
.LBB29_13:                              ;   in Loop: Header=BB29_9 Depth=1
	s_or_b32 exec_lo, exec_lo, s2
	v_add_co_u32 v11, s1, v33, s12
	s_delay_alu instid0(VALU_DEP_1) | instskip(SKIP_2) | instid1(VALU_DEP_3)
	v_add_co_ci_u32_e64 v12, s1, s13, v34, s1
	v_mov_b32_e32 v9, 0
	v_mov_b32_e32 v10, 0
	v_cmp_gt_u64_e64 s1, s[10:11], v[11:12]
	s_delay_alu instid0(VALU_DEP_2) | instskip(SKIP_1) | instid1(VALU_DEP_3)
	v_dual_mov_b32 v12, v10 :: v_dual_mov_b32 v11, v9
	v_dual_mov_b32 v14, v10 :: v_dual_mov_b32 v13, v9
	s_and_saveexec_b32 s3, s1
	s_cbranch_execz .LBB29_15
; %bb.14:                               ;   in Loop: Header=BB29_9 Depth=1
	v_add_co_u32 v11, s2, v27, s6
	s_delay_alu instid0(VALU_DEP_1) | instskip(SKIP_1) | instid1(VALU_DEP_1)
	v_add_co_ci_u32_e64 v12, s2, s7, v28, s2
	v_add_co_u32 v13, s2, v30, s6
	v_add_co_ci_u32_e64 v14, s2, s7, v31, s2
	global_load_b64 v[11:12], v[11:12], off
	global_load_b64 v[13:14], v[13:14], off
.LBB29_15:                              ;   in Loop: Header=BB29_9 Depth=1
	s_or_b32 exec_lo, exec_lo, s3
	v_add_co_u32 v15, s2, v25, s12
	s_delay_alu instid0(VALU_DEP_1) | instskip(NEXT) | instid1(VALU_DEP_1)
	v_add_co_ci_u32_e64 v16, s2, s13, v26, s2
	v_cmp_gt_u64_e64 s2, s[10:11], v[15:16]
	v_dual_mov_b32 v16, v10 :: v_dual_mov_b32 v15, v9
	s_delay_alu instid0(VALU_DEP_2)
	s_and_saveexec_b32 s16, s2
	s_cbranch_execnz .LBB29_20
; %bb.16:                               ;   in Loop: Header=BB29_9 Depth=1
	s_or_b32 exec_lo, exec_lo, s16
	s_and_saveexec_b32 s3, vcc_lo
	s_cbranch_execnz .LBB29_21
.LBB29_17:                              ;   in Loop: Header=BB29_9 Depth=1
	s_or_b32 exec_lo, exec_lo, s3
	s_and_saveexec_b32 s3, s0
	s_cbranch_execnz .LBB29_22
.LBB29_18:                              ;   in Loop: Header=BB29_9 Depth=1
	s_or_b32 exec_lo, exec_lo, s3
	s_and_saveexec_b32 s0, s1
	s_cbranch_execnz .LBB29_23
.LBB29_19:                              ;   in Loop: Header=BB29_9 Depth=1
	s_or_b32 exec_lo, exec_lo, s0
	s_and_saveexec_b32 s0, s2
	s_cbranch_execz .LBB29_8
	s_branch .LBB29_24
.LBB29_20:                              ;   in Loop: Header=BB29_9 Depth=1
	v_add_co_u32 v9, s3, v21, s6
	s_delay_alu instid0(VALU_DEP_1) | instskip(SKIP_1) | instid1(VALU_DEP_1)
	v_add_co_ci_u32_e64 v10, s3, s7, v22, s3
	v_add_co_u32 v15, s3, v23, s6
	v_add_co_ci_u32_e64 v16, s3, s7, v24, s3
	global_load_b64 v[9:10], v[9:10], off
	global_load_b64 v[15:16], v[15:16], off
	s_or_b32 exec_lo, exec_lo, s16
	s_and_saveexec_b32 s3, vcc_lo
	s_cbranch_execz .LBB29_17
.LBB29_21:                              ;   in Loop: Header=BB29_9 Depth=1
	s_waitcnt vmcnt(0)
	v_fma_f64 v[3:4], -v[5:6], s[4:5], v[3:4]
	v_add_co_u32 v5, vcc_lo, v17, s6
	v_add_co_ci_u32_e32 v6, vcc_lo, s7, v18, vcc_lo
	global_store_b64 v[5:6], v[3:4], off
	s_or_b32 exec_lo, exec_lo, s3
	s_and_saveexec_b32 s3, s0
	s_cbranch_execz .LBB29_18
.LBB29_22:                              ;   in Loop: Header=BB29_9 Depth=1
	s_waitcnt vmcnt(0)
	v_fma_f64 v[1:2], -v[7:8], s[4:5], v[1:2]
	v_add_co_u32 v3, vcc_lo, v35, s6
	v_add_co_ci_u32_e32 v4, vcc_lo, s7, v36, vcc_lo
	global_store_b64 v[3:4], v[1:2], off
	s_or_b32 exec_lo, exec_lo, s3
	s_and_saveexec_b32 s0, s1
	s_cbranch_execz .LBB29_19
.LBB29_23:                              ;   in Loop: Header=BB29_9 Depth=1
	s_waitcnt vmcnt(0)
	v_fma_f64 v[1:2], -v[13:14], s[4:5], v[11:12]
	v_add_co_u32 v3, vcc_lo, v27, s6
	v_add_co_ci_u32_e32 v4, vcc_lo, s7, v28, vcc_lo
	global_store_b64 v[3:4], v[1:2], off
	s_or_b32 exec_lo, exec_lo, s0
	s_and_saveexec_b32 s0, s2
	s_cbranch_execz .LBB29_8
.LBB29_24:                              ;   in Loop: Header=BB29_9 Depth=1
	s_waitcnt vmcnt(0)
	v_fma_f64 v[1:2], -v[15:16], s[4:5], v[9:10]
	v_add_co_u32 v3, vcc_lo, v21, s6
	v_add_co_ci_u32_e32 v4, vcc_lo, s7, v22, vcc_lo
	global_store_b64 v[3:4], v[1:2], off
	s_branch .LBB29_8
.LBB29_25:
	s_nop 0
	s_sendmsg sendmsg(MSG_DEALLOC_VGPRS)
	s_endpgm
	.section	.rodata,"a",@progbits
	.p2align	6, 0x0
	.amdhsa_kernel _ZN2at6native12_GLOBAL__N_125multi_tensor_apply_kernelINS1_18TensorListMetadataILi2EEENS1_24BinaryOpListAlphaFunctorIdLi2ELi2ELi0EEEJSt5minusIdEdEEEvT_T0_DpT1_
		.amdhsa_group_segment_fixed_size 0
		.amdhsa_private_segment_fixed_size 0
		.amdhsa_kernarg_size 3416
		.amdhsa_user_sgpr_count 15
		.amdhsa_user_sgpr_dispatch_ptr 0
		.amdhsa_user_sgpr_queue_ptr 0
		.amdhsa_user_sgpr_kernarg_segment_ptr 1
		.amdhsa_user_sgpr_dispatch_id 0
		.amdhsa_user_sgpr_private_segment_size 0
		.amdhsa_wavefront_size32 1
		.amdhsa_uses_dynamic_stack 0
		.amdhsa_enable_private_segment 0
		.amdhsa_system_sgpr_workgroup_id_x 1
		.amdhsa_system_sgpr_workgroup_id_y 0
		.amdhsa_system_sgpr_workgroup_id_z 0
		.amdhsa_system_sgpr_workgroup_info 0
		.amdhsa_system_vgpr_workitem_id 0
		.amdhsa_next_free_vgpr 39
		.amdhsa_next_free_sgpr 24
		.amdhsa_reserve_vcc 1
		.amdhsa_float_round_mode_32 0
		.amdhsa_float_round_mode_16_64 0
		.amdhsa_float_denorm_mode_32 3
		.amdhsa_float_denorm_mode_16_64 3
		.amdhsa_dx10_clamp 1
		.amdhsa_ieee_mode 1
		.amdhsa_fp16_overflow 0
		.amdhsa_workgroup_processor_mode 1
		.amdhsa_memory_ordered 1
		.amdhsa_forward_progress 0
		.amdhsa_shared_vgpr_count 0
		.amdhsa_exception_fp_ieee_invalid_op 0
		.amdhsa_exception_fp_denorm_src 0
		.amdhsa_exception_fp_ieee_div_zero 0
		.amdhsa_exception_fp_ieee_overflow 0
		.amdhsa_exception_fp_ieee_underflow 0
		.amdhsa_exception_fp_ieee_inexact 0
		.amdhsa_exception_int_div_zero 0
	.end_amdhsa_kernel
	.section	.text._ZN2at6native12_GLOBAL__N_125multi_tensor_apply_kernelINS1_18TensorListMetadataILi2EEENS1_24BinaryOpListAlphaFunctorIdLi2ELi2ELi0EEEJSt5minusIdEdEEEvT_T0_DpT1_,"axG",@progbits,_ZN2at6native12_GLOBAL__N_125multi_tensor_apply_kernelINS1_18TensorListMetadataILi2EEENS1_24BinaryOpListAlphaFunctorIdLi2ELi2ELi0EEEJSt5minusIdEdEEEvT_T0_DpT1_,comdat
.Lfunc_end29:
	.size	_ZN2at6native12_GLOBAL__N_125multi_tensor_apply_kernelINS1_18TensorListMetadataILi2EEENS1_24BinaryOpListAlphaFunctorIdLi2ELi2ELi0EEEJSt5minusIdEdEEEvT_T0_DpT1_, .Lfunc_end29-_ZN2at6native12_GLOBAL__N_125multi_tensor_apply_kernelINS1_18TensorListMetadataILi2EEENS1_24BinaryOpListAlphaFunctorIdLi2ELi2ELi0EEEJSt5minusIdEdEEEvT_T0_DpT1_
                                        ; -- End function
	.section	.AMDGPU.csdata,"",@progbits
; Kernel info:
; codeLenInByte = 1636
; NumSgprs: 26
; NumVgprs: 39
; ScratchSize: 0
; MemoryBound: 0
; FloatMode: 240
; IeeeMode: 1
; LDSByteSize: 0 bytes/workgroup (compile time only)
; SGPRBlocks: 3
; VGPRBlocks: 4
; NumSGPRsForWavesPerEU: 26
; NumVGPRsForWavesPerEU: 39
; Occupancy: 16
; WaveLimiterHint : 0
; COMPUTE_PGM_RSRC2:SCRATCH_EN: 0
; COMPUTE_PGM_RSRC2:USER_SGPR: 15
; COMPUTE_PGM_RSRC2:TRAP_HANDLER: 0
; COMPUTE_PGM_RSRC2:TGID_X_EN: 1
; COMPUTE_PGM_RSRC2:TGID_Y_EN: 0
; COMPUTE_PGM_RSRC2:TGID_Z_EN: 0
; COMPUTE_PGM_RSRC2:TIDIG_COMP_CNT: 0
	.section	.text._ZN2at6native12_GLOBAL__N_125multi_tensor_apply_kernelINS1_18TensorListMetadataILi2EEENS1_24BinaryOpListAlphaFunctorIfLi2ELi2ELi0EEEJSt5minusIfEfEEEvT_T0_DpT1_,"axG",@progbits,_ZN2at6native12_GLOBAL__N_125multi_tensor_apply_kernelINS1_18TensorListMetadataILi2EEENS1_24BinaryOpListAlphaFunctorIfLi2ELi2ELi0EEEJSt5minusIfEfEEEvT_T0_DpT1_,comdat
	.globl	_ZN2at6native12_GLOBAL__N_125multi_tensor_apply_kernelINS1_18TensorListMetadataILi2EEENS1_24BinaryOpListAlphaFunctorIfLi2ELi2ELi0EEEJSt5minusIfEfEEEvT_T0_DpT1_ ; -- Begin function _ZN2at6native12_GLOBAL__N_125multi_tensor_apply_kernelINS1_18TensorListMetadataILi2EEENS1_24BinaryOpListAlphaFunctorIfLi2ELi2ELi0EEEJSt5minusIfEfEEEvT_T0_DpT1_
	.p2align	8
	.type	_ZN2at6native12_GLOBAL__N_125multi_tensor_apply_kernelINS1_18TensorListMetadataILi2EEENS1_24BinaryOpListAlphaFunctorIfLi2ELi2ELi0EEEJSt5minusIfEfEEEvT_T0_DpT1_,@function
_ZN2at6native12_GLOBAL__N_125multi_tensor_apply_kernelINS1_18TensorListMetadataILi2EEENS1_24BinaryOpListAlphaFunctorIfLi2ELi2ELi0EEEJSt5minusIfEfEEEvT_T0_DpT1_: ; @_ZN2at6native12_GLOBAL__N_125multi_tensor_apply_kernelINS1_18TensorListMetadataILi2EEENS1_24BinaryOpListAlphaFunctorIfLi2ELi2ELi0EEEJSt5minusIfEfEEEvT_T0_DpT1_
; %bb.0:
	v_mov_b32_e32 v1, s15
	s_add_u32 s2, s0, s15
	s_mul_hi_u32 s3, s15, 3
	s_mul_i32 s15, s15, 3
	s_addc_u32 s4, s1, 0
	global_load_u8 v1, v1, s[0:1] offset:1536
	s_add_u32 s2, s2, s15
	s_addc_u32 s3, s4, s3
	s_mov_b32 s19, 0
	s_load_b32 s2, s[2:3], 0x740
	s_mov_b32 s21, s19
	s_mov_b32 s23, s19
	s_waitcnt vmcnt(0)
	v_readfirstlane_b32 s3, v1
	s_delay_alu instid0(VALU_DEP_1)
	s_lshl_b32 s3, s3, 3
	s_clause 0x3
	s_load_b64 s[10:11], s[0:1], s3 offset:0x0
	s_load_b64 s[12:13], s[0:1], s3 offset:0x200
	;; [unrolled: 1-line block ×3, first 2 shown]
	s_load_b32 s14, s[0:1], 0xc4c
	s_waitcnt lgkmcnt(0)
	s_ashr_i32 s3, s2, 31
	s_delay_alu instid0(SALU_CYCLE_1) | instskip(NEXT) | instid1(SALU_CYCLE_1)
	s_lshl_b64 s[4:5], s[2:3], 18
	s_add_u32 s8, s10, s4
	s_addc_u32 s9, s11, s5
	s_and_b32 s18, s8, 15
	s_add_u32 s15, s12, s4
	s_addc_u32 s16, s13, s5
	s_and_b32 s20, s6, 3
	s_and_b32 s22, s15, 15
	s_or_b64 s[18:19], s[18:19], s[20:21]
	s_lshl_b64 s[2:3], s[2:3], 16
	s_or_b64 s[18:19], s[22:23], s[18:19]
	s_sub_u32 s6, s6, s2
	s_subb_u32 s7, s7, s3
	s_cmp_eq_u64 s[18:19], 0
	s_mov_b32 s2, -1
	s_cbranch_scc0 .LBB30_5
; %bb.1:
	v_dual_mov_b32 v2, 0 :: v_dual_lshlrev_b32 v1, 2, v0
	s_mov_b32 s17, exec_lo
	s_delay_alu instid0(VALU_DEP_1)
	v_cmpx_gt_i64_e64 s[6:7], v[1:2]
	s_cbranch_execz .LBB30_4
; %bb.2:
	s_load_b32 s2, s[0:1], 0xc5c
	v_lshlrev_b32_e32 v3, 4, v0
	s_mov_b32 s18, 0
	s_waitcnt lgkmcnt(0)
	s_and_b32 s2, s2, 0xffff
	s_delay_alu instid0(SALU_CYCLE_1)
	v_add_lshl_u32 v1, v0, s2, 2
	s_lshl_b32 s19, s2, 2
	s_lshl_b32 s20, s2, 4
	s_set_inst_prefetch_distance 0x1
	.p2align	6
.LBB30_3:                               ; =>This Inner Loop Header: Depth=1
	v_add_co_u32 v12, s2, s8, v3
	s_delay_alu instid0(VALU_DEP_1) | instskip(SKIP_1) | instid1(VALU_DEP_1)
	v_add_co_ci_u32_e64 v13, null, s9, 0, s2
	v_add_co_u32 v8, s2, s15, v3
	v_add_co_ci_u32_e64 v9, null, s16, 0, s2
	global_load_b128 v[4:7], v[12:13], off
	global_load_b128 v[8:11], v[8:9], off
	v_cmp_le_i64_e32 vcc_lo, s[6:7], v[1:2]
	v_cmp_lt_u64_e64 s2, 0xffff, v[1:2]
	v_add_co_u32 v1, s3, v1, s19
	s_delay_alu instid0(VALU_DEP_1) | instskip(NEXT) | instid1(VALU_DEP_3)
	v_add_co_ci_u32_e64 v2, s3, 0, v2, s3
	s_or_b32 s2, vcc_lo, s2
	s_add_u32 s8, s8, s20
	s_addc_u32 s9, s9, 0
	s_add_u32 s15, s15, s20
	s_addc_u32 s16, s16, 0
	s_and_b32 s2, exec_lo, s2
	s_delay_alu instid0(SALU_CYCLE_1)
	s_or_b32 s18, s2, s18
	s_waitcnt vmcnt(0)
	v_fma_f32 v4, -v8, s14, v4
	v_fma_f32 v5, -v9, s14, v5
	;; [unrolled: 1-line block ×4, first 2 shown]
	global_store_b128 v[12:13], v[4:7], off
	s_and_not1_b32 exec_lo, exec_lo, s18
	s_cbranch_execnz .LBB30_3
.LBB30_4:
	s_set_inst_prefetch_distance 0x2
	s_or_b32 exec_lo, exec_lo, s17
	s_mov_b32 s2, 0
.LBB30_5:
	s_delay_alu instid0(SALU_CYCLE_1)
	s_and_not1_b32 vcc_lo, exec_lo, s2
	s_cbranch_vccnz .LBB30_25
; %bb.6:
	v_cmp_lt_i64_e64 s2, s[6:7], 1
	s_delay_alu instid0(VALU_DEP_1)
	s_and_b32 vcc_lo, exec_lo, s2
	s_cbranch_vccnz .LBB30_25
; %bb.7:
	s_load_b32 s0, s[0:1], 0xc5c
	v_dual_mov_b32 v10, 0 :: v_dual_lshlrev_b32 v9, 2, v0
	v_cmp_gt_u64_e64 s1, 0x10000, s[6:7]
	s_delay_alu instid0(VALU_DEP_2) | instskip(NEXT) | instid1(VALU_DEP_1)
	v_add_co_u32 v1, s2, s10, v9
	v_add_co_ci_u32_e64 v2, null, s11, 0, s2
	v_add_co_u32 v3, s2, s12, v9
	s_delay_alu instid0(VALU_DEP_1)
	v_add_co_ci_u32_e64 v4, null, s13, 0, s2
	s_waitcnt lgkmcnt(0)
	s_and_b32 s0, s0, 0xffff
	s_and_b32 s1, s1, exec_lo
	v_mad_u64_u32 v[7:8], null, s0, 12, v[9:10]
	s_cselect_b32 s9, s7, 0
	s_cselect_b32 s8, s6, 0x10000
	s_mul_i32 s2, s0, 3
	s_lshl_b32 s3, s0, 3
	s_lshl_b32 s1, s0, 1
	v_add_co_u32 v14, s3, s3, v9
	v_add_co_u32 v9, s2, s2, v0
	s_delay_alu instid0(VALU_DEP_1) | instskip(SKIP_3) | instid1(VALU_DEP_3)
	v_add_co_ci_u32_e64 v10, null, 0, 0, s2
	v_add_co_u32 v13, s2, v0, s0
	v_add_co_u32 v5, vcc_lo, s10, v7
	v_add_co_ci_u32_e32 v6, vcc_lo, s11, v8, vcc_lo
	v_lshlrev_b32_e32 v21, 2, v13
	v_add_co_u32 v7, vcc_lo, s12, v7
	v_add_co_ci_u32_e64 v15, null, 0, 0, s3
	v_add_co_ci_u32_e32 v8, vcc_lo, s13, v8, vcc_lo
	v_add_co_u32 v17, s1, s1, v0
	v_add_co_u32 v11, vcc_lo, s10, v14
	v_add_co_ci_u32_e64 v18, null, 0, 0, s1
	v_add_co_u32 v19, s1, s10, v21
	v_add_co_ci_u32_e32 v12, vcc_lo, s11, v15, vcc_lo
	v_add_co_u32 v14, vcc_lo, s12, v14
	v_add_co_ci_u32_e64 v20, null, s11, 0, s1
	v_add_co_u32 v21, s1, s12, v21
	v_add_co_ci_u32_e32 v15, vcc_lo, s13, v15, vcc_lo
	v_add_co_ci_u32_e64 v16, null, 0, 0, s2
	v_add_co_ci_u32_e64 v22, null, s13, 0, s1
	s_lshl_b32 s12, s0, 2
	s_lshl_b32 s13, s0, 4
	s_mov_b64 s[10:11], 0
	s_branch .LBB30_9
.LBB30_8:                               ;   in Loop: Header=BB30_9 Depth=1
	s_or_b32 exec_lo, exec_lo, s0
	v_add_co_u32 v1, vcc_lo, v1, s13
	v_add_co_ci_u32_e32 v2, vcc_lo, 0, v2, vcc_lo
	v_add_co_u32 v3, vcc_lo, v3, s13
	v_add_co_ci_u32_e32 v4, vcc_lo, 0, v4, vcc_lo
	v_add_co_u32 v5, vcc_lo, v5, s13
	v_add_co_ci_u32_e32 v6, vcc_lo, 0, v6, vcc_lo
	v_add_co_u32 v7, vcc_lo, v7, s13
	v_add_co_ci_u32_e32 v8, vcc_lo, 0, v8, vcc_lo
	v_add_co_u32 v11, vcc_lo, v11, s13
	v_add_co_ci_u32_e32 v12, vcc_lo, 0, v12, vcc_lo
	s_add_u32 s10, s10, s12
	v_add_co_u32 v14, vcc_lo, v14, s13
	s_addc_u32 s11, s11, 0
	v_add_co_ci_u32_e32 v15, vcc_lo, 0, v15, vcc_lo
	v_cmp_ge_i64_e64 s0, s[10:11], s[6:7]
	v_cmp_lt_u64_e64 s1, 0xffff, s[10:11]
	v_add_co_u32 v19, vcc_lo, v19, s13
	v_add_co_ci_u32_e32 v20, vcc_lo, 0, v20, vcc_lo
	v_add_co_u32 v21, vcc_lo, v21, s13
	v_add_co_ci_u32_e32 v22, vcc_lo, 0, v22, vcc_lo
	s_or_b32 s0, s0, s1
	s_delay_alu instid0(SALU_CYCLE_1)
	s_and_b32 vcc_lo, exec_lo, s0
	s_cbranch_vccnz .LBB30_25
.LBB30_9:                               ; =>This Inner Loop Header: Depth=1
	s_waitcnt vmcnt(1)
	v_add_co_u32 v23, s0, v0, s10
	s_waitcnt vmcnt(0)
	v_add_co_ci_u32_e64 v24, null, 0, s11, s0
	s_delay_alu instid0(VALU_DEP_1)
	v_cmp_gt_u64_e32 vcc_lo, s[8:9], v[23:24]
	v_dual_mov_b32 v23, 0 :: v_dual_mov_b32 v24, 0
	s_and_saveexec_b32 s1, vcc_lo
	s_cbranch_execz .LBB30_11
; %bb.10:                               ;   in Loop: Header=BB30_9 Depth=1
	v_add_co_u32 v23, s0, v1, s4
	s_delay_alu instid0(VALU_DEP_1) | instskip(SKIP_1) | instid1(VALU_DEP_1)
	v_add_co_ci_u32_e64 v24, s0, s5, v2, s0
	v_add_co_u32 v25, s0, v3, s4
	v_add_co_ci_u32_e64 v26, s0, s5, v4, s0
	global_load_b32 v23, v[23:24], off
	global_load_b32 v24, v[25:26], off
.LBB30_11:                              ;   in Loop: Header=BB30_9 Depth=1
	s_or_b32 exec_lo, exec_lo, s1
	v_add_co_u32 v26, s0, v13, s10
	s_delay_alu instid0(VALU_DEP_1) | instskip(SKIP_1) | instid1(VALU_DEP_2)
	v_add_co_ci_u32_e64 v27, s0, s11, v16, s0
	v_mov_b32_e32 v25, 0
	v_cmp_gt_u64_e64 s0, s[8:9], v[26:27]
	v_dual_mov_b32 v26, 0 :: v_dual_mov_b32 v27, 0
	s_delay_alu instid0(VALU_DEP_2)
	s_and_saveexec_b32 s2, s0
	s_cbranch_execz .LBB30_13
; %bb.12:                               ;   in Loop: Header=BB30_9 Depth=1
	v_add_co_u32 v26, s1, v19, s4
	s_delay_alu instid0(VALU_DEP_1) | instskip(SKIP_1) | instid1(VALU_DEP_1)
	v_add_co_ci_u32_e64 v27, s1, s5, v20, s1
	v_add_co_u32 v28, s1, v21, s4
	v_add_co_ci_u32_e64 v29, s1, s5, v22, s1
	global_load_b32 v26, v[26:27], off
	global_load_b32 v27, v[28:29], off
.LBB30_13:                              ;   in Loop: Header=BB30_9 Depth=1
	s_or_b32 exec_lo, exec_lo, s2
	v_add_co_u32 v28, s1, v17, s10
	s_delay_alu instid0(VALU_DEP_1) | instskip(NEXT) | instid1(VALU_DEP_1)
	v_add_co_ci_u32_e64 v29, s1, s11, v18, s1
	v_cmp_gt_u64_e64 s1, s[8:9], v[28:29]
	v_mov_b32_e32 v28, 0
	s_delay_alu instid0(VALU_DEP_2)
	s_and_saveexec_b32 s3, s1
	s_cbranch_execz .LBB30_15
; %bb.14:                               ;   in Loop: Header=BB30_9 Depth=1
	v_add_co_u32 v28, s2, v11, s4
	s_delay_alu instid0(VALU_DEP_1) | instskip(SKIP_1) | instid1(VALU_DEP_1)
	v_add_co_ci_u32_e64 v29, s2, s5, v12, s2
	v_add_co_u32 v30, s2, v14, s4
	v_add_co_ci_u32_e64 v31, s2, s5, v15, s2
	global_load_b32 v25, v[28:29], off
	global_load_b32 v28, v[30:31], off
.LBB30_15:                              ;   in Loop: Header=BB30_9 Depth=1
	s_or_b32 exec_lo, exec_lo, s3
	v_add_co_u32 v29, s2, v9, s10
	s_delay_alu instid0(VALU_DEP_1) | instskip(NEXT) | instid1(VALU_DEP_1)
	v_add_co_ci_u32_e64 v30, s2, s11, v10, s2
	v_cmp_gt_u64_e64 s2, s[8:9], v[29:30]
	v_dual_mov_b32 v29, 0 :: v_dual_mov_b32 v30, 0
	s_delay_alu instid0(VALU_DEP_2)
	s_and_saveexec_b32 s15, s2
	s_cbranch_execnz .LBB30_20
; %bb.16:                               ;   in Loop: Header=BB30_9 Depth=1
	s_or_b32 exec_lo, exec_lo, s15
	s_and_saveexec_b32 s3, vcc_lo
	s_cbranch_execnz .LBB30_21
.LBB30_17:                              ;   in Loop: Header=BB30_9 Depth=1
	s_or_b32 exec_lo, exec_lo, s3
	s_and_saveexec_b32 s3, s0
	s_cbranch_execnz .LBB30_22
.LBB30_18:                              ;   in Loop: Header=BB30_9 Depth=1
	s_or_b32 exec_lo, exec_lo, s3
	s_and_saveexec_b32 s0, s1
	s_cbranch_execnz .LBB30_23
.LBB30_19:                              ;   in Loop: Header=BB30_9 Depth=1
	s_or_b32 exec_lo, exec_lo, s0
	s_and_saveexec_b32 s0, s2
	s_cbranch_execz .LBB30_8
	s_branch .LBB30_24
.LBB30_20:                              ;   in Loop: Header=BB30_9 Depth=1
	v_add_co_u32 v29, s3, v5, s4
	s_delay_alu instid0(VALU_DEP_1) | instskip(SKIP_1) | instid1(VALU_DEP_1)
	v_add_co_ci_u32_e64 v30, s3, s5, v6, s3
	v_add_co_u32 v31, s3, v7, s4
	v_add_co_ci_u32_e64 v32, s3, s5, v8, s3
	global_load_b32 v29, v[29:30], off
	global_load_b32 v30, v[31:32], off
	s_or_b32 exec_lo, exec_lo, s15
	s_and_saveexec_b32 s3, vcc_lo
	s_cbranch_execz .LBB30_17
.LBB30_21:                              ;   in Loop: Header=BB30_9 Depth=1
	v_add_co_u32 v31, vcc_lo, v1, s4
	v_add_co_ci_u32_e32 v32, vcc_lo, s5, v2, vcc_lo
	s_waitcnt vmcnt(0)
	v_fma_f32 v23, -v24, s14, v23
	global_store_b32 v[31:32], v23, off
	s_or_b32 exec_lo, exec_lo, s3
	s_and_saveexec_b32 s3, s0
	s_cbranch_execz .LBB30_18
.LBB30_22:                              ;   in Loop: Header=BB30_9 Depth=1
	s_waitcnt vmcnt(1)
	v_add_co_u32 v23, vcc_lo, v19, s4
	s_waitcnt vmcnt(0)
	v_fma_f32 v26, -v27, s14, v26
	v_add_co_ci_u32_e32 v24, vcc_lo, s5, v20, vcc_lo
	global_store_b32 v[23:24], v26, off
	s_or_b32 exec_lo, exec_lo, s3
	s_and_saveexec_b32 s0, s1
	s_cbranch_execz .LBB30_19
.LBB30_23:                              ;   in Loop: Header=BB30_9 Depth=1
	s_waitcnt vmcnt(1)
	v_add_co_u32 v23, vcc_lo, v11, s4
	s_waitcnt vmcnt(0)
	v_fma_f32 v25, -v28, s14, v25
	v_add_co_ci_u32_e32 v24, vcc_lo, s5, v12, vcc_lo
	global_store_b32 v[23:24], v25, off
	s_or_b32 exec_lo, exec_lo, s0
	s_and_saveexec_b32 s0, s2
	s_cbranch_execz .LBB30_8
.LBB30_24:                              ;   in Loop: Header=BB30_9 Depth=1
	s_waitcnt vmcnt(1)
	v_add_co_u32 v23, vcc_lo, v5, s4
	s_waitcnt vmcnt(0)
	v_fma_f32 v25, -v30, s14, v29
	v_add_co_ci_u32_e32 v24, vcc_lo, s5, v6, vcc_lo
	global_store_b32 v[23:24], v25, off
	s_branch .LBB30_8
.LBB30_25:
	s_nop 0
	s_sendmsg sendmsg(MSG_DEALLOC_VGPRS)
	s_endpgm
	.section	.rodata,"a",@progbits
	.p2align	6, 0x0
	.amdhsa_kernel _ZN2at6native12_GLOBAL__N_125multi_tensor_apply_kernelINS1_18TensorListMetadataILi2EEENS1_24BinaryOpListAlphaFunctorIfLi2ELi2ELi0EEEJSt5minusIfEfEEEvT_T0_DpT1_
		.amdhsa_group_segment_fixed_size 0
		.amdhsa_private_segment_fixed_size 0
		.amdhsa_kernarg_size 3408
		.amdhsa_user_sgpr_count 15
		.amdhsa_user_sgpr_dispatch_ptr 0
		.amdhsa_user_sgpr_queue_ptr 0
		.amdhsa_user_sgpr_kernarg_segment_ptr 1
		.amdhsa_user_sgpr_dispatch_id 0
		.amdhsa_user_sgpr_private_segment_size 0
		.amdhsa_wavefront_size32 1
		.amdhsa_uses_dynamic_stack 0
		.amdhsa_enable_private_segment 0
		.amdhsa_system_sgpr_workgroup_id_x 1
		.amdhsa_system_sgpr_workgroup_id_y 0
		.amdhsa_system_sgpr_workgroup_id_z 0
		.amdhsa_system_sgpr_workgroup_info 0
		.amdhsa_system_vgpr_workitem_id 0
		.amdhsa_next_free_vgpr 33
		.amdhsa_next_free_sgpr 24
		.amdhsa_reserve_vcc 1
		.amdhsa_float_round_mode_32 0
		.amdhsa_float_round_mode_16_64 0
		.amdhsa_float_denorm_mode_32 3
		.amdhsa_float_denorm_mode_16_64 3
		.amdhsa_dx10_clamp 1
		.amdhsa_ieee_mode 1
		.amdhsa_fp16_overflow 0
		.amdhsa_workgroup_processor_mode 1
		.amdhsa_memory_ordered 1
		.amdhsa_forward_progress 0
		.amdhsa_shared_vgpr_count 0
		.amdhsa_exception_fp_ieee_invalid_op 0
		.amdhsa_exception_fp_denorm_src 0
		.amdhsa_exception_fp_ieee_div_zero 0
		.amdhsa_exception_fp_ieee_overflow 0
		.amdhsa_exception_fp_ieee_underflow 0
		.amdhsa_exception_fp_ieee_inexact 0
		.amdhsa_exception_int_div_zero 0
	.end_amdhsa_kernel
	.section	.text._ZN2at6native12_GLOBAL__N_125multi_tensor_apply_kernelINS1_18TensorListMetadataILi2EEENS1_24BinaryOpListAlphaFunctorIfLi2ELi2ELi0EEEJSt5minusIfEfEEEvT_T0_DpT1_,"axG",@progbits,_ZN2at6native12_GLOBAL__N_125multi_tensor_apply_kernelINS1_18TensorListMetadataILi2EEENS1_24BinaryOpListAlphaFunctorIfLi2ELi2ELi0EEEJSt5minusIfEfEEEvT_T0_DpT1_,comdat
.Lfunc_end30:
	.size	_ZN2at6native12_GLOBAL__N_125multi_tensor_apply_kernelINS1_18TensorListMetadataILi2EEENS1_24BinaryOpListAlphaFunctorIfLi2ELi2ELi0EEEJSt5minusIfEfEEEvT_T0_DpT1_, .Lfunc_end30-_ZN2at6native12_GLOBAL__N_125multi_tensor_apply_kernelINS1_18TensorListMetadataILi2EEENS1_24BinaryOpListAlphaFunctorIfLi2ELi2ELi0EEEJSt5minusIfEfEEEvT_T0_DpT1_
                                        ; -- End function
	.section	.AMDGPU.csdata,"",@progbits
; Kernel info:
; codeLenInByte = 1576
; NumSgprs: 26
; NumVgprs: 33
; ScratchSize: 0
; MemoryBound: 0
; FloatMode: 240
; IeeeMode: 1
; LDSByteSize: 0 bytes/workgroup (compile time only)
; SGPRBlocks: 3
; VGPRBlocks: 4
; NumSGPRsForWavesPerEU: 26
; NumVGPRsForWavesPerEU: 33
; Occupancy: 16
; WaveLimiterHint : 0
; COMPUTE_PGM_RSRC2:SCRATCH_EN: 0
; COMPUTE_PGM_RSRC2:USER_SGPR: 15
; COMPUTE_PGM_RSRC2:TRAP_HANDLER: 0
; COMPUTE_PGM_RSRC2:TGID_X_EN: 1
; COMPUTE_PGM_RSRC2:TGID_Y_EN: 0
; COMPUTE_PGM_RSRC2:TGID_Z_EN: 0
; COMPUTE_PGM_RSRC2:TIDIG_COMP_CNT: 0
	.section	.text._ZN2at6native12_GLOBAL__N_125multi_tensor_apply_kernelINS1_18TensorListMetadataILi2EEENS1_24BinaryOpListAlphaFunctorIN3c107complexIdEELi2ELi2ELi0EEEJSt5minusIS8_ES8_EEEvT_T0_DpT1_,"axG",@progbits,_ZN2at6native12_GLOBAL__N_125multi_tensor_apply_kernelINS1_18TensorListMetadataILi2EEENS1_24BinaryOpListAlphaFunctorIN3c107complexIdEELi2ELi2ELi0EEEJSt5minusIS8_ES8_EEEvT_T0_DpT1_,comdat
	.globl	_ZN2at6native12_GLOBAL__N_125multi_tensor_apply_kernelINS1_18TensorListMetadataILi2EEENS1_24BinaryOpListAlphaFunctorIN3c107complexIdEELi2ELi2ELi0EEEJSt5minusIS8_ES8_EEEvT_T0_DpT1_ ; -- Begin function _ZN2at6native12_GLOBAL__N_125multi_tensor_apply_kernelINS1_18TensorListMetadataILi2EEENS1_24BinaryOpListAlphaFunctorIN3c107complexIdEELi2ELi2ELi0EEEJSt5minusIS8_ES8_EEEvT_T0_DpT1_
	.p2align	8
	.type	_ZN2at6native12_GLOBAL__N_125multi_tensor_apply_kernelINS1_18TensorListMetadataILi2EEENS1_24BinaryOpListAlphaFunctorIN3c107complexIdEELi2ELi2ELi0EEEJSt5minusIS8_ES8_EEEvT_T0_DpT1_,@function
_ZN2at6native12_GLOBAL__N_125multi_tensor_apply_kernelINS1_18TensorListMetadataILi2EEENS1_24BinaryOpListAlphaFunctorIN3c107complexIdEELi2ELi2ELi0EEEJSt5minusIS8_ES8_EEEvT_T0_DpT1_: ; @_ZN2at6native12_GLOBAL__N_125multi_tensor_apply_kernelINS1_18TensorListMetadataILi2EEENS1_24BinaryOpListAlphaFunctorIN3c107complexIdEELi2ELi2ELi0EEEJSt5minusIS8_ES8_EEEvT_T0_DpT1_
; %bb.0:
	v_mov_b32_e32 v1, s15
	s_add_u32 s2, s0, s15
	s_mul_hi_u32 s3, s15, 3
	s_mul_i32 s15, s15, 3
	s_addc_u32 s4, s1, 0
	global_load_u8 v1, v1, s[0:1] offset:1536
	s_add_u32 s2, s2, s15
	s_addc_u32 s3, s4, s3
	s_mov_b32 s21, 0
	s_load_b32 s2, s[2:3], 0x740
	s_mov_b32 s23, s21
	s_mov_b32 s25, s21
	s_waitcnt vmcnt(0)
	v_readfirstlane_b32 s3, v1
	s_delay_alu instid0(VALU_DEP_1)
	s_lshl_b32 s3, s3, 3
	s_clause 0x3
	s_load_b64 s[16:17], s[0:1], s3 offset:0x0
	s_load_b64 s[18:19], s[0:1], s3 offset:0x200
	;; [unrolled: 1-line block ×3, first 2 shown]
	s_load_b128 s[4:7], s[0:1], 0xc50
	s_waitcnt lgkmcnt(0)
	s_ashr_i32 s3, s2, 31
	s_delay_alu instid0(SALU_CYCLE_1) | instskip(NEXT) | instid1(SALU_CYCLE_1)
	s_lshl_b64 s[8:9], s[2:3], 20
	s_add_u32 s12, s16, s8
	s_addc_u32 s13, s17, s9
	s_add_u32 s14, s18, s8
	s_addc_u32 s15, s19, s9
	s_and_b32 s22, s12, 63
	s_and_b32 s24, s10, 3
	;; [unrolled: 1-line block ×3, first 2 shown]
	s_or_b64 s[22:23], s[22:23], s[24:25]
	s_lshl_b64 s[2:3], s[2:3], 16
	s_or_b64 s[20:21], s[20:21], s[22:23]
	s_sub_u32 s10, s10, s2
	s_subb_u32 s11, s11, s3
	s_cmp_eq_u64 s[20:21], 0
	s_mov_b32 s2, -1
	s_cbranch_scc0 .LBB31_5
; %bb.1:
	v_dual_mov_b32 v2, 0 :: v_dual_lshlrev_b32 v1, 2, v0
	s_mov_b32 s20, exec_lo
	s_delay_alu instid0(VALU_DEP_1)
	v_cmpx_gt_i64_e64 s[10:11], v[1:2]
	s_cbranch_execz .LBB31_4
; %bb.2:
	s_load_b32 s2, s[0:1], 0xc6c
	v_lshlrev_b32_e32 v3, 6, v0
	s_mov_b32 s21, 0
	s_waitcnt lgkmcnt(0)
	s_and_b32 s2, s2, 0xffff
	s_delay_alu instid0(SALU_CYCLE_1)
	v_add_lshl_u32 v1, v0, s2, 2
	s_lshl_b32 s22, s2, 2
	s_lshl_b32 s23, s2, 6
.LBB31_3:                               ; =>This Inner Loop Header: Depth=1
	v_add_co_u32 v16, s2, s14, v3
	s_delay_alu instid0(VALU_DEP_1) | instskip(SKIP_1) | instid1(VALU_DEP_1)
	v_add_co_ci_u32_e64 v17, null, s15, 0, s2
	v_add_co_u32 v36, s2, s12, v3
	v_add_co_ci_u32_e64 v37, null, s13, 0, s2
	s_clause 0x3
	global_load_b128 v[4:7], v[16:17], off
	global_load_b128 v[8:11], v[16:17], off offset:16
	global_load_b128 v[12:15], v[16:17], off offset:32
	;; [unrolled: 1-line block ×3, first 2 shown]
	s_clause 0x3
	global_load_b128 v[20:23], v[36:37], off
	global_load_b128 v[24:27], v[36:37], off offset:16
	global_load_b128 v[28:31], v[36:37], off offset:32
	;; [unrolled: 1-line block ×3, first 2 shown]
	v_cmp_le_i64_e32 vcc_lo, s[10:11], v[1:2]
	v_cmp_lt_u64_e64 s2, 0xffff, v[1:2]
	v_add_co_u32 v1, s3, v1, s22
	s_delay_alu instid0(VALU_DEP_1) | instskip(NEXT) | instid1(VALU_DEP_3)
	v_add_co_ci_u32_e64 v2, s3, 0, v2, s3
	s_or_b32 s2, vcc_lo, s2
	s_add_u32 s12, s12, s23
	s_addc_u32 s13, s13, 0
	s_add_u32 s14, s14, s23
	s_addc_u32 s15, s15, 0
	s_and_b32 s2, exec_lo, s2
	s_delay_alu instid0(SALU_CYCLE_1)
	s_or_b32 s21, s2, s21
	s_waitcnt vmcnt(7)
	v_mul_f64 v[38:39], s[6:7], v[6:7]
	v_mul_f64 v[6:7], s[4:5], v[6:7]
	s_waitcnt vmcnt(6)
	v_mul_f64 v[40:41], s[6:7], v[10:11]
	v_mul_f64 v[10:11], s[4:5], v[10:11]
	;; [unrolled: 3-line block ×4, first 2 shown]
	v_fma_f64 v[38:39], s[4:5], v[4:5], -v[38:39]
	v_fma_f64 v[6:7], s[6:7], v[4:5], v[6:7]
	v_fma_f64 v[40:41], s[4:5], v[8:9], -v[40:41]
	v_fma_f64 v[10:11], s[6:7], v[8:9], v[10:11]
	v_fma_f64 v[42:43], s[4:5], v[12:13], -v[42:43]
	v_fma_f64 v[14:15], s[6:7], v[12:13], v[14:15]
	v_fma_f64 v[44:45], s[4:5], v[16:17], -v[44:45]
	v_fma_f64 v[18:19], s[6:7], v[16:17], v[18:19]
	s_waitcnt vmcnt(3)
	v_add_f64 v[4:5], v[20:21], -v[38:39]
	v_add_f64 v[6:7], v[22:23], -v[6:7]
	s_waitcnt vmcnt(2)
	v_add_f64 v[8:9], v[24:25], -v[40:41]
	v_add_f64 v[10:11], v[26:27], -v[10:11]
	;; [unrolled: 3-line block ×4, first 2 shown]
	s_clause 0x3
	global_store_b128 v[36:37], v[4:7], off
	global_store_b128 v[36:37], v[8:11], off offset:16
	global_store_b128 v[36:37], v[12:15], off offset:32
	;; [unrolled: 1-line block ×3, first 2 shown]
	s_and_not1_b32 exec_lo, exec_lo, s21
	s_cbranch_execnz .LBB31_3
.LBB31_4:
	s_or_b32 exec_lo, exec_lo, s20
	s_mov_b32 s2, 0
.LBB31_5:
	s_delay_alu instid0(SALU_CYCLE_1)
	s_and_not1_b32 vcc_lo, exec_lo, s2
	s_cbranch_vccnz .LBB31_25
; %bb.6:
	v_cmp_lt_i64_e64 s2, s[10:11], 1
	s_delay_alu instid0(VALU_DEP_1)
	s_and_b32 vcc_lo, exec_lo, s2
	s_cbranch_vccnz .LBB31_25
; %bb.7:
	s_load_b32 s0, s[0:1], 0xc6c
	v_mov_b32_e32 v1, 0
	v_lshl_or_b32 v2, v0, 4, 8
	v_cmp_gt_u64_e64 s1, 0x10000, s[10:11]
	s_mov_b32 s13, 0
	s_delay_alu instid0(VALU_DEP_3) | instskip(NEXT) | instid1(VALU_DEP_3)
	v_mov_b32_e32 v3, v1
	v_add_co_u32 v34, s2, s18, v2
	s_delay_alu instid0(VALU_DEP_1) | instskip(SKIP_1) | instid1(VALU_DEP_1)
	v_add_co_ci_u32_e64 v35, null, s19, 0, s2
	v_add_co_u32 v36, s2, s16, v2
	v_add_co_ci_u32_e64 v37, null, s17, 0, s2
	s_waitcnt lgkmcnt(0)
	s_and_b32 s20, s0, 0xffff
	s_and_b32 s0, s1, exec_lo
	v_add_lshl_u32 v6, v0, s20, 4
	v_mad_u64_u32 v[4:5], null, s20, 48, v[2:3]
	s_cselect_b32 s15, s11, 0
	s_cselect_b32 s14, s10, 0x10000
	s_delay_alu instid0(VALU_DEP_2) | instskip(NEXT) | instid1(VALU_DEP_1)
	v_add_co_u32 v38, s0, s16, v6
	v_add_co_ci_u32_e64 v39, null, s17, 0, s0
	v_add_co_u32 v42, s0, s18, v6
	s_delay_alu instid0(VALU_DEP_1)
	v_add_co_ci_u32_e64 v43, null, s19, 0, s0
	s_lshl_b32 s0, s20, 5
	v_add_co_u32 v40, vcc_lo, s18, v4
	v_add_co_u32 v2, s0, v2, s0
	v_add_co_ci_u32_e32 v41, vcc_lo, s19, v5, vcc_lo
	v_add_co_ci_u32_e64 v3, null, 0, 0, s0
	v_add_co_u32 v44, vcc_lo, s16, v4
	v_add_co_ci_u32_e32 v45, vcc_lo, s17, v5, vcc_lo
	v_add_co_u32 v46, vcc_lo, s18, v2
	s_delay_alu instid0(VALU_DEP_4)
	v_add_co_ci_u32_e32 v47, vcc_lo, s19, v3, vcc_lo
	v_add_co_u32 v48, vcc_lo, s16, v2
	v_add_co_ci_u32_e32 v49, vcc_lo, s17, v3, vcc_lo
	s_lshl_b32 s12, s20, 2
	s_lshl_b32 s21, s20, 1
	s_mul_i32 s22, s20, 3
	s_lshl_b32 s18, s20, 6
	s_mov_b64 s[16:17], s[12:13]
	s_branch .LBB31_9
.LBB31_8:                               ;   in Loop: Header=BB31_9 Depth=1
	s_or_b32 exec_lo, exec_lo, s0
	v_add_co_u32 v0, vcc_lo, v0, s12
	v_add_co_ci_u32_e32 v1, vcc_lo, 0, v1, vcc_lo
	v_add_co_u32 v34, vcc_lo, v34, s18
	v_add_co_ci_u32_e32 v35, vcc_lo, 0, v35, vcc_lo
	;; [unrolled: 2-line block ×7, first 2 shown]
	v_cmp_ge_i64_e64 s0, s[16:17], s[10:11]
	v_cmp_lt_u64_e64 s1, 0xffff, s[16:17]
	v_add_co_u32 v46, vcc_lo, v46, s18
	v_add_co_ci_u32_e32 v47, vcc_lo, 0, v47, vcc_lo
	v_add_co_u32 v48, vcc_lo, v48, s18
	v_add_co_ci_u32_e32 v49, vcc_lo, 0, v49, vcc_lo
	s_or_b32 s0, s0, s1
	s_add_u32 s16, s16, s12
	s_addc_u32 s17, s17, 0
	s_and_b32 vcc_lo, exec_lo, s0
	s_cbranch_vccnz .LBB31_25
.LBB31_9:                               ; =>This Inner Loop Header: Depth=1
	s_waitcnt vmcnt(0)
	v_mov_b32_e32 v4, 0
	v_mov_b32_e32 v5, 0
	v_cmp_gt_u64_e32 vcc_lo, s[14:15], v[0:1]
	s_delay_alu instid0(VALU_DEP_2)
	v_dual_mov_b32 v13, v5 :: v_dual_mov_b32 v12, v4
	v_dual_mov_b32 v11, v5 :: v_dual_mov_b32 v10, v4
	;; [unrolled: 1-line block ×4, first 2 shown]
	s_and_saveexec_b32 s1, vcc_lo
	s_cbranch_execz .LBB31_11
; %bb.10:                               ;   in Loop: Header=BB31_9 Depth=1
	v_add_co_u32 v2, s0, v36, s8
	s_delay_alu instid0(VALU_DEP_1) | instskip(SKIP_1) | instid1(VALU_DEP_1)
	v_add_co_ci_u32_e64 v3, s0, s9, v37, s0
	v_add_co_u32 v10, s0, v34, s8
	v_add_co_ci_u32_e64 v11, s0, s9, v35, s0
	global_load_b128 v[6:9], v[2:3], off offset:-8
	global_load_b128 v[10:13], v[10:11], off offset:-8
.LBB31_11:                              ;   in Loop: Header=BB31_9 Depth=1
	s_or_b32 exec_lo, exec_lo, s1
	v_add_co_u32 v14, s0, s20, v0
	s_delay_alu instid0(VALU_DEP_1) | instskip(SKIP_2) | instid1(VALU_DEP_3)
	v_add_co_ci_u32_e64 v15, s0, 0, v1, s0
	v_dual_mov_b32 v2, v4 :: v_dual_mov_b32 v3, v5
	v_dual_mov_b32 v17, v5 :: v_dual_mov_b32 v16, v4
	v_cmp_gt_u64_e64 s0, s[14:15], v[14:15]
	v_dual_mov_b32 v15, v5 :: v_dual_mov_b32 v14, v4
	s_delay_alu instid0(VALU_DEP_2)
	s_and_saveexec_b32 s2, s0
	s_cbranch_execz .LBB31_13
; %bb.12:                               ;   in Loop: Header=BB31_9 Depth=1
	v_add_co_u32 v2, s1, v38, s8
	s_delay_alu instid0(VALU_DEP_1) | instskip(SKIP_1) | instid1(VALU_DEP_1)
	v_add_co_ci_u32_e64 v3, s1, s9, v39, s1
	v_add_co_u32 v4, s1, v42, s8
	v_add_co_ci_u32_e64 v5, s1, s9, v43, s1
	global_load_b128 v[14:17], v[2:3], off
	global_load_b128 v[2:5], v[4:5], off
.LBB31_13:                              ;   in Loop: Header=BB31_9 Depth=1
	s_or_b32 exec_lo, exec_lo, s2
	v_add_co_u32 v18, s1, s21, v0
	s_delay_alu instid0(VALU_DEP_1) | instskip(SKIP_2) | instid1(VALU_DEP_3)
	v_add_co_ci_u32_e64 v19, s1, 0, v1, s1
	v_mov_b32_e32 v20, 0
	v_mov_b32_e32 v21, 0
	v_cmp_gt_u64_e64 s1, s[14:15], v[18:19]
	s_delay_alu instid0(VALU_DEP_2)
	v_dual_mov_b32 v29, v21 :: v_dual_mov_b32 v28, v20
	v_dual_mov_b32 v27, v21 :: v_dual_mov_b32 v26, v20
	;; [unrolled: 1-line block ×4, first 2 shown]
	s_and_saveexec_b32 s3, s1
	s_cbranch_execz .LBB31_15
; %bb.14:                               ;   in Loop: Header=BB31_9 Depth=1
	v_add_co_u32 v18, s2, v48, s8
	s_delay_alu instid0(VALU_DEP_1) | instskip(SKIP_1) | instid1(VALU_DEP_1)
	v_add_co_ci_u32_e64 v19, s2, s9, v49, s2
	v_add_co_u32 v26, s2, v46, s8
	v_add_co_ci_u32_e64 v27, s2, s9, v47, s2
	global_load_b128 v[22:25], v[18:19], off offset:-8
	global_load_b128 v[26:29], v[26:27], off offset:-8
.LBB31_15:                              ;   in Loop: Header=BB31_9 Depth=1
	s_or_b32 exec_lo, exec_lo, s3
	v_add_co_u32 v30, s2, s22, v0
	s_delay_alu instid0(VALU_DEP_1) | instskip(SKIP_2) | instid1(VALU_DEP_3)
	v_add_co_ci_u32_e64 v31, s2, 0, v1, s2
	v_dual_mov_b32 v18, v20 :: v_dual_mov_b32 v19, v21
	v_dual_mov_b32 v33, v21 :: v_dual_mov_b32 v32, v20
	v_cmp_gt_u64_e64 s2, s[14:15], v[30:31]
	v_dual_mov_b32 v31, v21 :: v_dual_mov_b32 v30, v20
	s_delay_alu instid0(VALU_DEP_2)
	s_and_saveexec_b32 s13, s2
	s_cbranch_execnz .LBB31_20
; %bb.16:                               ;   in Loop: Header=BB31_9 Depth=1
	s_or_b32 exec_lo, exec_lo, s13
	s_and_saveexec_b32 s3, vcc_lo
	s_cbranch_execnz .LBB31_21
.LBB31_17:                              ;   in Loop: Header=BB31_9 Depth=1
	s_or_b32 exec_lo, exec_lo, s3
	s_and_saveexec_b32 s3, s0
	s_cbranch_execnz .LBB31_22
.LBB31_18:                              ;   in Loop: Header=BB31_9 Depth=1
	s_or_b32 exec_lo, exec_lo, s3
	s_and_saveexec_b32 s0, s1
	s_cbranch_execnz .LBB31_23
.LBB31_19:                              ;   in Loop: Header=BB31_9 Depth=1
	s_or_b32 exec_lo, exec_lo, s0
	s_and_saveexec_b32 s0, s2
	s_cbranch_execz .LBB31_8
	s_branch .LBB31_24
.LBB31_20:                              ;   in Loop: Header=BB31_9 Depth=1
	v_add_co_u32 v18, s3, v44, s8
	s_delay_alu instid0(VALU_DEP_1) | instskip(SKIP_1) | instid1(VALU_DEP_1)
	v_add_co_ci_u32_e64 v19, s3, s9, v45, s3
	v_add_co_u32 v20, s3, v40, s8
	v_add_co_ci_u32_e64 v21, s3, s9, v41, s3
	global_load_b128 v[30:33], v[18:19], off offset:-8
	global_load_b128 v[18:21], v[20:21], off offset:-8
	s_or_b32 exec_lo, exec_lo, s13
	s_and_saveexec_b32 s3, vcc_lo
	s_cbranch_execz .LBB31_17
.LBB31_21:                              ;   in Loop: Header=BB31_9 Depth=1
	s_waitcnt vmcnt(0)
	v_mul_f64 v[50:51], s[6:7], v[10:11]
	v_mul_f64 v[52:53], s[6:7], v[12:13]
	s_delay_alu instid0(VALU_DEP_2) | instskip(NEXT) | instid1(VALU_DEP_2)
	v_fma_f64 v[12:13], s[4:5], v[12:13], v[50:51]
	v_fma_f64 v[10:11], s[4:5], v[10:11], -v[52:53]
	s_delay_alu instid0(VALU_DEP_2) | instskip(NEXT) | instid1(VALU_DEP_2)
	v_add_f64 v[8:9], v[8:9], -v[12:13]
	v_add_f64 v[6:7], v[6:7], -v[10:11]
	v_add_co_u32 v10, vcc_lo, v36, s8
	v_add_co_ci_u32_e32 v11, vcc_lo, s9, v37, vcc_lo
	global_store_b128 v[10:11], v[6:9], off offset:-8
	s_or_b32 exec_lo, exec_lo, s3
	s_and_saveexec_b32 s3, s0
	s_cbranch_execz .LBB31_18
.LBB31_22:                              ;   in Loop: Header=BB31_9 Depth=1
	s_waitcnt vmcnt(0)
	v_mul_f64 v[6:7], s[6:7], v[4:5]
	v_mul_f64 v[8:9], s[6:7], v[2:3]
	s_delay_alu instid0(VALU_DEP_2) | instskip(NEXT) | instid1(VALU_DEP_2)
	v_fma_f64 v[2:3], s[4:5], v[2:3], -v[6:7]
	v_fma_f64 v[4:5], s[4:5], v[4:5], v[8:9]
	v_add_co_u32 v6, vcc_lo, v38, s8
	v_add_co_ci_u32_e32 v7, vcc_lo, s9, v39, vcc_lo
	s_delay_alu instid0(VALU_DEP_4) | instskip(NEXT) | instid1(VALU_DEP_4)
	v_add_f64 v[2:3], v[14:15], -v[2:3]
	v_add_f64 v[4:5], v[16:17], -v[4:5]
	global_store_b128 v[6:7], v[2:5], off
	s_or_b32 exec_lo, exec_lo, s3
	s_and_saveexec_b32 s0, s1
	s_cbranch_execz .LBB31_19
.LBB31_23:                              ;   in Loop: Header=BB31_9 Depth=1
	s_waitcnt vmcnt(0)
	v_mul_f64 v[2:3], s[6:7], v[28:29]
	v_mul_f64 v[4:5], s[6:7], v[26:27]
	v_add_co_u32 v6, vcc_lo, v48, s8
	v_add_co_ci_u32_e32 v7, vcc_lo, s9, v49, vcc_lo
	s_delay_alu instid0(VALU_DEP_4) | instskip(NEXT) | instid1(VALU_DEP_4)
	v_fma_f64 v[2:3], s[4:5], v[26:27], -v[2:3]
	v_fma_f64 v[4:5], s[4:5], v[28:29], v[4:5]
	s_delay_alu instid0(VALU_DEP_2) | instskip(NEXT) | instid1(VALU_DEP_2)
	v_add_f64 v[2:3], v[22:23], -v[2:3]
	v_add_f64 v[4:5], v[24:25], -v[4:5]
	global_store_b128 v[6:7], v[2:5], off offset:-8
	s_or_b32 exec_lo, exec_lo, s0
	s_and_saveexec_b32 s0, s2
	s_cbranch_execz .LBB31_8
.LBB31_24:                              ;   in Loop: Header=BB31_9 Depth=1
	s_waitcnt vmcnt(0)
	v_mul_f64 v[2:3], s[6:7], v[20:21]
	v_mul_f64 v[4:5], s[6:7], v[18:19]
	v_add_co_u32 v6, vcc_lo, v44, s8
	v_add_co_ci_u32_e32 v7, vcc_lo, s9, v45, vcc_lo
	s_delay_alu instid0(VALU_DEP_4) | instskip(NEXT) | instid1(VALU_DEP_4)
	v_fma_f64 v[2:3], s[4:5], v[18:19], -v[2:3]
	v_fma_f64 v[4:5], s[4:5], v[20:21], v[4:5]
	s_delay_alu instid0(VALU_DEP_2) | instskip(NEXT) | instid1(VALU_DEP_2)
	v_add_f64 v[2:3], v[30:31], -v[2:3]
	v_add_f64 v[4:5], v[32:33], -v[4:5]
	global_store_b128 v[6:7], v[2:5], off offset:-8
	s_branch .LBB31_8
.LBB31_25:
	s_nop 0
	s_sendmsg sendmsg(MSG_DEALLOC_VGPRS)
	s_endpgm
	.section	.rodata,"a",@progbits
	.p2align	6, 0x0
	.amdhsa_kernel _ZN2at6native12_GLOBAL__N_125multi_tensor_apply_kernelINS1_18TensorListMetadataILi2EEENS1_24BinaryOpListAlphaFunctorIN3c107complexIdEELi2ELi2ELi0EEEJSt5minusIS8_ES8_EEEvT_T0_DpT1_
		.amdhsa_group_segment_fixed_size 0
		.amdhsa_private_segment_fixed_size 0
		.amdhsa_kernarg_size 3424
		.amdhsa_user_sgpr_count 15
		.amdhsa_user_sgpr_dispatch_ptr 0
		.amdhsa_user_sgpr_queue_ptr 0
		.amdhsa_user_sgpr_kernarg_segment_ptr 1
		.amdhsa_user_sgpr_dispatch_id 0
		.amdhsa_user_sgpr_private_segment_size 0
		.amdhsa_wavefront_size32 1
		.amdhsa_uses_dynamic_stack 0
		.amdhsa_enable_private_segment 0
		.amdhsa_system_sgpr_workgroup_id_x 1
		.amdhsa_system_sgpr_workgroup_id_y 0
		.amdhsa_system_sgpr_workgroup_id_z 0
		.amdhsa_system_sgpr_workgroup_info 0
		.amdhsa_system_vgpr_workitem_id 0
		.amdhsa_next_free_vgpr 54
		.amdhsa_next_free_sgpr 26
		.amdhsa_reserve_vcc 1
		.amdhsa_float_round_mode_32 0
		.amdhsa_float_round_mode_16_64 0
		.amdhsa_float_denorm_mode_32 3
		.amdhsa_float_denorm_mode_16_64 3
		.amdhsa_dx10_clamp 1
		.amdhsa_ieee_mode 1
		.amdhsa_fp16_overflow 0
		.amdhsa_workgroup_processor_mode 1
		.amdhsa_memory_ordered 1
		.amdhsa_forward_progress 0
		.amdhsa_shared_vgpr_count 0
		.amdhsa_exception_fp_ieee_invalid_op 0
		.amdhsa_exception_fp_denorm_src 0
		.amdhsa_exception_fp_ieee_div_zero 0
		.amdhsa_exception_fp_ieee_overflow 0
		.amdhsa_exception_fp_ieee_underflow 0
		.amdhsa_exception_fp_ieee_inexact 0
		.amdhsa_exception_int_div_zero 0
	.end_amdhsa_kernel
	.section	.text._ZN2at6native12_GLOBAL__N_125multi_tensor_apply_kernelINS1_18TensorListMetadataILi2EEENS1_24BinaryOpListAlphaFunctorIN3c107complexIdEELi2ELi2ELi0EEEJSt5minusIS8_ES8_EEEvT_T0_DpT1_,"axG",@progbits,_ZN2at6native12_GLOBAL__N_125multi_tensor_apply_kernelINS1_18TensorListMetadataILi2EEENS1_24BinaryOpListAlphaFunctorIN3c107complexIdEELi2ELi2ELi0EEEJSt5minusIS8_ES8_EEEvT_T0_DpT1_,comdat
.Lfunc_end31:
	.size	_ZN2at6native12_GLOBAL__N_125multi_tensor_apply_kernelINS1_18TensorListMetadataILi2EEENS1_24BinaryOpListAlphaFunctorIN3c107complexIdEELi2ELi2ELi0EEEJSt5minusIS8_ES8_EEEvT_T0_DpT1_, .Lfunc_end31-_ZN2at6native12_GLOBAL__N_125multi_tensor_apply_kernelINS1_18TensorListMetadataILi2EEENS1_24BinaryOpListAlphaFunctorIN3c107complexIdEELi2ELi2ELi0EEEJSt5minusIS8_ES8_EEEvT_T0_DpT1_
                                        ; -- End function
	.section	.AMDGPU.csdata,"",@progbits
; Kernel info:
; codeLenInByte = 2080
; NumSgprs: 28
; NumVgprs: 54
; ScratchSize: 0
; MemoryBound: 1
; FloatMode: 240
; IeeeMode: 1
; LDSByteSize: 0 bytes/workgroup (compile time only)
; SGPRBlocks: 3
; VGPRBlocks: 6
; NumSGPRsForWavesPerEU: 28
; NumVGPRsForWavesPerEU: 54
; Occupancy: 16
; WaveLimiterHint : 0
; COMPUTE_PGM_RSRC2:SCRATCH_EN: 0
; COMPUTE_PGM_RSRC2:USER_SGPR: 15
; COMPUTE_PGM_RSRC2:TRAP_HANDLER: 0
; COMPUTE_PGM_RSRC2:TGID_X_EN: 1
; COMPUTE_PGM_RSRC2:TGID_Y_EN: 0
; COMPUTE_PGM_RSRC2:TGID_Z_EN: 0
; COMPUTE_PGM_RSRC2:TIDIG_COMP_CNT: 0
	.section	.text._ZN2at6native12_GLOBAL__N_125multi_tensor_apply_kernelINS1_18TensorListMetadataILi2EEENS1_24BinaryOpListAlphaFunctorIN3c107complexIfEELi2ELi2ELi0EEEJSt5minusIS8_ES8_EEEvT_T0_DpT1_,"axG",@progbits,_ZN2at6native12_GLOBAL__N_125multi_tensor_apply_kernelINS1_18TensorListMetadataILi2EEENS1_24BinaryOpListAlphaFunctorIN3c107complexIfEELi2ELi2ELi0EEEJSt5minusIS8_ES8_EEEvT_T0_DpT1_,comdat
	.globl	_ZN2at6native12_GLOBAL__N_125multi_tensor_apply_kernelINS1_18TensorListMetadataILi2EEENS1_24BinaryOpListAlphaFunctorIN3c107complexIfEELi2ELi2ELi0EEEJSt5minusIS8_ES8_EEEvT_T0_DpT1_ ; -- Begin function _ZN2at6native12_GLOBAL__N_125multi_tensor_apply_kernelINS1_18TensorListMetadataILi2EEENS1_24BinaryOpListAlphaFunctorIN3c107complexIfEELi2ELi2ELi0EEEJSt5minusIS8_ES8_EEEvT_T0_DpT1_
	.p2align	8
	.type	_ZN2at6native12_GLOBAL__N_125multi_tensor_apply_kernelINS1_18TensorListMetadataILi2EEENS1_24BinaryOpListAlphaFunctorIN3c107complexIfEELi2ELi2ELi0EEEJSt5minusIS8_ES8_EEEvT_T0_DpT1_,@function
_ZN2at6native12_GLOBAL__N_125multi_tensor_apply_kernelINS1_18TensorListMetadataILi2EEENS1_24BinaryOpListAlphaFunctorIN3c107complexIfEELi2ELi2ELi0EEEJSt5minusIS8_ES8_EEEvT_T0_DpT1_: ; @_ZN2at6native12_GLOBAL__N_125multi_tensor_apply_kernelINS1_18TensorListMetadataILi2EEENS1_24BinaryOpListAlphaFunctorIN3c107complexIfEELi2ELi2ELi0EEEJSt5minusIS8_ES8_EEEvT_T0_DpT1_
; %bb.0:
	v_mov_b32_e32 v1, s15
	s_add_u32 s2, s0, s15
	s_mul_hi_u32 s3, s15, 3
	s_mul_i32 s15, s15, 3
	s_addc_u32 s4, s1, 0
	global_load_u8 v1, v1, s[0:1] offset:1536
	s_add_u32 s2, s2, s15
	s_addc_u32 s3, s4, s3
	s_mov_b32 s19, 0
	s_load_b32 s2, s[2:3], 0x740
	s_mov_b32 s21, s19
	s_mov_b32 s23, s19
	s_waitcnt vmcnt(0)
	v_readfirstlane_b32 s3, v1
	s_delay_alu instid0(VALU_DEP_1)
	s_lshl_b32 s3, s3, 3
	s_clause 0x3
	s_load_b64 s[14:15], s[0:1], s3 offset:0x0
	s_load_b64 s[16:17], s[0:1], s3 offset:0x200
	s_load_b64 s[8:9], s[0:1], s3 offset:0x400
	s_load_b64 s[4:5], s[0:1], 0xc50
	s_waitcnt lgkmcnt(0)
	s_ashr_i32 s3, s2, 31
	s_delay_alu instid0(SALU_CYCLE_1) | instskip(NEXT) | instid1(SALU_CYCLE_1)
	s_lshl_b64 s[6:7], s[2:3], 19
	s_add_u32 s10, s14, s6
	s_addc_u32 s11, s15, s7
	s_add_u32 s12, s16, s6
	s_addc_u32 s13, s17, s7
	s_and_b32 s20, s10, 31
	s_and_b32 s22, s8, 3
	;; [unrolled: 1-line block ×3, first 2 shown]
	s_or_b64 s[20:21], s[20:21], s[22:23]
	s_lshl_b64 s[2:3], s[2:3], 16
	s_or_b64 s[18:19], s[18:19], s[20:21]
	s_sub_u32 s8, s8, s2
	s_subb_u32 s9, s9, s3
	s_cmp_eq_u64 s[18:19], 0
	s_mov_b32 s2, -1
	s_cbranch_scc0 .LBB32_5
; %bb.1:
	v_dual_mov_b32 v2, 0 :: v_dual_lshlrev_b32 v1, 2, v0
	s_mov_b32 s18, exec_lo
	s_delay_alu instid0(VALU_DEP_1)
	v_cmpx_gt_i64_e64 s[8:9], v[1:2]
	s_cbranch_execz .LBB32_4
; %bb.2:
	s_load_b32 s2, s[0:1], 0xc64
	v_lshlrev_b32_e32 v3, 5, v0
	s_mov_b32 s19, 0
	s_waitcnt lgkmcnt(0)
	s_and_b32 s2, s2, 0xffff
	s_delay_alu instid0(SALU_CYCLE_1)
	v_add_lshl_u32 v1, v0, s2, 2
	s_lshl_b32 s20, s2, 2
	s_lshl_b32 s21, s2, 5
.LBB32_3:                               ; =>This Inner Loop Header: Depth=1
	v_add_co_u32 v8, s2, s12, v3
	s_delay_alu instid0(VALU_DEP_1) | instskip(SKIP_1) | instid1(VALU_DEP_1)
	v_add_co_ci_u32_e64 v9, null, s13, 0, s2
	v_add_co_u32 v20, s2, s10, v3
	v_add_co_ci_u32_e64 v21, null, s11, 0, s2
	s_clause 0x1
	global_load_b128 v[4:7], v[8:9], off
	global_load_b128 v[8:11], v[8:9], off offset:16
	s_clause 0x1
	global_load_b128 v[12:15], v[20:21], off
	global_load_b128 v[16:19], v[20:21], off offset:16
	v_cmp_le_i64_e32 vcc_lo, s[8:9], v[1:2]
	v_cmp_lt_u64_e64 s2, 0xffff, v[1:2]
	v_add_co_u32 v1, s3, v1, s20
	s_delay_alu instid0(VALU_DEP_1) | instskip(NEXT) | instid1(VALU_DEP_3)
	v_add_co_ci_u32_e64 v2, s3, 0, v2, s3
	s_or_b32 s2, vcc_lo, s2
	s_add_u32 s10, s10, s21
	s_addc_u32 s11, s11, 0
	s_add_u32 s12, s12, s21
	s_addc_u32 s13, s13, 0
	s_and_b32 s2, exec_lo, s2
	s_delay_alu instid0(SALU_CYCLE_1) | instskip(SKIP_4) | instid1(VALU_DEP_2)
	s_or_b32 s19, s2, s19
	s_waitcnt vmcnt(3)
	v_dual_mul_f32 v22, s5, v5 :: v_dual_mul_f32 v23, s5, v7
	s_waitcnt vmcnt(2)
	v_dual_mul_f32 v7, s4, v7 :: v_dual_mul_f32 v24, s5, v9
	v_fma_f32 v22, v4, s4, -v22
	s_delay_alu instid0(VALU_DEP_3) | instskip(SKIP_1) | instid1(VALU_DEP_4)
	v_fma_f32 v23, v6, s4, -v23
	v_mul_f32_e32 v9, s4, v9
	v_fma_f32 v24, v8, s4, -v24
	v_mul_f32_e32 v25, s5, v11
	v_mul_f32_e32 v5, s4, v5
	s_waitcnt vmcnt(1)
	v_dual_fmac_f32 v7, s5, v6 :: v_dual_sub_f32 v6, v14, v23
	v_fmac_f32_e32 v9, s5, v8
	s_waitcnt vmcnt(0)
	v_sub_f32_e32 v8, v16, v24
	v_fma_f32 v25, v10, s4, -v25
	v_mul_f32_e32 v11, s4, v11
	v_dual_fmac_f32 v5, s5, v4 :: v_dual_sub_f32 v4, v12, v22
	v_sub_f32_e32 v7, v15, v7
	v_sub_f32_e32 v9, v17, v9
	s_delay_alu instid0(VALU_DEP_4) | instskip(NEXT) | instid1(VALU_DEP_4)
	v_dual_fmac_f32 v11, s5, v10 :: v_dual_sub_f32 v10, v18, v25
	v_sub_f32_e32 v5, v13, v5
	s_delay_alu instid0(VALU_DEP_2)
	v_sub_f32_e32 v11, v19, v11
	s_clause 0x1
	global_store_b128 v[20:21], v[4:7], off
	global_store_b128 v[20:21], v[8:11], off offset:16
	s_and_not1_b32 exec_lo, exec_lo, s19
	s_cbranch_execnz .LBB32_3
.LBB32_4:
	s_or_b32 exec_lo, exec_lo, s18
	s_mov_b32 s2, 0
.LBB32_5:
	s_delay_alu instid0(SALU_CYCLE_1)
	s_and_not1_b32 vcc_lo, exec_lo, s2
	s_cbranch_vccnz .LBB32_25
; %bb.6:
	v_cmp_lt_i64_e64 s2, s[8:9], 1
	s_delay_alu instid0(VALU_DEP_1)
	s_and_b32 vcc_lo, exec_lo, s2
	s_cbranch_vccnz .LBB32_25
; %bb.7:
	s_load_b32 s0, s[0:1], 0xc64
	v_mov_b32_e32 v1, 0
	v_lshl_or_b32 v2, v0, 3, 4
	v_cmp_gt_u64_e64 s1, 0x10000, s[8:9]
	s_mov_b32 s11, 0
	s_delay_alu instid0(VALU_DEP_3) | instskip(NEXT) | instid1(VALU_DEP_3)
	v_mov_b32_e32 v3, v1
	v_add_co_u32 v18, s2, s16, v2
	s_delay_alu instid0(VALU_DEP_1) | instskip(SKIP_1) | instid1(VALU_DEP_1)
	v_add_co_ci_u32_e64 v19, null, s17, 0, s2
	v_add_co_u32 v20, s2, s14, v2
	v_add_co_ci_u32_e64 v21, null, s15, 0, s2
	s_waitcnt lgkmcnt(0)
	s_and_b32 s18, s0, 0xffff
	s_and_b32 s0, s1, exec_lo
	v_add_lshl_u32 v6, v0, s18, 3
	v_mad_u64_u32 v[4:5], null, s18, 24, v[2:3]
	s_cselect_b32 s13, s9, 0
	s_cselect_b32 s12, s8, 0x10000
	s_delay_alu instid0(VALU_DEP_2) | instskip(NEXT) | instid1(VALU_DEP_1)
	v_add_co_u32 v22, s0, s14, v6
	v_add_co_ci_u32_e64 v23, null, s15, 0, s0
	v_add_co_u32 v26, s0, s16, v6
	s_delay_alu instid0(VALU_DEP_1)
	v_add_co_ci_u32_e64 v27, null, s17, 0, s0
	s_lshl_b32 s0, s18, 4
	v_add_co_u32 v24, vcc_lo, s16, v4
	v_add_co_u32 v2, s0, v2, s0
	v_add_co_ci_u32_e32 v25, vcc_lo, s17, v5, vcc_lo
	v_add_co_ci_u32_e64 v3, null, 0, 0, s0
	v_add_co_u32 v28, vcc_lo, s14, v4
	v_add_co_ci_u32_e32 v29, vcc_lo, s15, v5, vcc_lo
	v_add_co_u32 v30, vcc_lo, s16, v2
	s_delay_alu instid0(VALU_DEP_4)
	v_add_co_ci_u32_e32 v31, vcc_lo, s17, v3, vcc_lo
	v_add_co_u32 v32, vcc_lo, s14, v2
	v_add_co_ci_u32_e32 v33, vcc_lo, s15, v3, vcc_lo
	s_lshl_b32 s10, s18, 2
	s_lshl_b32 s19, s18, 1
	s_mul_i32 s20, s18, 3
	s_lshl_b32 s16, s18, 5
	s_mov_b64 s[14:15], s[10:11]
	s_branch .LBB32_9
.LBB32_8:                               ;   in Loop: Header=BB32_9 Depth=1
	s_or_b32 exec_lo, exec_lo, s0
	v_add_co_u32 v0, vcc_lo, v0, s10
	v_add_co_ci_u32_e32 v1, vcc_lo, 0, v1, vcc_lo
	v_add_co_u32 v18, vcc_lo, v18, s16
	v_add_co_ci_u32_e32 v19, vcc_lo, 0, v19, vcc_lo
	v_add_co_u32 v20, vcc_lo, v20, s16
	v_add_co_ci_u32_e32 v21, vcc_lo, 0, v21, vcc_lo
	v_add_co_u32 v22, vcc_lo, v22, s16
	v_add_co_ci_u32_e32 v23, vcc_lo, 0, v23, vcc_lo
	v_add_co_u32 v24, vcc_lo, v24, s16
	v_add_co_ci_u32_e32 v25, vcc_lo, 0, v25, vcc_lo
	v_add_co_u32 v26, vcc_lo, v26, s16
	v_add_co_ci_u32_e32 v27, vcc_lo, 0, v27, vcc_lo
	v_add_co_u32 v28, vcc_lo, v28, s16
	v_add_co_ci_u32_e32 v29, vcc_lo, 0, v29, vcc_lo
	v_cmp_ge_i64_e64 s0, s[14:15], s[8:9]
	v_cmp_lt_u64_e64 s1, 0xffff, s[14:15]
	v_add_co_u32 v30, vcc_lo, v30, s16
	v_add_co_ci_u32_e32 v31, vcc_lo, 0, v31, vcc_lo
	v_add_co_u32 v32, vcc_lo, v32, s16
	v_add_co_ci_u32_e32 v33, vcc_lo, 0, v33, vcc_lo
	s_or_b32 s0, s0, s1
	s_add_u32 s14, s14, s10
	s_addc_u32 s15, s15, 0
	s_and_b32 vcc_lo, exec_lo, s0
	s_cbranch_vccnz .LBB32_25
.LBB32_9:                               ; =>This Inner Loop Header: Depth=1
	v_cmp_gt_u64_e32 vcc_lo, s[12:13], v[0:1]
	s_waitcnt vmcnt(1)
	v_dual_mov_b32 v5, 0 :: v_dual_mov_b32 v4, 0
	s_waitcnt vmcnt(0)
	v_dual_mov_b32 v7, 0 :: v_dual_mov_b32 v6, 0
	s_and_saveexec_b32 s1, vcc_lo
	s_cbranch_execz .LBB32_11
; %bb.10:                               ;   in Loop: Header=BB32_9 Depth=1
	v_add_co_u32 v2, s0, v20, s6
	s_delay_alu instid0(VALU_DEP_1) | instskip(SKIP_1) | instid1(VALU_DEP_1)
	v_add_co_ci_u32_e64 v3, s0, s7, v21, s0
	v_add_co_u32 v6, s0, v18, s6
	v_add_co_ci_u32_e64 v7, s0, s7, v19, s0
	global_load_b64 v[4:5], v[2:3], off offset:-4
	global_load_b64 v[6:7], v[6:7], off offset:-4
.LBB32_11:                              ;   in Loop: Header=BB32_9 Depth=1
	s_or_b32 exec_lo, exec_lo, s1
	v_add_co_u32 v8, s0, s18, v0
	s_delay_alu instid0(VALU_DEP_1) | instskip(SKIP_2) | instid1(VALU_DEP_3)
	v_add_co_ci_u32_e64 v9, s0, 0, v1, s0
	v_mov_b32_e32 v3, 0
	v_dual_mov_b32 v11, 0 :: v_dual_mov_b32 v10, 0
	v_cmp_gt_u64_e64 s0, s[12:13], v[8:9]
	v_dual_mov_b32 v8, 0 :: v_dual_mov_b32 v9, 0
	s_delay_alu instid0(VALU_DEP_2)
	s_and_saveexec_b32 s2, s0
	s_cbranch_execz .LBB32_13
; %bb.12:                               ;   in Loop: Header=BB32_9 Depth=1
	v_add_co_u32 v8, s1, v22, s6
	s_delay_alu instid0(VALU_DEP_1) | instskip(SKIP_1) | instid1(VALU_DEP_1)
	v_add_co_ci_u32_e64 v9, s1, s7, v23, s1
	v_add_co_u32 v10, s1, v26, s6
	v_add_co_ci_u32_e64 v11, s1, s7, v27, s1
	global_load_b64 v[8:9], v[8:9], off
	global_load_b64 v[10:11], v[10:11], off
.LBB32_13:                              ;   in Loop: Header=BB32_9 Depth=1
	s_or_b32 exec_lo, exec_lo, s2
	v_add_co_u32 v12, s1, s19, v0
	s_delay_alu instid0(VALU_DEP_1) | instskip(SKIP_1) | instid1(VALU_DEP_2)
	v_add_co_ci_u32_e64 v13, s1, 0, v1, s1
	v_mov_b32_e32 v2, 0
	v_cmp_gt_u64_e64 s1, s[12:13], v[12:13]
	v_dual_mov_b32 v13, 0 :: v_dual_mov_b32 v12, 0
	s_delay_alu instid0(VALU_DEP_2)
	s_and_saveexec_b32 s3, s1
	s_cbranch_execz .LBB32_15
; %bb.14:                               ;   in Loop: Header=BB32_9 Depth=1
	v_add_co_u32 v2, s2, v32, s6
	s_delay_alu instid0(VALU_DEP_1) | instskip(SKIP_1) | instid1(VALU_DEP_1)
	v_add_co_ci_u32_e64 v3, s2, s7, v33, s2
	v_add_co_u32 v12, s2, v30, s6
	v_add_co_ci_u32_e64 v13, s2, s7, v31, s2
	global_load_b64 v[2:3], v[2:3], off offset:-4
	global_load_b64 v[12:13], v[12:13], off offset:-4
.LBB32_15:                              ;   in Loop: Header=BB32_9 Depth=1
	s_or_b32 exec_lo, exec_lo, s3
	v_add_co_u32 v16, s2, s20, v0
	s_delay_alu instid0(VALU_DEP_1) | instskip(SKIP_1) | instid1(VALU_DEP_2)
	v_add_co_ci_u32_e64 v17, s2, 0, v1, s2
	v_dual_mov_b32 v15, 0 :: v_dual_mov_b32 v14, 0
	v_cmp_gt_u64_e64 s2, s[12:13], v[16:17]
	v_dual_mov_b32 v17, 0 :: v_dual_mov_b32 v16, 0
	s_delay_alu instid0(VALU_DEP_2)
	s_and_saveexec_b32 s11, s2
	s_cbranch_execnz .LBB32_20
; %bb.16:                               ;   in Loop: Header=BB32_9 Depth=1
	s_or_b32 exec_lo, exec_lo, s11
	s_and_saveexec_b32 s3, vcc_lo
	s_cbranch_execnz .LBB32_21
.LBB32_17:                              ;   in Loop: Header=BB32_9 Depth=1
	s_or_b32 exec_lo, exec_lo, s3
	s_and_saveexec_b32 s3, s0
	s_cbranch_execnz .LBB32_22
.LBB32_18:                              ;   in Loop: Header=BB32_9 Depth=1
	s_or_b32 exec_lo, exec_lo, s3
	s_and_saveexec_b32 s0, s1
	s_cbranch_execnz .LBB32_23
.LBB32_19:                              ;   in Loop: Header=BB32_9 Depth=1
	s_or_b32 exec_lo, exec_lo, s0
	s_and_saveexec_b32 s0, s2
	s_cbranch_execz .LBB32_8
	s_branch .LBB32_24
.LBB32_20:                              ;   in Loop: Header=BB32_9 Depth=1
	v_add_co_u32 v14, s3, v28, s6
	s_delay_alu instid0(VALU_DEP_1) | instskip(SKIP_1) | instid1(VALU_DEP_1)
	v_add_co_ci_u32_e64 v15, s3, s7, v29, s3
	v_add_co_u32 v16, s3, v24, s6
	v_add_co_ci_u32_e64 v17, s3, s7, v25, s3
	global_load_b64 v[14:15], v[14:15], off offset:-4
	global_load_b64 v[16:17], v[16:17], off offset:-4
	s_or_b32 exec_lo, exec_lo, s11
	s_and_saveexec_b32 s3, vcc_lo
	s_cbranch_execz .LBB32_17
.LBB32_21:                              ;   in Loop: Header=BB32_9 Depth=1
	s_waitcnt vmcnt(0)
	v_dual_mul_f32 v34, s5, v7 :: v_dual_mul_f32 v35, s5, v6
	s_delay_alu instid0(VALU_DEP_1) | instskip(NEXT) | instid1(VALU_DEP_2)
	v_fma_f32 v34, v6, s4, -v34
	v_fmac_f32_e32 v35, s4, v7
	v_add_co_u32 v6, vcc_lo, v20, s6
	v_add_co_ci_u32_e32 v7, vcc_lo, s7, v21, vcc_lo
	s_delay_alu instid0(VALU_DEP_3)
	v_dual_sub_f32 v4, v4, v34 :: v_dual_sub_f32 v5, v5, v35
	global_store_b64 v[6:7], v[4:5], off offset:-4
	s_or_b32 exec_lo, exec_lo, s3
	s_and_saveexec_b32 s3, s0
	s_cbranch_execz .LBB32_18
.LBB32_22:                              ;   in Loop: Header=BB32_9 Depth=1
	s_waitcnt vmcnt(0)
	v_dual_mul_f32 v4, s5, v11 :: v_dual_mul_f32 v5, s5, v10
	v_add_co_u32 v6, vcc_lo, v22, s6
	v_add_co_ci_u32_e32 v7, vcc_lo, s7, v23, vcc_lo
	s_delay_alu instid0(VALU_DEP_3) | instskip(NEXT) | instid1(VALU_DEP_1)
	v_fma_f32 v4, v10, s4, -v4
	v_dual_fmac_f32 v5, s4, v11 :: v_dual_sub_f32 v4, v8, v4
	s_delay_alu instid0(VALU_DEP_1)
	v_sub_f32_e32 v5, v9, v5
	global_store_b64 v[6:7], v[4:5], off
	s_or_b32 exec_lo, exec_lo, s3
	s_and_saveexec_b32 s0, s1
	s_cbranch_execz .LBB32_19
.LBB32_23:                              ;   in Loop: Header=BB32_9 Depth=1
	s_waitcnt vmcnt(0)
	v_dual_mul_f32 v4, s5, v13 :: v_dual_mul_f32 v5, s5, v12
	s_delay_alu instid0(VALU_DEP_1) | instskip(NEXT) | instid1(VALU_DEP_1)
	v_fma_f32 v4, v12, s4, -v4
	v_dual_fmac_f32 v5, s4, v13 :: v_dual_sub_f32 v2, v2, v4
	v_add_co_u32 v4, vcc_lo, v32, s6
	s_delay_alu instid0(VALU_DEP_2)
	v_sub_f32_e32 v3, v3, v5
	v_add_co_ci_u32_e32 v5, vcc_lo, s7, v33, vcc_lo
	global_store_b64 v[4:5], v[2:3], off offset:-4
	s_or_b32 exec_lo, exec_lo, s0
	s_and_saveexec_b32 s0, s2
	s_cbranch_execz .LBB32_8
.LBB32_24:                              ;   in Loop: Header=BB32_9 Depth=1
	s_waitcnt vmcnt(0)
	v_dual_mul_f32 v2, s5, v17 :: v_dual_mul_f32 v3, s5, v16
	v_add_co_u32 v4, vcc_lo, v28, s6
	v_add_co_ci_u32_e32 v5, vcc_lo, s7, v29, vcc_lo
	s_delay_alu instid0(VALU_DEP_3) | instskip(NEXT) | instid1(VALU_DEP_1)
	v_fma_f32 v2, v16, s4, -v2
	v_dual_fmac_f32 v3, s4, v17 :: v_dual_sub_f32 v2, v14, v2
	s_delay_alu instid0(VALU_DEP_1)
	v_sub_f32_e32 v3, v15, v3
	global_store_b64 v[4:5], v[2:3], off offset:-4
	s_branch .LBB32_8
.LBB32_25:
	s_nop 0
	s_sendmsg sendmsg(MSG_DEALLOC_VGPRS)
	s_endpgm
	.section	.rodata,"a",@progbits
	.p2align	6, 0x0
	.amdhsa_kernel _ZN2at6native12_GLOBAL__N_125multi_tensor_apply_kernelINS1_18TensorListMetadataILi2EEENS1_24BinaryOpListAlphaFunctorIN3c107complexIfEELi2ELi2ELi0EEEJSt5minusIS8_ES8_EEEvT_T0_DpT1_
		.amdhsa_group_segment_fixed_size 0
		.amdhsa_private_segment_fixed_size 0
		.amdhsa_kernarg_size 3416
		.amdhsa_user_sgpr_count 15
		.amdhsa_user_sgpr_dispatch_ptr 0
		.amdhsa_user_sgpr_queue_ptr 0
		.amdhsa_user_sgpr_kernarg_segment_ptr 1
		.amdhsa_user_sgpr_dispatch_id 0
		.amdhsa_user_sgpr_private_segment_size 0
		.amdhsa_wavefront_size32 1
		.amdhsa_uses_dynamic_stack 0
		.amdhsa_enable_private_segment 0
		.amdhsa_system_sgpr_workgroup_id_x 1
		.amdhsa_system_sgpr_workgroup_id_y 0
		.amdhsa_system_sgpr_workgroup_id_z 0
		.amdhsa_system_sgpr_workgroup_info 0
		.amdhsa_system_vgpr_workitem_id 0
		.amdhsa_next_free_vgpr 36
		.amdhsa_next_free_sgpr 24
		.amdhsa_reserve_vcc 1
		.amdhsa_float_round_mode_32 0
		.amdhsa_float_round_mode_16_64 0
		.amdhsa_float_denorm_mode_32 3
		.amdhsa_float_denorm_mode_16_64 3
		.amdhsa_dx10_clamp 1
		.amdhsa_ieee_mode 1
		.amdhsa_fp16_overflow 0
		.amdhsa_workgroup_processor_mode 1
		.amdhsa_memory_ordered 1
		.amdhsa_forward_progress 0
		.amdhsa_shared_vgpr_count 0
		.amdhsa_exception_fp_ieee_invalid_op 0
		.amdhsa_exception_fp_denorm_src 0
		.amdhsa_exception_fp_ieee_div_zero 0
		.amdhsa_exception_fp_ieee_overflow 0
		.amdhsa_exception_fp_ieee_underflow 0
		.amdhsa_exception_fp_ieee_inexact 0
		.amdhsa_exception_int_div_zero 0
	.end_amdhsa_kernel
	.section	.text._ZN2at6native12_GLOBAL__N_125multi_tensor_apply_kernelINS1_18TensorListMetadataILi2EEENS1_24BinaryOpListAlphaFunctorIN3c107complexIfEELi2ELi2ELi0EEEJSt5minusIS8_ES8_EEEvT_T0_DpT1_,"axG",@progbits,_ZN2at6native12_GLOBAL__N_125multi_tensor_apply_kernelINS1_18TensorListMetadataILi2EEENS1_24BinaryOpListAlphaFunctorIN3c107complexIfEELi2ELi2ELi0EEEJSt5minusIS8_ES8_EEEvT_T0_DpT1_,comdat
.Lfunc_end32:
	.size	_ZN2at6native12_GLOBAL__N_125multi_tensor_apply_kernelINS1_18TensorListMetadataILi2EEENS1_24BinaryOpListAlphaFunctorIN3c107complexIfEELi2ELi2ELi0EEEJSt5minusIS8_ES8_EEEvT_T0_DpT1_, .Lfunc_end32-_ZN2at6native12_GLOBAL__N_125multi_tensor_apply_kernelINS1_18TensorListMetadataILi2EEENS1_24BinaryOpListAlphaFunctorIN3c107complexIfEELi2ELi2ELi0EEEJSt5minusIS8_ES8_EEEvT_T0_DpT1_
                                        ; -- End function
	.section	.AMDGPU.csdata,"",@progbits
; Kernel info:
; codeLenInByte = 1804
; NumSgprs: 26
; NumVgprs: 36
; ScratchSize: 0
; MemoryBound: 0
; FloatMode: 240
; IeeeMode: 1
; LDSByteSize: 0 bytes/workgroup (compile time only)
; SGPRBlocks: 3
; VGPRBlocks: 4
; NumSGPRsForWavesPerEU: 26
; NumVGPRsForWavesPerEU: 36
; Occupancy: 16
; WaveLimiterHint : 0
; COMPUTE_PGM_RSRC2:SCRATCH_EN: 0
; COMPUTE_PGM_RSRC2:USER_SGPR: 15
; COMPUTE_PGM_RSRC2:TRAP_HANDLER: 0
; COMPUTE_PGM_RSRC2:TGID_X_EN: 1
; COMPUTE_PGM_RSRC2:TGID_Y_EN: 0
; COMPUTE_PGM_RSRC2:TGID_Z_EN: 0
; COMPUTE_PGM_RSRC2:TIDIG_COMP_CNT: 0
	.section	.text._ZN2at6native12_GLOBAL__N_125multi_tensor_apply_kernelINS1_18TensorListMetadataILi2EEENS1_24BinaryOpListAlphaFunctorIbLi2ELi2ELi0EEEJSt5minusIbEbEEEvT_T0_DpT1_,"axG",@progbits,_ZN2at6native12_GLOBAL__N_125multi_tensor_apply_kernelINS1_18TensorListMetadataILi2EEENS1_24BinaryOpListAlphaFunctorIbLi2ELi2ELi0EEEJSt5minusIbEbEEEvT_T0_DpT1_,comdat
	.globl	_ZN2at6native12_GLOBAL__N_125multi_tensor_apply_kernelINS1_18TensorListMetadataILi2EEENS1_24BinaryOpListAlphaFunctorIbLi2ELi2ELi0EEEJSt5minusIbEbEEEvT_T0_DpT1_ ; -- Begin function _ZN2at6native12_GLOBAL__N_125multi_tensor_apply_kernelINS1_18TensorListMetadataILi2EEENS1_24BinaryOpListAlphaFunctorIbLi2ELi2ELi0EEEJSt5minusIbEbEEEvT_T0_DpT1_
	.p2align	8
	.type	_ZN2at6native12_GLOBAL__N_125multi_tensor_apply_kernelINS1_18TensorListMetadataILi2EEENS1_24BinaryOpListAlphaFunctorIbLi2ELi2ELi0EEEJSt5minusIbEbEEEvT_T0_DpT1_,@function
_ZN2at6native12_GLOBAL__N_125multi_tensor_apply_kernelINS1_18TensorListMetadataILi2EEENS1_24BinaryOpListAlphaFunctorIbLi2ELi2ELi0EEEJSt5minusIbEbEEEvT_T0_DpT1_: ; @_ZN2at6native12_GLOBAL__N_125multi_tensor_apply_kernelINS1_18TensorListMetadataILi2EEENS1_24BinaryOpListAlphaFunctorIbLi2ELi2ELi0EEEJSt5minusIbEbEEEvT_T0_DpT1_
; %bb.0:
	v_mov_b32_e32 v1, s15
	s_mul_hi_u32 s3, s15, 3
	s_load_b32 s2, s[0:1], 0xc48
	global_load_u8 v1, v1, s[0:1] offset:1536
	s_waitcnt lgkmcnt(0)
	s_bitcmp1_b32 s2, 16
	s_mul_i32 s2, s15, 3
	s_cselect_b32 s16, -1, 0
	s_add_u32 s4, s0, s15
	s_addc_u32 s5, s1, 0
	s_add_u32 s2, s4, s2
	s_addc_u32 s3, s5, s3
	s_load_b32 s2, s[2:3], 0x740
	s_waitcnt vmcnt(0)
	v_readfirstlane_b32 s4, v1
	s_delay_alu instid0(VALU_DEP_1)
	s_lshl_b32 s3, s4, 3
	s_clause 0x2
	s_load_b64 s[8:9], s[0:1], s3 offset:0x0
	s_load_b64 s[10:11], s[0:1], s3 offset:0x200
	;; [unrolled: 1-line block ×3, first 2 shown]
	s_waitcnt lgkmcnt(0)
	s_ashr_i32 s3, s2, 31
	s_delay_alu instid0(SALU_CYCLE_1) | instskip(NEXT) | instid1(SALU_CYCLE_1)
	s_lshl_b64 s[12:13], s[2:3], 16
	s_add_u32 s14, s8, s12
	s_addc_u32 s15, s9, s13
	s_add_u32 s5, s10, s12
	s_addc_u32 s17, s11, s13
	s_or_b64 s[2:3], s[6:7], s[14:15]
	s_delay_alu instid0(SALU_CYCLE_1) | instskip(NEXT) | instid1(SALU_CYCLE_1)
	s_or_b32 s2, s5, s2
	s_and_b32 s2, s2, 3
	s_sub_u32 s6, s6, s12
	s_subb_u32 s7, s7, s13
	s_cmp_eq_u32 s2, 0
	s_mov_b32 s2, -1
	s_cbranch_scc0 .LBB33_5
; %bb.1:
	v_dual_mov_b32 v2, 0 :: v_dual_lshlrev_b32 v1, 2, v0
	s_mov_b32 s18, exec_lo
	s_delay_alu instid0(VALU_DEP_1)
	v_cmpx_gt_i64_e64 s[6:7], v[1:2]
	s_cbranch_execz .LBB33_4
; %bb.2:
	s_load_b32 s2, s[0:1], 0xc5c
	s_mov_b32 s20, 0
	s_waitcnt lgkmcnt(0)
	s_and_b32 s2, s2, 0xffff
	s_delay_alu instid0(SALU_CYCLE_1)
	s_lshl_b32 s19, s2, 2
.LBB33_3:                               ; =>This Inner Loop Header: Depth=1
	v_add_co_u32 v3, vcc_lo, s5, v1
	v_add_co_ci_u32_e32 v4, vcc_lo, s17, v2, vcc_lo
	v_add_co_u32 v5, vcc_lo, s14, v1
	v_add_co_ci_u32_e32 v6, vcc_lo, s15, v2, vcc_lo
	v_add_co_u32 v1, vcc_lo, s19, v1
	global_load_b32 v3, v[3:4], off
	global_load_b32 v4, v[5:6], off
	v_add_co_ci_u32_e32 v2, vcc_lo, 0, v2, vcc_lo
	s_waitcnt vmcnt(1)
	v_and_b32_e32 v8, 0xff, v3
	v_and_b32_e32 v10, 0xff00, v3
	v_cmp_lt_u32_e32 vcc_lo, 0xffffff, v3
	s_waitcnt vmcnt(0)
	v_lshrrev_b32_e32 v9, 8, v4
	v_and_b32_e32 v12, 0xff0000, v3
	v_cmp_ne_u32_e64 s2, 0, v8
	v_cmp_ne_u32_e64 s3, 0, v10
	s_and_b32 s21, vcc_lo, s16
	v_and_b32_e32 v7, 0xff, v4
	v_lshrrev_b32_e32 v11, 16, v4
	v_lshrrev_b32_e32 v4, 24, v4
	v_and_b32_e32 v3, 0xff, v9
	v_cndmask_b32_e64 v9, 0, 1, s21
	s_and_b32 s2, s2, s16
	v_cmp_ne_u32_e64 s4, 0, v12
	v_cndmask_b32_e64 v10, 0, 1, s2
	s_and_b32 s2, s3, s16
	v_and_b32_e32 v8, 0xff, v11
	v_cndmask_b32_e64 v11, 0, 1, s2
	v_cmp_ne_u32_e32 vcc_lo, v4, v9
	s_and_b32 s2, s4, s16
	s_delay_alu instid0(SALU_CYCLE_1)
	v_cndmask_b32_e64 v12, 0, 1, s2
	v_cmp_lt_u64_e64 s2, 0xffff, v[1:2]
	v_cndmask_b32_e64 v4, 0, 1, vcc_lo
	v_cmp_ne_u16_e32 vcc_lo, v3, v11
	v_cndmask_b32_e64 v3, 0, 1, vcc_lo
	v_cmp_ne_u16_e32 vcc_lo, v8, v12
	s_delay_alu instid0(VALU_DEP_2) | instskip(SKIP_2) | instid1(VALU_DEP_2)
	v_lshlrev_b32_e32 v3, 8, v3
	v_cndmask_b32_e64 v8, 0, 1, vcc_lo
	v_cmp_ne_u16_e32 vcc_lo, v7, v10
	v_lshlrev_b32_e32 v8, 16, v8
	v_cndmask_b32_e64 v7, 0, 1, vcc_lo
	v_cmp_le_i64_e32 vcc_lo, s[6:7], v[1:2]
	s_delay_alu instid0(VALU_DEP_2) | instskip(SKIP_1) | instid1(SALU_CYCLE_1)
	v_lshl_or_b32 v4, v4, 24, v7
	s_or_b32 s2, vcc_lo, s2
	s_and_b32 s2, exec_lo, s2
	s_delay_alu instid0(VALU_DEP_1)
	v_or3_b32 v3, v4, v3, v8
	s_or_b32 s20, s2, s20
	global_store_b32 v[5:6], v3, off
	s_and_not1_b32 exec_lo, exec_lo, s20
	s_cbranch_execnz .LBB33_3
.LBB33_4:
	s_or_b32 exec_lo, exec_lo, s18
	s_mov_b32 s2, 0
.LBB33_5:
	s_delay_alu instid0(SALU_CYCLE_1)
	s_and_not1_b32 vcc_lo, exec_lo, s2
	s_cbranch_vccnz .LBB33_25
; %bb.6:
	v_cmp_lt_i64_e64 s2, s[6:7], 1
	s_delay_alu instid0(VALU_DEP_1)
	s_and_b32 vcc_lo, exec_lo, s2
	s_cbranch_vccnz .LBB33_25
; %bb.7:
	s_load_b32 s0, s[0:1], 0xc5c
	v_add_co_u32 v15, s1, s12, v0
	s_delay_alu instid0(VALU_DEP_1) | instskip(SKIP_1) | instid1(VALU_DEP_3)
	v_add_co_ci_u32_e64 v16, null, s13, 0, s1
	v_cmp_gt_u64_e64 s1, 0x10000, s[6:7]
	v_add_co_u32 v1, vcc_lo, s8, v15
	s_delay_alu instid0(VALU_DEP_3)
	v_add_co_ci_u32_e32 v2, vcc_lo, s9, v16, vcc_lo
	v_add_co_u32 v3, vcc_lo, s10, v15
	v_add_co_ci_u32_e32 v4, vcc_lo, s11, v16, vcc_lo
	s_waitcnt lgkmcnt(0)
	s_and_b32 s0, s0, 0xffff
	s_and_b32 s1, s1, exec_lo
	s_mul_i32 s2, s0, 3
	s_cselect_b32 s5, s7, 0
	s_cselect_b32 s4, s6, 0x10000
	s_lshl_b32 s1, s0, 1
	s_lshl_b32 s14, s0, 2
	s_add_u32 s3, s12, s2
	s_addc_u32 s15, s13, 0
	v_add_co_u32 v7, s3, s3, v0
	s_delay_alu instid0(VALU_DEP_1) | instskip(SKIP_1) | instid1(VALU_DEP_2)
	v_add_co_ci_u32_e64 v8, null, s15, 0, s3
	s_add_u32 s3, s12, s1
	v_add_co_u32 v5, vcc_lo, s8, v7
	s_addc_u32 s12, s13, 0
	v_add_co_u32 v13, s3, s3, v0
	v_add_co_ci_u32_e32 v6, vcc_lo, s9, v8, vcc_lo
	v_add_co_u32 v7, vcc_lo, s10, v7
	v_add_co_ci_u32_e64 v14, null, s12, 0, s3
	v_add_co_ci_u32_e32 v8, vcc_lo, s11, v8, vcc_lo
	v_add_co_u32 v11, vcc_lo, s8, v13
	s_delay_alu instid0(VALU_DEP_3)
	v_add_co_ci_u32_e32 v12, vcc_lo, s9, v14, vcc_lo
	v_add_co_u32 v13, vcc_lo, s10, v13
	v_add_co_ci_u32_e32 v14, vcc_lo, s11, v14, vcc_lo
	v_add_co_u32 v19, vcc_lo, v15, s0
	v_add_co_ci_u32_e32 v20, vcc_lo, 0, v16, vcc_lo
	v_add_co_u32 v9, s2, s2, v0
	s_delay_alu instid0(VALU_DEP_3) | instskip(NEXT) | instid1(VALU_DEP_3)
	v_add_co_u32 v17, vcc_lo, s8, v19
	v_add_co_ci_u32_e32 v18, vcc_lo, s9, v20, vcc_lo
	v_add_co_u32 v15, s1, s1, v0
	v_add_co_u32 v19, vcc_lo, s10, v19
	v_add_co_u32 v21, s0, v0, s0
	v_add_co_ci_u32_e64 v10, null, 0, 0, s2
	v_add_co_ci_u32_e64 v16, null, 0, 0, s1
	v_add_co_ci_u32_e32 v20, vcc_lo, s11, v20, vcc_lo
	v_add_co_ci_u32_e64 v22, null, 0, 0, s0
	s_mov_b64 s[8:9], 0
	s_branch .LBB33_9
.LBB33_8:                               ;   in Loop: Header=BB33_9 Depth=1
	s_or_b32 exec_lo, exec_lo, s0
	s_add_u32 s8, s8, s14
	s_addc_u32 s9, s9, 0
	s_delay_alu instid0(SALU_CYCLE_1) | instskip(SKIP_1) | instid1(VALU_DEP_1)
	v_cmp_ge_i64_e64 s0, s[8:9], s[6:7]
	v_cmp_lt_u64_e64 s1, 0xffff, s[8:9]
	s_or_b32 s0, s0, s1
	s_delay_alu instid0(SALU_CYCLE_1)
	s_and_b32 vcc_lo, exec_lo, s0
	s_cbranch_vccnz .LBB33_25
.LBB33_9:                               ; =>This Inner Loop Header: Depth=1
	s_waitcnt vmcnt(0)
	v_add_co_u32 v25, s0, v0, s8
	s_delay_alu instid0(VALU_DEP_1) | instskip(SKIP_1) | instid1(VALU_DEP_2)
	v_add_co_ci_u32_e64 v26, null, 0, s9, s0
	v_dual_mov_b32 v24, 0 :: v_dual_mov_b32 v23, 0
	v_cmp_gt_u64_e32 vcc_lo, s[4:5], v[25:26]
	v_mov_b32_e32 v26, 0
	s_and_saveexec_b32 s1, vcc_lo
	s_cbranch_execz .LBB33_11
; %bb.10:                               ;   in Loop: Header=BB33_9 Depth=1
	v_add_co_u32 v25, s0, v1, s8
	s_delay_alu instid0(VALU_DEP_1) | instskip(SKIP_1) | instid1(VALU_DEP_1)
	v_add_co_ci_u32_e64 v26, s0, s9, v2, s0
	v_add_co_u32 v27, s0, v3, s8
	v_add_co_ci_u32_e64 v28, s0, s9, v4, s0
	global_load_u8 v23, v[25:26], off
	global_load_u8 v26, v[27:28], off
.LBB33_11:                              ;   in Loop: Header=BB33_9 Depth=1
	s_or_b32 exec_lo, exec_lo, s1
	v_add_co_u32 v27, s0, v21, s8
	s_delay_alu instid0(VALU_DEP_1) | instskip(NEXT) | instid1(VALU_DEP_1)
	v_add_co_ci_u32_e64 v28, s0, s9, v22, s0
	v_cmp_gt_u64_e64 s0, s[4:5], v[27:28]
	s_delay_alu instid0(VALU_DEP_1)
	s_and_saveexec_b32 s2, s0
	s_cbranch_execz .LBB33_13
; %bb.12:                               ;   in Loop: Header=BB33_9 Depth=1
	v_add_co_u32 v24, s1, v17, s8
	s_delay_alu instid0(VALU_DEP_1) | instskip(SKIP_2) | instid1(VALU_DEP_1)
	v_add_co_ci_u32_e64 v25, s1, s9, v18, s1
	global_load_u8 v27, v[24:25], off
	v_add_co_u32 v24, s1, v19, s8
	v_add_co_ci_u32_e64 v25, s1, s9, v20, s1
	global_load_u8 v24, v[24:25], off
	s_waitcnt vmcnt(1)
	v_lshl_or_b32 v23, v27, 8, v23
.LBB33_13:                              ;   in Loop: Header=BB33_9 Depth=1
	s_or_b32 exec_lo, exec_lo, s2
	v_add_co_u32 v27, s1, v15, s8
	s_delay_alu instid0(VALU_DEP_1) | instskip(SKIP_1) | instid1(VALU_DEP_2)
	v_add_co_ci_u32_e64 v28, s1, s9, v16, s1
	v_mov_b32_e32 v25, 0
	v_cmp_gt_u64_e64 s1, s[4:5], v[27:28]
	v_mov_b32_e32 v27, 0
	s_delay_alu instid0(VALU_DEP_2)
	s_and_saveexec_b32 s3, s1
	s_cbranch_execz .LBB33_15
; %bb.14:                               ;   in Loop: Header=BB33_9 Depth=1
	v_add_co_u32 v27, s2, v11, s8
	s_delay_alu instid0(VALU_DEP_1) | instskip(SKIP_2) | instid1(VALU_DEP_1)
	v_add_co_ci_u32_e64 v28, s2, s9, v12, s2
	global_load_u8 v29, v[27:28], off
	v_add_co_u32 v27, s2, v13, s8
	v_add_co_ci_u32_e64 v28, s2, s9, v14, s2
	global_load_u8 v27, v[27:28], off
	s_waitcnt vmcnt(1)
	v_lshl_or_b32 v23, v29, 16, v23
.LBB33_15:                              ;   in Loop: Header=BB33_9 Depth=1
	s_or_b32 exec_lo, exec_lo, s3
	v_add_co_u32 v28, s2, v9, s8
	s_delay_alu instid0(VALU_DEP_1) | instskip(NEXT) | instid1(VALU_DEP_1)
	v_add_co_ci_u32_e64 v29, s2, s9, v10, s2
	v_cmp_gt_u64_e64 s2, s[4:5], v[28:29]
	s_delay_alu instid0(VALU_DEP_1)
	s_and_saveexec_b32 s10, s2
	s_cbranch_execnz .LBB33_20
; %bb.16:                               ;   in Loop: Header=BB33_9 Depth=1
	s_or_b32 exec_lo, exec_lo, s10
	s_and_saveexec_b32 s3, vcc_lo
	s_cbranch_execnz .LBB33_21
.LBB33_17:                              ;   in Loop: Header=BB33_9 Depth=1
	s_or_b32 exec_lo, exec_lo, s3
	s_and_saveexec_b32 s3, s0
	s_cbranch_execnz .LBB33_22
.LBB33_18:                              ;   in Loop: Header=BB33_9 Depth=1
	s_or_b32 exec_lo, exec_lo, s3
	s_and_saveexec_b32 s0, s1
	s_cbranch_execnz .LBB33_23
.LBB33_19:                              ;   in Loop: Header=BB33_9 Depth=1
	s_or_b32 exec_lo, exec_lo, s0
	s_and_saveexec_b32 s0, s2
	s_cbranch_execz .LBB33_8
	s_branch .LBB33_24
.LBB33_20:                              ;   in Loop: Header=BB33_9 Depth=1
	v_add_co_u32 v28, s3, v5, s8
	s_delay_alu instid0(VALU_DEP_1) | instskip(SKIP_2) | instid1(VALU_DEP_1)
	v_add_co_ci_u32_e64 v29, s3, s9, v6, s3
	global_load_u8 v30, v[28:29], off
	v_add_co_u32 v28, s3, v7, s8
	v_add_co_ci_u32_e64 v29, s3, s9, v8, s3
	global_load_u8 v25, v[28:29], off
	s_waitcnt vmcnt(1)
	v_lshl_or_b32 v23, v30, 24, v23
	s_or_b32 exec_lo, exec_lo, s10
	s_and_saveexec_b32 s3, vcc_lo
	s_cbranch_execz .LBB33_17
.LBB33_21:                              ;   in Loop: Header=BB33_9 Depth=1
	s_waitcnt vmcnt(0)
	v_and_b32_e32 v26, 0xff, v26
	s_delay_alu instid0(VALU_DEP_1) | instskip(SKIP_2) | instid1(SALU_CYCLE_1)
	v_cmp_ne_u16_e32 vcc_lo, 0, v26
	v_and_b32_e32 v26, 0xff, v23
	s_and_b32 s10, vcc_lo, s16
	v_cndmask_b32_e64 v28, 0, 1, s10
	s_delay_alu instid0(VALU_DEP_1)
	v_cmp_ne_u16_e32 vcc_lo, v26, v28
	v_cndmask_b32_e64 v26, 0, 1, vcc_lo
	v_add_co_u32 v28, vcc_lo, v1, s8
	v_add_co_ci_u32_e32 v29, vcc_lo, s9, v2, vcc_lo
	global_store_b8 v[28:29], v26, off
	s_or_b32 exec_lo, exec_lo, s3
	s_and_saveexec_b32 s3, s0
	s_cbranch_execz .LBB33_18
.LBB33_22:                              ;   in Loop: Header=BB33_9 Depth=1
	s_waitcnt vmcnt(0)
	v_and_b32_e32 v24, 0xff, v24
	v_lshrrev_b32_e32 v26, 8, v23
	s_delay_alu instid0(VALU_DEP_2) | instskip(NEXT) | instid1(VALU_DEP_2)
	v_cmp_ne_u16_e32 vcc_lo, 0, v24
	v_and_b32_e32 v24, 0xff, v26
	s_and_b32 s0, vcc_lo, s16
	s_delay_alu instid0(SALU_CYCLE_1) | instskip(NEXT) | instid1(VALU_DEP_1)
	v_cndmask_b32_e64 v26, 0, 1, s0
	v_cmp_ne_u16_e32 vcc_lo, v24, v26
	v_cndmask_b32_e64 v24, 0, 1, vcc_lo
	v_add_co_u32 v28, vcc_lo, v17, s8
	v_add_co_ci_u32_e32 v29, vcc_lo, s9, v18, vcc_lo
	global_store_b8 v[28:29], v24, off
	s_or_b32 exec_lo, exec_lo, s3
	s_and_saveexec_b32 s0, s1
	s_cbranch_execz .LBB33_19
.LBB33_23:                              ;   in Loop: Header=BB33_9 Depth=1
	s_waitcnt vmcnt(0)
	v_and_b32_e32 v24, 0xff, v27
	v_lshrrev_b32_e32 v26, 16, v23
	s_delay_alu instid0(VALU_DEP_2) | instskip(NEXT) | instid1(VALU_DEP_2)
	v_cmp_ne_u16_e32 vcc_lo, 0, v24
	v_and_b32_e32 v24, 0xff, v26
	s_and_b32 s1, vcc_lo, s16
	s_delay_alu instid0(SALU_CYCLE_1) | instskip(NEXT) | instid1(VALU_DEP_1)
	v_cndmask_b32_e64 v26, 0, 1, s1
	v_cmp_ne_u16_e32 vcc_lo, v24, v26
	v_cndmask_b32_e64 v24, 0, 1, vcc_lo
	v_add_co_u32 v26, vcc_lo, v11, s8
	v_add_co_ci_u32_e32 v27, vcc_lo, s9, v12, vcc_lo
	global_store_b8 v[26:27], v24, off
	s_or_b32 exec_lo, exec_lo, s0
	s_and_saveexec_b32 s0, s2
	s_cbranch_execz .LBB33_8
.LBB33_24:                              ;   in Loop: Header=BB33_9 Depth=1
	s_waitcnt vmcnt(0)
	v_and_b32_e32 v24, 0xff, v25
	v_lshrrev_b32_e32 v23, 24, v23
	s_delay_alu instid0(VALU_DEP_2) | instskip(SKIP_1) | instid1(SALU_CYCLE_1)
	v_cmp_ne_u16_e32 vcc_lo, 0, v24
	s_and_b32 s1, vcc_lo, s16
	v_cndmask_b32_e64 v24, 0, 1, s1
	s_delay_alu instid0(VALU_DEP_1)
	v_cmp_ne_u32_e32 vcc_lo, v23, v24
	v_cndmask_b32_e64 v25, 0, 1, vcc_lo
	v_add_co_u32 v23, vcc_lo, v5, s8
	v_add_co_ci_u32_e32 v24, vcc_lo, s9, v6, vcc_lo
	global_store_b8 v[23:24], v25, off
	s_branch .LBB33_8
.LBB33_25:
	s_nop 0
	s_sendmsg sendmsg(MSG_DEALLOC_VGPRS)
	s_endpgm
	.section	.rodata,"a",@progbits
	.p2align	6, 0x0
	.amdhsa_kernel _ZN2at6native12_GLOBAL__N_125multi_tensor_apply_kernelINS1_18TensorListMetadataILi2EEENS1_24BinaryOpListAlphaFunctorIbLi2ELi2ELi0EEEJSt5minusIbEbEEEvT_T0_DpT1_
		.amdhsa_group_segment_fixed_size 0
		.amdhsa_private_segment_fixed_size 0
		.amdhsa_kernarg_size 3408
		.amdhsa_user_sgpr_count 15
		.amdhsa_user_sgpr_dispatch_ptr 0
		.amdhsa_user_sgpr_queue_ptr 0
		.amdhsa_user_sgpr_kernarg_segment_ptr 1
		.amdhsa_user_sgpr_dispatch_id 0
		.amdhsa_user_sgpr_private_segment_size 0
		.amdhsa_wavefront_size32 1
		.amdhsa_uses_dynamic_stack 0
		.amdhsa_enable_private_segment 0
		.amdhsa_system_sgpr_workgroup_id_x 1
		.amdhsa_system_sgpr_workgroup_id_y 0
		.amdhsa_system_sgpr_workgroup_id_z 0
		.amdhsa_system_sgpr_workgroup_info 0
		.amdhsa_system_vgpr_workitem_id 0
		.amdhsa_next_free_vgpr 31
		.amdhsa_next_free_sgpr 22
		.amdhsa_reserve_vcc 1
		.amdhsa_float_round_mode_32 0
		.amdhsa_float_round_mode_16_64 0
		.amdhsa_float_denorm_mode_32 3
		.amdhsa_float_denorm_mode_16_64 3
		.amdhsa_dx10_clamp 1
		.amdhsa_ieee_mode 1
		.amdhsa_fp16_overflow 0
		.amdhsa_workgroup_processor_mode 1
		.amdhsa_memory_ordered 1
		.amdhsa_forward_progress 0
		.amdhsa_shared_vgpr_count 0
		.amdhsa_exception_fp_ieee_invalid_op 0
		.amdhsa_exception_fp_denorm_src 0
		.amdhsa_exception_fp_ieee_div_zero 0
		.amdhsa_exception_fp_ieee_overflow 0
		.amdhsa_exception_fp_ieee_underflow 0
		.amdhsa_exception_fp_ieee_inexact 0
		.amdhsa_exception_int_div_zero 0
	.end_amdhsa_kernel
	.section	.text._ZN2at6native12_GLOBAL__N_125multi_tensor_apply_kernelINS1_18TensorListMetadataILi2EEENS1_24BinaryOpListAlphaFunctorIbLi2ELi2ELi0EEEJSt5minusIbEbEEEvT_T0_DpT1_,"axG",@progbits,_ZN2at6native12_GLOBAL__N_125multi_tensor_apply_kernelINS1_18TensorListMetadataILi2EEENS1_24BinaryOpListAlphaFunctorIbLi2ELi2ELi0EEEJSt5minusIbEbEEEvT_T0_DpT1_,comdat
.Lfunc_end33:
	.size	_ZN2at6native12_GLOBAL__N_125multi_tensor_apply_kernelINS1_18TensorListMetadataILi2EEENS1_24BinaryOpListAlphaFunctorIbLi2ELi2ELi0EEEJSt5minusIbEbEEEvT_T0_DpT1_, .Lfunc_end33-_ZN2at6native12_GLOBAL__N_125multi_tensor_apply_kernelINS1_18TensorListMetadataILi2EEENS1_24BinaryOpListAlphaFunctorIbLi2ELi2ELi0EEEJSt5minusIbEbEEEvT_T0_DpT1_
                                        ; -- End function
	.section	.AMDGPU.csdata,"",@progbits
; Kernel info:
; codeLenInByte = 1824
; NumSgprs: 24
; NumVgprs: 31
; ScratchSize: 0
; MemoryBound: 0
; FloatMode: 240
; IeeeMode: 1
; LDSByteSize: 0 bytes/workgroup (compile time only)
; SGPRBlocks: 2
; VGPRBlocks: 3
; NumSGPRsForWavesPerEU: 24
; NumVGPRsForWavesPerEU: 31
; Occupancy: 16
; WaveLimiterHint : 0
; COMPUTE_PGM_RSRC2:SCRATCH_EN: 0
; COMPUTE_PGM_RSRC2:USER_SGPR: 15
; COMPUTE_PGM_RSRC2:TRAP_HANDLER: 0
; COMPUTE_PGM_RSRC2:TGID_X_EN: 1
; COMPUTE_PGM_RSRC2:TGID_Y_EN: 0
; COMPUTE_PGM_RSRC2:TGID_Z_EN: 0
; COMPUTE_PGM_RSRC2:TIDIG_COMP_CNT: 0
	.section	.text._ZN2at6native12_GLOBAL__N_125multi_tensor_apply_kernelINS1_18TensorListMetadataILi2EEENS1_24BinaryOpListAlphaFunctorIN3c108BFloat16ELi2ELi2ELi0EEEJSt5minusIfEfEEEvT_T0_DpT1_,"axG",@progbits,_ZN2at6native12_GLOBAL__N_125multi_tensor_apply_kernelINS1_18TensorListMetadataILi2EEENS1_24BinaryOpListAlphaFunctorIN3c108BFloat16ELi2ELi2ELi0EEEJSt5minusIfEfEEEvT_T0_DpT1_,comdat
	.globl	_ZN2at6native12_GLOBAL__N_125multi_tensor_apply_kernelINS1_18TensorListMetadataILi2EEENS1_24BinaryOpListAlphaFunctorIN3c108BFloat16ELi2ELi2ELi0EEEJSt5minusIfEfEEEvT_T0_DpT1_ ; -- Begin function _ZN2at6native12_GLOBAL__N_125multi_tensor_apply_kernelINS1_18TensorListMetadataILi2EEENS1_24BinaryOpListAlphaFunctorIN3c108BFloat16ELi2ELi2ELi0EEEJSt5minusIfEfEEEvT_T0_DpT1_
	.p2align	8
	.type	_ZN2at6native12_GLOBAL__N_125multi_tensor_apply_kernelINS1_18TensorListMetadataILi2EEENS1_24BinaryOpListAlphaFunctorIN3c108BFloat16ELi2ELi2ELi0EEEJSt5minusIfEfEEEvT_T0_DpT1_,@function
_ZN2at6native12_GLOBAL__N_125multi_tensor_apply_kernelINS1_18TensorListMetadataILi2EEENS1_24BinaryOpListAlphaFunctorIN3c108BFloat16ELi2ELi2ELi0EEEJSt5minusIfEfEEEvT_T0_DpT1_: ; @_ZN2at6native12_GLOBAL__N_125multi_tensor_apply_kernelINS1_18TensorListMetadataILi2EEENS1_24BinaryOpListAlphaFunctorIN3c108BFloat16ELi2ELi2ELi0EEEJSt5minusIfEfEEEvT_T0_DpT1_
; %bb.0:
	v_mov_b32_e32 v1, s15
	s_add_u32 s2, s0, s15
	s_mul_hi_u32 s3, s15, 3
	s_mul_i32 s15, s15, 3
	s_addc_u32 s4, s1, 0
	global_load_u8 v1, v1, s[0:1] offset:1536
	s_add_u32 s2, s2, s15
	s_addc_u32 s3, s4, s3
	s_mov_b32 s9, 0
	s_load_b32 s2, s[2:3], 0x740
	s_mov_b32 s19, s9
	s_mov_b32 s17, s9
	s_waitcnt vmcnt(0)
	v_readfirstlane_b32 s3, v1
	s_delay_alu instid0(VALU_DEP_1)
	s_lshl_b32 s3, s3, 3
	s_clause 0x3
	s_load_b64 s[10:11], s[0:1], s3 offset:0x0
	s_load_b64 s[12:13], s[0:1], s3 offset:0x200
	;; [unrolled: 1-line block ×3, first 2 shown]
	s_load_b32 s14, s[0:1], 0xc4c
	s_waitcnt lgkmcnt(0)
	s_ashr_i32 s3, s2, 31
	s_delay_alu instid0(SALU_CYCLE_1) | instskip(SKIP_4) | instid1(SALU_CYCLE_1)
	s_lshl_b64 s[6:7], s[2:3], 17
	s_lshl_b64 s[2:3], s[2:3], 16
	s_and_b32 s8, s10, 7
	s_and_b32 s16, s12, 7
	;; [unrolled: 1-line block ×3, first 2 shown]
	s_or_b64 s[8:9], s[8:9], s[18:19]
	s_delay_alu instid0(SALU_CYCLE_1)
	s_or_b64 s[16:17], s[16:17], s[8:9]
	s_sub_u32 s8, s4, s2
	s_subb_u32 s9, s5, s3
	s_cmp_eq_u64 s[16:17], 0
	s_mov_b32 s2, -1
	s_cbranch_scc0 .LBB34_5
; %bb.1:
	v_dual_mov_b32 v2, 0 :: v_dual_lshlrev_b32 v1, 2, v0
	s_mov_b32 s15, exec_lo
	s_delay_alu instid0(VALU_DEP_1)
	v_cmpx_gt_i64_e64 s[8:9], v[1:2]
	s_cbranch_execz .LBB34_4
; %bb.2:
	s_load_b32 s2, s[0:1], 0xc5c
	v_lshlrev_b32_e32 v1, 3, v0
	s_mov_b32 s16, 0
	s_delay_alu instid0(VALU_DEP_1) | instskip(NEXT) | instid1(VALU_DEP_1)
	v_add_co_u32 v3, s3, s6, v1
	v_add_co_ci_u32_e64 v4, null, s7, 0, s3
	s_waitcnt lgkmcnt(0)
	s_and_b32 s2, s2, 0xffff
	s_delay_alu instid0(SALU_CYCLE_1)
	v_add_lshl_u32 v1, v0, s2, 2
	s_lshl_b32 s17, s2, 3
	s_lshl_b32 s18, s2, 2
.LBB34_3:                               ; =>This Inner Loop Header: Depth=1
	v_add_co_u32 v5, vcc_lo, s10, v3
	v_add_co_ci_u32_e32 v6, vcc_lo, s11, v4, vcc_lo
	v_add_co_u32 v7, vcc_lo, s12, v3
	v_add_co_ci_u32_e32 v8, vcc_lo, s13, v4, vcc_lo
	v_cmp_le_i64_e32 vcc_lo, s[8:9], v[1:2]
	global_load_b64 v[9:10], v[5:6], off
	global_load_b64 v[7:8], v[7:8], off
	v_cmp_lt_u64_e64 s2, 0xffff, v[1:2]
	v_add_co_u32 v3, s3, v3, s17
	s_delay_alu instid0(VALU_DEP_1) | instskip(SKIP_1) | instid1(VALU_DEP_4)
	v_add_co_ci_u32_e64 v4, s3, 0, v4, s3
	v_add_co_u32 v1, s3, v1, s18
	s_or_b32 s2, vcc_lo, s2
	v_add_co_ci_u32_e64 v2, s3, 0, v2, s3
	s_and_b32 s2, exec_lo, s2
	s_delay_alu instid0(SALU_CYCLE_1)
	s_or_b32 s16, s2, s16
	s_waitcnt vmcnt(1)
	v_lshlrev_b32_e32 v11, 16, v9
	s_waitcnt vmcnt(0)
	v_lshlrev_b32_e32 v12, 16, v7
	v_and_b32_e32 v13, 0xffff0000, v9
	v_and_b32_e32 v14, 0xffff0000, v7
	v_alignbit_b32 v9, v10, v9, 16
	v_alignbit_b32 v7, v8, v7, 16
	v_and_b32_e32 v10, 0xffff0000, v10
	v_and_b32_e32 v8, 0xffff0000, v8
	v_fma_f32 v11, -v12, s14, v11
	v_fma_f32 v12, -v14, s14, v13
	v_and_b32_e32 v9, 0xffff0000, v9
	v_and_b32_e32 v7, 0xffff0000, v7
	v_fma_f32 v8, -v8, s14, v10
	v_bfe_u32 v10, v11, 16, 1
	v_bfe_u32 v13, v12, 16, 1
	v_cmp_o_f32_e64 s4, v12, v12
	v_fma_f32 v7, -v7, s14, v9
	v_bfe_u32 v9, v8, 16, 1
	v_add3_u32 v10, v11, v10, 0x7fff
	v_add3_u32 v13, v12, v13, 0x7fff
	v_cmp_o_f32_e64 s5, v11, v11
	v_bfe_u32 v14, v7, 16, 1
	v_add3_u32 v9, v8, v9, 0x7fff
	v_lshrrev_b32_e32 v10, 16, v10
	v_and_b32_e32 v13, 0xffff0000, v13
	s_delay_alu instid0(VALU_DEP_4) | instskip(NEXT) | instid1(VALU_DEP_4)
	v_add3_u32 v14, v7, v14, 0x7fff
	v_and_b32_e32 v9, 0xffff0000, v9
	s_delay_alu instid0(VALU_DEP_4) | instskip(NEXT) | instid1(VALU_DEP_4)
	v_cndmask_b32_e64 v10, 0x7fc0, v10, s5
	v_cndmask_b32_e64 v12, 0x7fc00000, v13, s4
	v_cmp_o_f32_e64 s4, v8, v8
	v_lshrrev_b32_e32 v11, 16, v14
	s_delay_alu instid0(VALU_DEP_2) | instskip(SKIP_2) | instid1(VALU_DEP_2)
	v_cndmask_b32_e64 v8, 0x7fc00000, v9, s4
	v_cmp_o_f32_e64 s4, v7, v7
	v_or_b32_e32 v9, v10, v12
	v_cndmask_b32_e64 v7, 0x7fc0, v11, s4
	s_delay_alu instid0(VALU_DEP_1) | instskip(NEXT) | instid1(VALU_DEP_3)
	v_or3_b32 v8, 0, v7, v8
	v_or3_b32 v7, v9, 0, 0
	global_store_b64 v[5:6], v[7:8], off
	s_and_not1_b32 exec_lo, exec_lo, s16
	s_cbranch_execnz .LBB34_3
.LBB34_4:
	s_or_b32 exec_lo, exec_lo, s15
	s_mov_b32 s2, 0
.LBB34_5:
	s_delay_alu instid0(SALU_CYCLE_1)
	s_and_not1_b32 vcc_lo, exec_lo, s2
	s_cbranch_vccnz .LBB34_25
; %bb.6:
	v_cmp_lt_i64_e64 s2, s[8:9], 1
	s_delay_alu instid0(VALU_DEP_1)
	s_and_b32 vcc_lo, exec_lo, s2
	s_cbranch_vccnz .LBB34_25
; %bb.7:
	s_load_b32 s0, s[0:1], 0xc5c
	v_dual_mov_b32 v2, 0 :: v_dual_lshlrev_b32 v1, 1, v0
	v_cmp_gt_u64_e64 s1, 0x10000, s[8:9]
	s_delay_alu instid0(VALU_DEP_2) | instskip(NEXT) | instid1(VALU_DEP_1)
	v_add_co_u32 v3, s2, s10, v1
	v_add_co_ci_u32_e64 v4, null, s11, 0, s2
	v_add_co_u32 v5, s2, s12, v1
	s_delay_alu instid0(VALU_DEP_1)
	v_add_co_ci_u32_e64 v6, null, s13, 0, s2
	s_waitcnt lgkmcnt(0)
	s_and_b32 s0, s0, 0xffff
	s_and_b32 s1, s1, exec_lo
	v_mad_u64_u32 v[9:10], null, s0, 6, v[1:2]
	s_cselect_b32 s5, s9, 0
	s_cselect_b32 s4, s8, 0x10000
	s_lshl_b32 s15, s0, 2
	s_mul_i32 s2, s0, 3
	v_add_co_u32 v1, s3, s15, v1
	s_delay_alu instid0(VALU_DEP_2) | instskip(NEXT) | instid1(VALU_DEP_3)
	v_add_co_u32 v7, vcc_lo, s10, v9
	v_add_co_ci_u32_e32 v8, vcc_lo, s11, v10, vcc_lo
	v_add_co_u32 v11, s2, s2, v0
	v_add_co_u32 v9, vcc_lo, s12, v9
	v_add_co_ci_u32_e64 v2, null, 0, 0, s3
	v_add_co_ci_u32_e64 v12, null, 0, 0, s2
	v_add_co_u32 v15, s2, v0, s0
	v_add_co_ci_u32_e32 v10, vcc_lo, s13, v10, vcc_lo
	v_add_co_u32 v13, vcc_lo, s10, v1
	v_add_co_ci_u32_e32 v14, vcc_lo, s11, v2, vcc_lo
	v_add_co_u32 v16, vcc_lo, s12, v1
	v_lshlrev_b32_e32 v1, 1, v15
	s_lshl_b32 s1, s0, 1
	v_add_co_ci_u32_e32 v17, vcc_lo, s13, v2, vcc_lo
	v_add_co_u32 v19, s1, s1, v0
	s_delay_alu instid0(VALU_DEP_1) | instskip(SKIP_1) | instid1(VALU_DEP_1)
	v_add_co_ci_u32_e64 v20, null, 0, 0, s1
	v_add_co_u32 v21, s1, s10, v1
	v_add_co_ci_u32_e64 v22, null, s11, 0, s1
	v_add_co_u32 v23, s1, s12, v1
	v_add_co_ci_u32_e64 v18, null, 0, 0, s2
	v_add_co_ci_u32_e64 v24, null, s13, 0, s1
	s_mov_b32 s12, 0
	s_lshl_b32 s13, s0, 3
	s_mov_b64 s[10:11], 0
	s_branch .LBB34_9
.LBB34_8:                               ;   in Loop: Header=BB34_9 Depth=1
	s_or_b32 exec_lo, exec_lo, s0
	v_add_co_u32 v3, vcc_lo, v3, s13
	v_add_co_ci_u32_e32 v4, vcc_lo, 0, v4, vcc_lo
	v_add_co_u32 v5, vcc_lo, v5, s13
	v_add_co_ci_u32_e32 v6, vcc_lo, 0, v6, vcc_lo
	;; [unrolled: 2-line block ×5, first 2 shown]
	s_add_u32 s10, s10, s15
	v_add_co_u32 v16, vcc_lo, v16, s13
	s_addc_u32 s11, s11, 0
	v_add_co_ci_u32_e32 v17, vcc_lo, 0, v17, vcc_lo
	v_cmp_ge_i64_e64 s0, s[10:11], s[8:9]
	v_cmp_lt_u64_e64 s1, 0xffff, s[10:11]
	v_add_co_u32 v21, vcc_lo, v21, s13
	v_add_co_ci_u32_e32 v22, vcc_lo, 0, v22, vcc_lo
	v_add_co_u32 v23, vcc_lo, v23, s13
	v_add_co_ci_u32_e32 v24, vcc_lo, 0, v24, vcc_lo
	s_or_b32 s0, s0, s1
	s_delay_alu instid0(SALU_CYCLE_1)
	s_and_b32 vcc_lo, exec_lo, s0
	s_cbranch_vccnz .LBB34_25
.LBB34_9:                               ; =>This Inner Loop Header: Depth=1
	v_add_co_u32 v1, s0, v0, s10
	s_delay_alu instid0(VALU_DEP_1) | instskip(SKIP_2) | instid1(VALU_DEP_2)
	v_add_co_ci_u32_e64 v2, null, 0, s11, s0
	s_waitcnt vmcnt(0)
	v_mov_b32_e32 v26, 0
	v_cmp_gt_u64_e32 vcc_lo, s[4:5], v[1:2]
	v_mov_b32_e32 v1, 0
	v_mov_b32_e32 v2, 0
	s_and_saveexec_b32 s1, vcc_lo
	s_cbranch_execz .LBB34_11
; %bb.10:                               ;   in Loop: Header=BB34_9 Depth=1
	v_add_co_u32 v1, s0, v3, s6
	s_delay_alu instid0(VALU_DEP_1) | instskip(SKIP_2) | instid1(VALU_DEP_1)
	v_add_co_ci_u32_e64 v2, s0, s7, v4, s0
	global_load_u16 v25, v[1:2], off
	v_add_co_u32 v1, s0, v5, s6
	v_add_co_ci_u32_e64 v2, s0, s7, v6, s0
	global_load_u16 v26, v[1:2], off
	s_waitcnt vmcnt(1)
	v_dual_mov_b32 v2, s12 :: v_dual_and_b32 v1, 0xffff, v25
.LBB34_11:                              ;   in Loop: Header=BB34_9 Depth=1
	s_or_b32 exec_lo, exec_lo, s1
	v_add_co_u32 v27, s0, v15, s10
	s_delay_alu instid0(VALU_DEP_1) | instskip(SKIP_1) | instid1(VALU_DEP_2)
	v_add_co_ci_u32_e64 v28, s0, s11, v18, s0
	v_mov_b32_e32 v25, 0
	v_cmp_gt_u64_e64 s0, s[4:5], v[27:28]
	v_mov_b32_e32 v27, 0
	s_delay_alu instid0(VALU_DEP_2)
	s_and_saveexec_b32 s2, s0
	s_cbranch_execz .LBB34_13
; %bb.12:                               ;   in Loop: Header=BB34_9 Depth=1
	v_add_co_u32 v27, s1, v21, s6
	s_delay_alu instid0(VALU_DEP_1) | instskip(SKIP_2) | instid1(VALU_DEP_1)
	v_add_co_ci_u32_e64 v28, s1, s7, v22, s1
	global_load_u16 v29, v[27:28], off
	v_add_co_u32 v27, s1, v23, s6
	v_add_co_ci_u32_e64 v28, s1, s7, v24, s1
	global_load_u16 v27, v[27:28], off
	s_waitcnt vmcnt(1)
	v_lshl_or_b32 v1, v29, 16, v1
.LBB34_13:                              ;   in Loop: Header=BB34_9 Depth=1
	s_or_b32 exec_lo, exec_lo, s2
	v_add_co_u32 v28, s1, v19, s10
	s_delay_alu instid0(VALU_DEP_1) | instskip(NEXT) | instid1(VALU_DEP_1)
	v_add_co_ci_u32_e64 v29, s1, s11, v20, s1
	v_cmp_gt_u64_e64 s1, s[4:5], v[28:29]
	s_delay_alu instid0(VALU_DEP_1)
	s_and_saveexec_b32 s3, s1
	s_cbranch_execz .LBB34_15
; %bb.14:                               ;   in Loop: Header=BB34_9 Depth=1
	v_add_co_u32 v28, s2, v13, s6
	s_delay_alu instid0(VALU_DEP_1) | instskip(SKIP_2) | instid1(VALU_DEP_1)
	v_add_co_ci_u32_e64 v29, s2, s7, v14, s2
	global_load_u16 v30, v[28:29], off
	v_add_co_u32 v28, s2, v16, s6
	v_add_co_ci_u32_e64 v29, s2, s7, v17, s2
	global_load_u16 v25, v[28:29], off
	s_waitcnt vmcnt(1)
	v_or_b32_e32 v2, v30, v2
.LBB34_15:                              ;   in Loop: Header=BB34_9 Depth=1
	s_or_b32 exec_lo, exec_lo, s3
	v_add_co_u32 v28, s2, v11, s10
	s_delay_alu instid0(VALU_DEP_1) | instskip(NEXT) | instid1(VALU_DEP_1)
	v_add_co_ci_u32_e64 v29, s2, s11, v12, s2
	v_cmp_gt_u64_e64 s2, s[4:5], v[28:29]
	v_mov_b32_e32 v28, 0
	s_delay_alu instid0(VALU_DEP_2)
	s_and_saveexec_b32 s16, s2
	s_cbranch_execnz .LBB34_20
; %bb.16:                               ;   in Loop: Header=BB34_9 Depth=1
	s_or_b32 exec_lo, exec_lo, s16
	s_and_saveexec_b32 s3, vcc_lo
	s_cbranch_execnz .LBB34_21
.LBB34_17:                              ;   in Loop: Header=BB34_9 Depth=1
	s_or_b32 exec_lo, exec_lo, s3
	s_and_saveexec_b32 s3, s0
	s_cbranch_execnz .LBB34_22
.LBB34_18:                              ;   in Loop: Header=BB34_9 Depth=1
	s_or_b32 exec_lo, exec_lo, s3
	s_and_saveexec_b32 s0, s1
	s_cbranch_execnz .LBB34_23
.LBB34_19:                              ;   in Loop: Header=BB34_9 Depth=1
	s_or_b32 exec_lo, exec_lo, s0
	s_and_saveexec_b32 s0, s2
	s_cbranch_execz .LBB34_8
	s_branch .LBB34_24
.LBB34_20:                              ;   in Loop: Header=BB34_9 Depth=1
	v_add_co_u32 v28, s3, v7, s6
	s_delay_alu instid0(VALU_DEP_1) | instskip(SKIP_3) | instid1(VALU_DEP_1)
	v_add_co_ci_u32_e64 v29, s3, s7, v8, s3
	v_mov_b32_e32 v30, 0
	global_load_d16_hi_b16 v30, v[28:29], off
	v_add_co_u32 v28, s3, v9, s6
	v_add_co_ci_u32_e64 v29, s3, s7, v10, s3
	global_load_u16 v28, v[28:29], off
	s_waitcnt vmcnt(1)
	v_or_b32_e32 v2, v30, v2
	s_or_b32 exec_lo, exec_lo, s16
	s_and_saveexec_b32 s3, vcc_lo
	s_cbranch_execz .LBB34_17
.LBB34_21:                              ;   in Loop: Header=BB34_9 Depth=1
	v_lshlrev_b32_e32 v29, 16, v1
	s_waitcnt vmcnt(0)
	v_lshlrev_b32_e32 v26, 16, v26
	s_delay_alu instid0(VALU_DEP_1) | instskip(NEXT) | instid1(VALU_DEP_1)
	v_fma_f32 v26, -v26, s14, v29
	v_bfe_u32 v29, v26, 16, 1
	s_delay_alu instid0(VALU_DEP_1) | instskip(NEXT) | instid1(VALU_DEP_1)
	v_add3_u32 v29, v26, v29, 0x7fff
	v_lshrrev_b32_e32 v31, 16, v29
	v_add_co_u32 v29, vcc_lo, v3, s6
	v_add_co_ci_u32_e32 v30, vcc_lo, s7, v4, vcc_lo
	v_cmp_o_f32_e32 vcc_lo, v26, v26
	s_delay_alu instid0(VALU_DEP_4)
	v_cndmask_b32_e32 v26, 0x7fc0, v31, vcc_lo
	global_store_b16 v[29:30], v26, off
	s_or_b32 exec_lo, exec_lo, s3
	s_and_saveexec_b32 s3, s0
	s_cbranch_execz .LBB34_18
.LBB34_22:                              ;   in Loop: Header=BB34_9 Depth=1
	s_waitcnt vmcnt(0)
	v_and_b32_e32 v26, 0xffff0000, v1
	v_lshlrev_b32_e32 v27, 16, v27
	s_delay_alu instid0(VALU_DEP_1) | instskip(NEXT) | instid1(VALU_DEP_1)
	v_fma_f32 v26, -v27, s14, v26
	v_bfe_u32 v27, v26, 16, 1
	v_cmp_o_f32_e32 vcc_lo, v26, v26
	s_delay_alu instid0(VALU_DEP_2) | instskip(NEXT) | instid1(VALU_DEP_1)
	v_add3_u32 v27, v26, v27, 0x7fff
	v_lshrrev_b32_e32 v27, 16, v27
	s_delay_alu instid0(VALU_DEP_1)
	v_cndmask_b32_e32 v29, 0x7fc0, v27, vcc_lo
	v_add_co_u32 v26, vcc_lo, v21, s6
	v_add_co_ci_u32_e32 v27, vcc_lo, s7, v22, vcc_lo
	global_store_b16 v[26:27], v29, off
	s_or_b32 exec_lo, exec_lo, s3
	s_and_saveexec_b32 s0, s1
	s_cbranch_execz .LBB34_19
.LBB34_23:                              ;   in Loop: Header=BB34_9 Depth=1
	v_alignbit_b32 v1, v2, v1, 16
	s_waitcnt vmcnt(0)
	v_lshlrev_b32_e32 v25, 16, v25
	s_delay_alu instid0(VALU_DEP_2) | instskip(NEXT) | instid1(VALU_DEP_1)
	v_and_b32_e32 v1, 0xffff0000, v1
	v_fma_f32 v1, -v25, s14, v1
	s_delay_alu instid0(VALU_DEP_1) | instskip(SKIP_1) | instid1(VALU_DEP_2)
	v_bfe_u32 v25, v1, 16, 1
	v_cmp_o_f32_e32 vcc_lo, v1, v1
	v_add3_u32 v25, v1, v25, 0x7fff
	s_delay_alu instid0(VALU_DEP_1) | instskip(NEXT) | instid1(VALU_DEP_1)
	v_lshrrev_b32_e32 v25, 16, v25
	v_cndmask_b32_e32 v1, 0x7fc0, v25, vcc_lo
	v_add_co_u32 v25, vcc_lo, v13, s6
	v_add_co_ci_u32_e32 v26, vcc_lo, s7, v14, vcc_lo
	global_store_b16 v[25:26], v1, off
	s_or_b32 exec_lo, exec_lo, s0
	s_and_saveexec_b32 s0, s2
	s_cbranch_execz .LBB34_8
.LBB34_24:                              ;   in Loop: Header=BB34_9 Depth=1
	v_and_b32_e32 v1, 0xffff0000, v2
	s_waitcnt vmcnt(0)
	v_lshlrev_b32_e32 v2, 16, v28
	s_delay_alu instid0(VALU_DEP_1) | instskip(NEXT) | instid1(VALU_DEP_1)
	v_fma_f32 v1, -v2, s14, v1
	v_bfe_u32 v2, v1, 16, 1
	v_cmp_o_f32_e32 vcc_lo, v1, v1
	s_delay_alu instid0(VALU_DEP_2) | instskip(NEXT) | instid1(VALU_DEP_1)
	v_add3_u32 v2, v1, v2, 0x7fff
	v_lshrrev_b32_e32 v2, 16, v2
	s_delay_alu instid0(VALU_DEP_1)
	v_cndmask_b32_e32 v25, 0x7fc0, v2, vcc_lo
	v_add_co_u32 v1, vcc_lo, v7, s6
	v_add_co_ci_u32_e32 v2, vcc_lo, s7, v8, vcc_lo
	global_store_b16 v[1:2], v25, off
	s_branch .LBB34_8
.LBB34_25:
	s_nop 0
	s_sendmsg sendmsg(MSG_DEALLOC_VGPRS)
	s_endpgm
	.section	.rodata,"a",@progbits
	.p2align	6, 0x0
	.amdhsa_kernel _ZN2at6native12_GLOBAL__N_125multi_tensor_apply_kernelINS1_18TensorListMetadataILi2EEENS1_24BinaryOpListAlphaFunctorIN3c108BFloat16ELi2ELi2ELi0EEEJSt5minusIfEfEEEvT_T0_DpT1_
		.amdhsa_group_segment_fixed_size 0
		.amdhsa_private_segment_fixed_size 0
		.amdhsa_kernarg_size 3408
		.amdhsa_user_sgpr_count 15
		.amdhsa_user_sgpr_dispatch_ptr 0
		.amdhsa_user_sgpr_queue_ptr 0
		.amdhsa_user_sgpr_kernarg_segment_ptr 1
		.amdhsa_user_sgpr_dispatch_id 0
		.amdhsa_user_sgpr_private_segment_size 0
		.amdhsa_wavefront_size32 1
		.amdhsa_uses_dynamic_stack 0
		.amdhsa_enable_private_segment 0
		.amdhsa_system_sgpr_workgroup_id_x 1
		.amdhsa_system_sgpr_workgroup_id_y 0
		.amdhsa_system_sgpr_workgroup_id_z 0
		.amdhsa_system_sgpr_workgroup_info 0
		.amdhsa_system_vgpr_workitem_id 0
		.amdhsa_next_free_vgpr 32
		.amdhsa_next_free_sgpr 20
		.amdhsa_reserve_vcc 1
		.amdhsa_float_round_mode_32 0
		.amdhsa_float_round_mode_16_64 0
		.amdhsa_float_denorm_mode_32 3
		.amdhsa_float_denorm_mode_16_64 3
		.amdhsa_dx10_clamp 1
		.amdhsa_ieee_mode 1
		.amdhsa_fp16_overflow 0
		.amdhsa_workgroup_processor_mode 1
		.amdhsa_memory_ordered 1
		.amdhsa_forward_progress 0
		.amdhsa_shared_vgpr_count 0
		.amdhsa_exception_fp_ieee_invalid_op 0
		.amdhsa_exception_fp_denorm_src 0
		.amdhsa_exception_fp_ieee_div_zero 0
		.amdhsa_exception_fp_ieee_overflow 0
		.amdhsa_exception_fp_ieee_underflow 0
		.amdhsa_exception_fp_ieee_inexact 0
		.amdhsa_exception_int_div_zero 0
	.end_amdhsa_kernel
	.section	.text._ZN2at6native12_GLOBAL__N_125multi_tensor_apply_kernelINS1_18TensorListMetadataILi2EEENS1_24BinaryOpListAlphaFunctorIN3c108BFloat16ELi2ELi2ELi0EEEJSt5minusIfEfEEEvT_T0_DpT1_,"axG",@progbits,_ZN2at6native12_GLOBAL__N_125multi_tensor_apply_kernelINS1_18TensorListMetadataILi2EEENS1_24BinaryOpListAlphaFunctorIN3c108BFloat16ELi2ELi2ELi0EEEJSt5minusIfEfEEEvT_T0_DpT1_,comdat
.Lfunc_end34:
	.size	_ZN2at6native12_GLOBAL__N_125multi_tensor_apply_kernelINS1_18TensorListMetadataILi2EEENS1_24BinaryOpListAlphaFunctorIN3c108BFloat16ELi2ELi2ELi0EEEJSt5minusIfEfEEEvT_T0_DpT1_, .Lfunc_end34-_ZN2at6native12_GLOBAL__N_125multi_tensor_apply_kernelINS1_18TensorListMetadataILi2EEENS1_24BinaryOpListAlphaFunctorIN3c108BFloat16ELi2ELi2ELi0EEEJSt5minusIfEfEEEvT_T0_DpT1_
                                        ; -- End function
	.section	.AMDGPU.csdata,"",@progbits
; Kernel info:
; codeLenInByte = 2132
; NumSgprs: 22
; NumVgprs: 32
; ScratchSize: 0
; MemoryBound: 0
; FloatMode: 240
; IeeeMode: 1
; LDSByteSize: 0 bytes/workgroup (compile time only)
; SGPRBlocks: 2
; VGPRBlocks: 3
; NumSGPRsForWavesPerEU: 22
; NumVGPRsForWavesPerEU: 32
; Occupancy: 16
; WaveLimiterHint : 0
; COMPUTE_PGM_RSRC2:SCRATCH_EN: 0
; COMPUTE_PGM_RSRC2:USER_SGPR: 15
; COMPUTE_PGM_RSRC2:TRAP_HANDLER: 0
; COMPUTE_PGM_RSRC2:TGID_X_EN: 1
; COMPUTE_PGM_RSRC2:TGID_Y_EN: 0
; COMPUTE_PGM_RSRC2:TGID_Z_EN: 0
; COMPUTE_PGM_RSRC2:TIDIG_COMP_CNT: 0
	.section	.text._ZN2at6native12_GLOBAL__N_125multi_tensor_apply_kernelINS1_18TensorListMetadataILi2EEENS1_24BinaryOpListAlphaFunctorIN3c104HalfELi2ELi2ELi0EEEJSt5minusIfEfEEEvT_T0_DpT1_,"axG",@progbits,_ZN2at6native12_GLOBAL__N_125multi_tensor_apply_kernelINS1_18TensorListMetadataILi2EEENS1_24BinaryOpListAlphaFunctorIN3c104HalfELi2ELi2ELi0EEEJSt5minusIfEfEEEvT_T0_DpT1_,comdat
	.globl	_ZN2at6native12_GLOBAL__N_125multi_tensor_apply_kernelINS1_18TensorListMetadataILi2EEENS1_24BinaryOpListAlphaFunctorIN3c104HalfELi2ELi2ELi0EEEJSt5minusIfEfEEEvT_T0_DpT1_ ; -- Begin function _ZN2at6native12_GLOBAL__N_125multi_tensor_apply_kernelINS1_18TensorListMetadataILi2EEENS1_24BinaryOpListAlphaFunctorIN3c104HalfELi2ELi2ELi0EEEJSt5minusIfEfEEEvT_T0_DpT1_
	.p2align	8
	.type	_ZN2at6native12_GLOBAL__N_125multi_tensor_apply_kernelINS1_18TensorListMetadataILi2EEENS1_24BinaryOpListAlphaFunctorIN3c104HalfELi2ELi2ELi0EEEJSt5minusIfEfEEEvT_T0_DpT1_,@function
_ZN2at6native12_GLOBAL__N_125multi_tensor_apply_kernelINS1_18TensorListMetadataILi2EEENS1_24BinaryOpListAlphaFunctorIN3c104HalfELi2ELi2ELi0EEEJSt5minusIfEfEEEvT_T0_DpT1_: ; @_ZN2at6native12_GLOBAL__N_125multi_tensor_apply_kernelINS1_18TensorListMetadataILi2EEENS1_24BinaryOpListAlphaFunctorIN3c104HalfELi2ELi2ELi0EEEJSt5minusIfEfEEEvT_T0_DpT1_
; %bb.0:
	v_mov_b32_e32 v1, s15
	s_add_u32 s2, s0, s15
	s_mul_hi_u32 s3, s15, 3
	s_mul_i32 s15, s15, 3
	s_addc_u32 s4, s1, 0
	global_load_u8 v1, v1, s[0:1] offset:1536
	s_add_u32 s2, s2, s15
	s_addc_u32 s3, s4, s3
	s_mov_b32 s19, 0
	s_load_b32 s2, s[2:3], 0x740
	s_mov_b32 s21, s19
	s_mov_b32 s23, s19
	s_waitcnt vmcnt(0)
	v_readfirstlane_b32 s3, v1
	s_delay_alu instid0(VALU_DEP_1)
	s_lshl_b32 s3, s3, 3
	s_clause 0x3
	s_load_b64 s[10:11], s[0:1], s3 offset:0x0
	s_load_b64 s[12:13], s[0:1], s3 offset:0x200
	;; [unrolled: 1-line block ×3, first 2 shown]
	s_load_b32 s14, s[0:1], 0xc4c
	s_waitcnt lgkmcnt(0)
	s_ashr_i32 s3, s2, 31
	s_delay_alu instid0(SALU_CYCLE_1) | instskip(NEXT) | instid1(SALU_CYCLE_1)
	s_lshl_b64 s[4:5], s[2:3], 17
	s_add_u32 s8, s10, s4
	s_addc_u32 s9, s11, s5
	s_and_b32 s18, s8, 7
	s_add_u32 s15, s12, s4
	s_addc_u32 s16, s13, s5
	s_and_b32 s20, s6, 3
	s_and_b32 s22, s15, 7
	s_or_b64 s[18:19], s[18:19], s[20:21]
	s_lshl_b64 s[2:3], s[2:3], 16
	s_or_b64 s[18:19], s[22:23], s[18:19]
	s_sub_u32 s6, s6, s2
	s_subb_u32 s7, s7, s3
	s_cmp_eq_u64 s[18:19], 0
	s_mov_b32 s2, -1
	s_cbranch_scc0 .LBB35_5
; %bb.1:
	v_dual_mov_b32 v2, 0 :: v_dual_lshlrev_b32 v1, 2, v0
	s_mov_b32 s17, exec_lo
	s_delay_alu instid0(VALU_DEP_1)
	v_cmpx_gt_i64_e64 s[6:7], v[1:2]
	s_cbranch_execz .LBB35_4
; %bb.2:
	s_load_b32 s2, s[0:1], 0xc5c
	v_lshlrev_b32_e32 v3, 3, v0
	s_mov_b32 s18, 0
	s_waitcnt lgkmcnt(0)
	s_and_b32 s2, s2, 0xffff
	s_delay_alu instid0(SALU_CYCLE_1)
	v_add_lshl_u32 v1, v0, s2, 2
	s_lshl_b32 s19, s2, 2
	s_lshl_b32 s20, s2, 3
	s_set_inst_prefetch_distance 0x1
	.p2align	6
.LBB35_3:                               ; =>This Inner Loop Header: Depth=1
	v_add_co_u32 v4, s2, s8, v3
	s_delay_alu instid0(VALU_DEP_1) | instskip(SKIP_1) | instid1(VALU_DEP_1)
	v_add_co_ci_u32_e64 v5, null, s9, 0, s2
	v_add_co_u32 v6, s2, s15, v3
	v_add_co_ci_u32_e64 v7, null, s16, 0, s2
	global_load_b64 v[8:9], v[4:5], off
	global_load_b64 v[6:7], v[6:7], off
	v_cmp_le_i64_e32 vcc_lo, s[6:7], v[1:2]
	v_cmp_lt_u64_e64 s2, 0xffff, v[1:2]
	v_add_co_u32 v1, s3, v1, s19
	s_delay_alu instid0(VALU_DEP_1) | instskip(NEXT) | instid1(VALU_DEP_3)
	v_add_co_ci_u32_e64 v2, s3, 0, v2, s3
	s_or_b32 s2, vcc_lo, s2
	s_add_u32 s8, s8, s20
	s_addc_u32 s9, s9, 0
	s_add_u32 s15, s15, s20
	s_addc_u32 s16, s16, 0
	s_and_b32 s2, exec_lo, s2
	s_delay_alu instid0(SALU_CYCLE_1) | instskip(SKIP_3) | instid1(VALU_DEP_2)
	s_or_b32 s18, s2, s18
	s_waitcnt vmcnt(0)
	v_fma_mixlo_f16 v11, -v7, s14, v9 op_sel_hi:[1,0,1]
	v_fma_mixlo_f16 v10, -v6, s14, v8 op_sel_hi:[1,0,1]
	v_fma_mixhi_f16 v11, -v7, s14, v9 op_sel:[1,0,1] op_sel_hi:[1,0,1]
	s_delay_alu instid0(VALU_DEP_2)
	v_fma_mixhi_f16 v10, -v6, s14, v8 op_sel:[1,0,1] op_sel_hi:[1,0,1]
	global_store_b64 v[4:5], v[10:11], off
	s_and_not1_b32 exec_lo, exec_lo, s18
	s_cbranch_execnz .LBB35_3
.LBB35_4:
	s_set_inst_prefetch_distance 0x2
	s_or_b32 exec_lo, exec_lo, s17
	s_mov_b32 s2, 0
.LBB35_5:
	s_delay_alu instid0(SALU_CYCLE_1)
	s_and_not1_b32 vcc_lo, exec_lo, s2
	s_cbranch_vccnz .LBB35_25
; %bb.6:
	v_cmp_lt_i64_e64 s2, s[6:7], 1
	s_delay_alu instid0(VALU_DEP_1)
	s_and_b32 vcc_lo, exec_lo, s2
	s_cbranch_vccnz .LBB35_25
; %bb.7:
	s_load_b32 s0, s[0:1], 0xc5c
	v_dual_mov_b32 v10, 0 :: v_dual_lshlrev_b32 v9, 1, v0
	v_cmp_gt_u64_e64 s1, 0x10000, s[6:7]
	s_delay_alu instid0(VALU_DEP_2) | instskip(NEXT) | instid1(VALU_DEP_1)
	v_add_co_u32 v1, s2, s10, v9
	v_add_co_ci_u32_e64 v2, null, s11, 0, s2
	v_add_co_u32 v3, s2, s12, v9
	s_delay_alu instid0(VALU_DEP_1)
	v_add_co_ci_u32_e64 v4, null, s13, 0, s2
	s_waitcnt lgkmcnt(0)
	s_and_b32 s0, s0, 0xffff
	s_and_b32 s1, s1, exec_lo
	v_mad_u64_u32 v[7:8], null, s0, 6, v[9:10]
	s_cselect_b32 s9, s7, 0
	s_cselect_b32 s8, s6, 0x10000
	s_mul_i32 s2, s0, 3
	s_lshl_b32 s15, s0, 2
	s_lshl_b32 s1, s0, 1
	v_add_co_u32 v14, s3, s15, v9
	v_add_co_u32 v9, s2, s2, v0
	s_delay_alu instid0(VALU_DEP_1) | instskip(SKIP_3) | instid1(VALU_DEP_3)
	v_add_co_ci_u32_e64 v10, null, 0, 0, s2
	v_add_co_u32 v13, s2, v0, s0
	v_add_co_u32 v5, vcc_lo, s10, v7
	v_add_co_ci_u32_e32 v6, vcc_lo, s11, v8, vcc_lo
	v_lshlrev_b32_e32 v21, 1, v13
	v_add_co_u32 v7, vcc_lo, s12, v7
	v_add_co_ci_u32_e64 v15, null, 0, 0, s3
	v_add_co_ci_u32_e32 v8, vcc_lo, s13, v8, vcc_lo
	v_add_co_u32 v17, s1, s1, v0
	v_add_co_u32 v11, vcc_lo, s10, v14
	v_add_co_ci_u32_e64 v18, null, 0, 0, s1
	v_add_co_u32 v19, s1, s10, v21
	v_add_co_ci_u32_e32 v12, vcc_lo, s11, v15, vcc_lo
	v_add_co_u32 v14, vcc_lo, s12, v14
	v_add_co_ci_u32_e64 v20, null, s11, 0, s1
	v_add_co_u32 v21, s1, s12, v21
	v_add_co_ci_u32_e32 v15, vcc_lo, s13, v15, vcc_lo
	v_add_co_ci_u32_e64 v16, null, 0, 0, s2
	v_add_co_ci_u32_e64 v22, null, s13, 0, s1
	s_lshl_b32 s12, s0, 3
	s_mov_b64 s[10:11], 0
	s_branch .LBB35_9
.LBB35_8:                               ;   in Loop: Header=BB35_9 Depth=1
	s_or_b32 exec_lo, exec_lo, s0
	v_add_co_u32 v1, vcc_lo, v1, s12
	v_add_co_ci_u32_e32 v2, vcc_lo, 0, v2, vcc_lo
	v_add_co_u32 v3, vcc_lo, v3, s12
	v_add_co_ci_u32_e32 v4, vcc_lo, 0, v4, vcc_lo
	;; [unrolled: 2-line block ×5, first 2 shown]
	s_add_u32 s10, s10, s15
	v_add_co_u32 v14, vcc_lo, v14, s12
	s_addc_u32 s11, s11, 0
	v_add_co_ci_u32_e32 v15, vcc_lo, 0, v15, vcc_lo
	v_cmp_ge_i64_e64 s0, s[10:11], s[6:7]
	v_cmp_lt_u64_e64 s1, 0xffff, s[10:11]
	v_add_co_u32 v19, vcc_lo, v19, s12
	v_add_co_ci_u32_e32 v20, vcc_lo, 0, v20, vcc_lo
	v_add_co_u32 v21, vcc_lo, v21, s12
	v_add_co_ci_u32_e32 v22, vcc_lo, 0, v22, vcc_lo
	s_or_b32 s0, s0, s1
	s_delay_alu instid0(SALU_CYCLE_1)
	s_and_b32 vcc_lo, exec_lo, s0
	s_cbranch_vccnz .LBB35_25
.LBB35_9:                               ; =>This Inner Loop Header: Depth=1
	s_waitcnt vmcnt(1)
	v_add_co_u32 v23, s0, v0, s10
	s_waitcnt vmcnt(0)
	v_add_co_ci_u32_e64 v24, null, 0, s11, s0
	s_delay_alu instid0(VALU_DEP_1)
	v_cmp_gt_u64_e32 vcc_lo, s[8:9], v[23:24]
	v_dual_mov_b32 v23, 0 :: v_dual_mov_b32 v24, 0
	s_and_saveexec_b32 s1, vcc_lo
	s_cbranch_execz .LBB35_11
; %bb.10:                               ;   in Loop: Header=BB35_9 Depth=1
	v_add_co_u32 v23, s0, v1, s4
	s_delay_alu instid0(VALU_DEP_1) | instskip(SKIP_1) | instid1(VALU_DEP_1)
	v_add_co_ci_u32_e64 v24, s0, s5, v2, s0
	v_add_co_u32 v25, s0, v3, s4
	v_add_co_ci_u32_e64 v26, s0, s5, v4, s0
	global_load_u16 v23, v[23:24], off
	global_load_u16 v24, v[25:26], off
.LBB35_11:                              ;   in Loop: Header=BB35_9 Depth=1
	s_or_b32 exec_lo, exec_lo, s1
	v_add_co_u32 v26, s0, v13, s10
	s_delay_alu instid0(VALU_DEP_1) | instskip(SKIP_1) | instid1(VALU_DEP_2)
	v_add_co_ci_u32_e64 v27, s0, s11, v16, s0
	v_mov_b32_e32 v25, 0
	v_cmp_gt_u64_e64 s0, s[8:9], v[26:27]
	v_dual_mov_b32 v26, 0 :: v_dual_mov_b32 v27, 0
	s_delay_alu instid0(VALU_DEP_2)
	s_and_saveexec_b32 s2, s0
	s_cbranch_execz .LBB35_13
; %bb.12:                               ;   in Loop: Header=BB35_9 Depth=1
	v_add_co_u32 v26, s1, v19, s4
	s_delay_alu instid0(VALU_DEP_1) | instskip(SKIP_1) | instid1(VALU_DEP_1)
	v_add_co_ci_u32_e64 v27, s1, s5, v20, s1
	v_add_co_u32 v28, s1, v21, s4
	v_add_co_ci_u32_e64 v29, s1, s5, v22, s1
	global_load_u16 v26, v[26:27], off
	global_load_u16 v27, v[28:29], off
.LBB35_13:                              ;   in Loop: Header=BB35_9 Depth=1
	s_or_b32 exec_lo, exec_lo, s2
	v_add_co_u32 v28, s1, v17, s10
	s_delay_alu instid0(VALU_DEP_1) | instskip(NEXT) | instid1(VALU_DEP_1)
	v_add_co_ci_u32_e64 v29, s1, s11, v18, s1
	v_cmp_gt_u64_e64 s1, s[8:9], v[28:29]
	v_mov_b32_e32 v28, 0
	s_delay_alu instid0(VALU_DEP_2)
	s_and_saveexec_b32 s3, s1
	s_cbranch_execz .LBB35_15
; %bb.14:                               ;   in Loop: Header=BB35_9 Depth=1
	v_add_co_u32 v28, s2, v11, s4
	s_delay_alu instid0(VALU_DEP_1) | instskip(SKIP_1) | instid1(VALU_DEP_1)
	v_add_co_ci_u32_e64 v29, s2, s5, v12, s2
	v_add_co_u32 v30, s2, v14, s4
	v_add_co_ci_u32_e64 v31, s2, s5, v15, s2
	global_load_u16 v25, v[28:29], off
	global_load_u16 v28, v[30:31], off
.LBB35_15:                              ;   in Loop: Header=BB35_9 Depth=1
	s_or_b32 exec_lo, exec_lo, s3
	v_add_co_u32 v29, s2, v9, s10
	s_delay_alu instid0(VALU_DEP_1) | instskip(NEXT) | instid1(VALU_DEP_1)
	v_add_co_ci_u32_e64 v30, s2, s11, v10, s2
	v_cmp_gt_u64_e64 s2, s[8:9], v[29:30]
	v_dual_mov_b32 v29, 0 :: v_dual_mov_b32 v30, 0
	s_delay_alu instid0(VALU_DEP_2)
	s_and_saveexec_b32 s13, s2
	s_cbranch_execnz .LBB35_20
; %bb.16:                               ;   in Loop: Header=BB35_9 Depth=1
	s_or_b32 exec_lo, exec_lo, s13
	s_and_saveexec_b32 s3, vcc_lo
	s_cbranch_execnz .LBB35_21
.LBB35_17:                              ;   in Loop: Header=BB35_9 Depth=1
	s_or_b32 exec_lo, exec_lo, s3
	s_and_saveexec_b32 s3, s0
	s_cbranch_execnz .LBB35_22
.LBB35_18:                              ;   in Loop: Header=BB35_9 Depth=1
	s_or_b32 exec_lo, exec_lo, s3
	s_and_saveexec_b32 s0, s1
	s_cbranch_execnz .LBB35_23
.LBB35_19:                              ;   in Loop: Header=BB35_9 Depth=1
	s_or_b32 exec_lo, exec_lo, s0
	s_and_saveexec_b32 s0, s2
	s_cbranch_execz .LBB35_8
	s_branch .LBB35_24
.LBB35_20:                              ;   in Loop: Header=BB35_9 Depth=1
	v_add_co_u32 v29, s3, v5, s4
	s_delay_alu instid0(VALU_DEP_1) | instskip(SKIP_1) | instid1(VALU_DEP_1)
	v_add_co_ci_u32_e64 v30, s3, s5, v6, s3
	v_add_co_u32 v31, s3, v7, s4
	v_add_co_ci_u32_e64 v32, s3, s5, v8, s3
	global_load_u16 v29, v[29:30], off
	global_load_u16 v30, v[31:32], off
	s_or_b32 exec_lo, exec_lo, s13
	s_and_saveexec_b32 s3, vcc_lo
	s_cbranch_execz .LBB35_17
.LBB35_21:                              ;   in Loop: Header=BB35_9 Depth=1
	v_add_co_u32 v31, vcc_lo, v1, s4
	v_add_co_ci_u32_e32 v32, vcc_lo, s5, v2, vcc_lo
	s_waitcnt vmcnt(0)
	v_fma_mixlo_f16 v23, -v24, s14, v23 op_sel_hi:[1,0,1]
	global_store_b16 v[31:32], v23, off
	s_or_b32 exec_lo, exec_lo, s3
	s_and_saveexec_b32 s3, s0
	s_cbranch_execz .LBB35_18
.LBB35_22:                              ;   in Loop: Header=BB35_9 Depth=1
	s_waitcnt vmcnt(1)
	v_add_co_u32 v23, vcc_lo, v19, s4
	s_waitcnt vmcnt(0)
	v_fma_mixlo_f16 v26, -v27, s14, v26 op_sel_hi:[1,0,1]
	v_add_co_ci_u32_e32 v24, vcc_lo, s5, v20, vcc_lo
	global_store_b16 v[23:24], v26, off
	s_or_b32 exec_lo, exec_lo, s3
	s_and_saveexec_b32 s0, s1
	s_cbranch_execz .LBB35_19
.LBB35_23:                              ;   in Loop: Header=BB35_9 Depth=1
	s_waitcnt vmcnt(1)
	v_add_co_u32 v23, vcc_lo, v11, s4
	s_waitcnt vmcnt(0)
	v_fma_mixlo_f16 v25, -v28, s14, v25 op_sel_hi:[1,0,1]
	v_add_co_ci_u32_e32 v24, vcc_lo, s5, v12, vcc_lo
	global_store_b16 v[23:24], v25, off
	s_or_b32 exec_lo, exec_lo, s0
	s_and_saveexec_b32 s0, s2
	s_cbranch_execz .LBB35_8
.LBB35_24:                              ;   in Loop: Header=BB35_9 Depth=1
	s_waitcnt vmcnt(1)
	v_add_co_u32 v23, vcc_lo, v5, s4
	s_waitcnt vmcnt(0)
	v_fma_mixlo_f16 v25, -v30, s14, v29 op_sel_hi:[1,0,1]
	v_add_co_ci_u32_e32 v24, vcc_lo, s5, v6, vcc_lo
	global_store_b16 v[23:24], v25, off
	s_branch .LBB35_8
.LBB35_25:
	s_nop 0
	s_sendmsg sendmsg(MSG_DEALLOC_VGPRS)
	s_endpgm
	.section	.rodata,"a",@progbits
	.p2align	6, 0x0
	.amdhsa_kernel _ZN2at6native12_GLOBAL__N_125multi_tensor_apply_kernelINS1_18TensorListMetadataILi2EEENS1_24BinaryOpListAlphaFunctorIN3c104HalfELi2ELi2ELi0EEEJSt5minusIfEfEEEvT_T0_DpT1_
		.amdhsa_group_segment_fixed_size 0
		.amdhsa_private_segment_fixed_size 0
		.amdhsa_kernarg_size 3408
		.amdhsa_user_sgpr_count 15
		.amdhsa_user_sgpr_dispatch_ptr 0
		.amdhsa_user_sgpr_queue_ptr 0
		.amdhsa_user_sgpr_kernarg_segment_ptr 1
		.amdhsa_user_sgpr_dispatch_id 0
		.amdhsa_user_sgpr_private_segment_size 0
		.amdhsa_wavefront_size32 1
		.amdhsa_uses_dynamic_stack 0
		.amdhsa_enable_private_segment 0
		.amdhsa_system_sgpr_workgroup_id_x 1
		.amdhsa_system_sgpr_workgroup_id_y 0
		.amdhsa_system_sgpr_workgroup_id_z 0
		.amdhsa_system_sgpr_workgroup_info 0
		.amdhsa_system_vgpr_workitem_id 0
		.amdhsa_next_free_vgpr 33
		.amdhsa_next_free_sgpr 24
		.amdhsa_reserve_vcc 1
		.amdhsa_float_round_mode_32 0
		.amdhsa_float_round_mode_16_64 0
		.amdhsa_float_denorm_mode_32 3
		.amdhsa_float_denorm_mode_16_64 3
		.amdhsa_dx10_clamp 1
		.amdhsa_ieee_mode 1
		.amdhsa_fp16_overflow 0
		.amdhsa_workgroup_processor_mode 1
		.amdhsa_memory_ordered 1
		.amdhsa_forward_progress 0
		.amdhsa_shared_vgpr_count 0
		.amdhsa_exception_fp_ieee_invalid_op 0
		.amdhsa_exception_fp_denorm_src 0
		.amdhsa_exception_fp_ieee_div_zero 0
		.amdhsa_exception_fp_ieee_overflow 0
		.amdhsa_exception_fp_ieee_underflow 0
		.amdhsa_exception_fp_ieee_inexact 0
		.amdhsa_exception_int_div_zero 0
	.end_amdhsa_kernel
	.section	.text._ZN2at6native12_GLOBAL__N_125multi_tensor_apply_kernelINS1_18TensorListMetadataILi2EEENS1_24BinaryOpListAlphaFunctorIN3c104HalfELi2ELi2ELi0EEEJSt5minusIfEfEEEvT_T0_DpT1_,"axG",@progbits,_ZN2at6native12_GLOBAL__N_125multi_tensor_apply_kernelINS1_18TensorListMetadataILi2EEENS1_24BinaryOpListAlphaFunctorIN3c104HalfELi2ELi2ELi0EEEJSt5minusIfEfEEEvT_T0_DpT1_,comdat
.Lfunc_end35:
	.size	_ZN2at6native12_GLOBAL__N_125multi_tensor_apply_kernelINS1_18TensorListMetadataILi2EEENS1_24BinaryOpListAlphaFunctorIN3c104HalfELi2ELi2ELi0EEEJSt5minusIfEfEEEvT_T0_DpT1_, .Lfunc_end35-_ZN2at6native12_GLOBAL__N_125multi_tensor_apply_kernelINS1_18TensorListMetadataILi2EEENS1_24BinaryOpListAlphaFunctorIN3c104HalfELi2ELi2ELi0EEEJSt5minusIfEfEEEvT_T0_DpT1_
                                        ; -- End function
	.section	.AMDGPU.csdata,"",@progbits
; Kernel info:
; codeLenInByte = 1576
; NumSgprs: 26
; NumVgprs: 33
; ScratchSize: 0
; MemoryBound: 0
; FloatMode: 240
; IeeeMode: 1
; LDSByteSize: 0 bytes/workgroup (compile time only)
; SGPRBlocks: 3
; VGPRBlocks: 4
; NumSGPRsForWavesPerEU: 26
; NumVGPRsForWavesPerEU: 33
; Occupancy: 16
; WaveLimiterHint : 0
; COMPUTE_PGM_RSRC2:SCRATCH_EN: 0
; COMPUTE_PGM_RSRC2:USER_SGPR: 15
; COMPUTE_PGM_RSRC2:TRAP_HANDLER: 0
; COMPUTE_PGM_RSRC2:TGID_X_EN: 1
; COMPUTE_PGM_RSRC2:TGID_Y_EN: 0
; COMPUTE_PGM_RSRC2:TGID_Z_EN: 0
; COMPUTE_PGM_RSRC2:TIDIG_COMP_CNT: 0
	.section	.text._ZN2at6native12_GLOBAL__N_125multi_tensor_apply_kernelINS1_18TensorListMetadataILi3EEENS1_24BinaryOpListAlphaFunctorIhLi3ELi2ELi2EEEJSt5minusIhEhEEEvT_T0_DpT1_,"axG",@progbits,_ZN2at6native12_GLOBAL__N_125multi_tensor_apply_kernelINS1_18TensorListMetadataILi3EEENS1_24BinaryOpListAlphaFunctorIhLi3ELi2ELi2EEEJSt5minusIhEhEEEvT_T0_DpT1_,comdat
	.globl	_ZN2at6native12_GLOBAL__N_125multi_tensor_apply_kernelINS1_18TensorListMetadataILi3EEENS1_24BinaryOpListAlphaFunctorIhLi3ELi2ELi2EEEJSt5minusIhEhEEEvT_T0_DpT1_ ; -- Begin function _ZN2at6native12_GLOBAL__N_125multi_tensor_apply_kernelINS1_18TensorListMetadataILi3EEENS1_24BinaryOpListAlphaFunctorIhLi3ELi2ELi2EEEJSt5minusIhEhEEEvT_T0_DpT1_
	.p2align	8
	.type	_ZN2at6native12_GLOBAL__N_125multi_tensor_apply_kernelINS1_18TensorListMetadataILi3EEENS1_24BinaryOpListAlphaFunctorIhLi3ELi2ELi2EEEJSt5minusIhEhEEEvT_T0_DpT1_,@function
_ZN2at6native12_GLOBAL__N_125multi_tensor_apply_kernelINS1_18TensorListMetadataILi3EEENS1_24BinaryOpListAlphaFunctorIhLi3ELi2ELi2EEEJSt5minusIhEhEEEvT_T0_DpT1_: ; @_ZN2at6native12_GLOBAL__N_125multi_tensor_apply_kernelINS1_18TensorListMetadataILi3EEENS1_24BinaryOpListAlphaFunctorIhLi3ELi2ELi2EEEJSt5minusIhEhEEEvT_T0_DpT1_
; %bb.0:
	v_mov_b32_e32 v1, s15
	s_add_u32 s2, s0, s15
	s_mul_hi_u32 s3, s15, 3
	s_mul_i32 s15, s15, 3
	s_addc_u32 s4, s1, 0
	global_load_u8 v1, v1, s[0:1] offset:1536
	s_add_u32 s2, s2, s15
	s_addc_u32 s3, s4, s3
	s_load_b32 s2, s[2:3], 0x740
	s_waitcnt vmcnt(0)
	v_readfirstlane_b32 s3, v1
	s_delay_alu instid0(VALU_DEP_1)
	s_lshl_b32 s3, s3, 3
	s_clause 0x3
	s_load_b64 s[8:9], s[0:1], s3 offset:0x0
	s_load_b64 s[10:11], s[0:1], s3 offset:0x180
	;; [unrolled: 1-line block ×4, first 2 shown]
	s_waitcnt lgkmcnt(0)
	s_ashr_i32 s3, s2, 31
	s_delay_alu instid0(SALU_CYCLE_1)
	s_lshl_b64 s[14:15], s[2:3], 16
	s_load_b32 s3, s[0:1], 0xc48
	s_add_u32 s6, s8, s14
	s_addc_u32 s7, s9, s15
	s_add_u32 s16, s10, s14
	s_addc_u32 s17, s11, s15
	;; [unrolled: 2-line block ×3, first 2 shown]
	s_or_b32 s2, s18, s16
	s_delay_alu instid0(SALU_CYCLE_1) | instskip(NEXT) | instid1(SALU_CYCLE_1)
	s_and_b32 s2, s2, 3
	s_cmp_lg_u32 s2, 0
	s_cselect_b32 s2, -1, 0
	s_sub_u32 s4, s20, s14
	s_subb_u32 s5, s21, s15
	s_or_b64 s[20:21], s[20:21], s[6:7]
	s_mov_b32 s21, 0
	s_and_b32 s20, s20, 3
	s_delay_alu instid0(SALU_CYCLE_1) | instskip(SKIP_1) | instid1(SALU_CYCLE_1)
	s_cmp_lg_u64 s[20:21], 0
	s_cselect_b32 s20, -1, 0
	s_or_b32 s2, s2, s20
	s_delay_alu instid0(SALU_CYCLE_1)
	s_and_not1_b32 vcc_lo, exec_lo, s2
	s_mov_b32 s2, -1
	s_cbranch_vccz .LBB36_5
; %bb.1:
	v_dual_mov_b32 v2, 0 :: v_dual_lshlrev_b32 v1, 2, v0
	s_mov_b32 s20, exec_lo
	s_delay_alu instid0(VALU_DEP_1)
	v_cmpx_gt_i64_e64 s[4:5], v[1:2]
	s_cbranch_execz .LBB36_4
; %bb.2:
	s_load_b32 s2, s[0:1], 0xc5c
	s_waitcnt lgkmcnt(0)
	s_lshr_b32 s23, s3, 16
	s_and_b32 s2, s2, 0xffff
	s_delay_alu instid0(SALU_CYCLE_1)
	s_lshl_b32 s22, s2, 2
.LBB36_3:                               ; =>This Inner Loop Header: Depth=1
	v_add_co_u32 v3, vcc_lo, s16, v1
	v_add_co_ci_u32_e32 v4, vcc_lo, s17, v2, vcc_lo
	v_add_co_u32 v5, vcc_lo, s6, v1
	v_add_co_ci_u32_e32 v6, vcc_lo, s7, v2, vcc_lo
	global_load_b32 v7, v[3:4], off
	global_load_b32 v5, v[5:6], off
	v_add_co_u32 v3, vcc_lo, s18, v1
	v_add_co_ci_u32_e32 v4, vcc_lo, s19, v2, vcc_lo
	v_add_co_u32 v1, vcc_lo, s22, v1
	v_add_co_ci_u32_e32 v2, vcc_lo, 0, v2, vcc_lo
	s_delay_alu instid0(VALU_DEP_1) | instskip(SKIP_1) | instid1(VALU_DEP_1)
	v_cmp_le_i64_e32 vcc_lo, s[4:5], v[1:2]
	v_cmp_lt_u64_e64 s2, 0xffff, v[1:2]
	s_or_b32 s2, vcc_lo, s2
	s_delay_alu instid0(SALU_CYCLE_1) | instskip(NEXT) | instid1(SALU_CYCLE_1)
	s_and_b32 s2, exec_lo, s2
	s_or_b32 s21, s2, s21
	s_waitcnt vmcnt(1)
	v_lshrrev_b32_e32 v8, 8, v7
	v_lshrrev_b32_e32 v9, 16, v7
	v_mul_lo_u16 v6, v7, s23
	s_waitcnt vmcnt(0)
	v_lshrrev_b32_e32 v10, 8, v5
	v_lshrrev_b32_e32 v11, 16, v5
	;; [unrolled: 1-line block ×3, first 2 shown]
	v_mul_lo_u16 v8, v8, s23
	v_mul_lo_u16 v9, v9, s23
	v_lshrrev_b32_e32 v12, 24, v5
	v_sub_nc_u16 v5, v5, v6
	v_mul_lo_u16 v7, v7, s23
	v_sub_nc_u16 v8, v10, v8
	v_sub_nc_u16 v9, v11, v9
	s_delay_alu instid0(VALU_DEP_3) | instskip(NEXT) | instid1(VALU_DEP_3)
	v_sub_nc_u16 v6, v12, v7
	v_and_b32_e32 v7, 0xff, v8
	s_delay_alu instid0(VALU_DEP_3) | instskip(NEXT) | instid1(VALU_DEP_3)
	v_and_b32_e32 v8, 0xff, v9
	v_lshlrev_b32_e32 v6, 24, v6
	s_delay_alu instid0(VALU_DEP_3) | instskip(NEXT) | instid1(VALU_DEP_3)
	v_perm_b32 v5, v7, v5, 0x6050400
	v_lshlrev_b32_e32 v7, 16, v8
	s_delay_alu instid0(VALU_DEP_1)
	v_or3_b32 v5, v5, v7, v6
	global_store_b32 v[3:4], v5, off
	s_and_not1_b32 exec_lo, exec_lo, s21
	s_cbranch_execnz .LBB36_3
.LBB36_4:
	s_or_b32 exec_lo, exec_lo, s20
	s_mov_b32 s2, 0
.LBB36_5:
	s_delay_alu instid0(SALU_CYCLE_1)
	s_and_not1_b32 vcc_lo, exec_lo, s2
	s_cbranch_vccnz .LBB36_25
; %bb.6:
	v_cmp_lt_i64_e64 s2, s[4:5], 1
	s_delay_alu instid0(VALU_DEP_1)
	s_and_b32 vcc_lo, exec_lo, s2
	s_cbranch_vccnz .LBB36_25
; %bb.7:
	s_load_b32 s0, s[0:1], 0xc5c
	v_add_co_u32 v21, s1, s14, v0
	s_delay_alu instid0(VALU_DEP_1) | instskip(SKIP_1) | instid1(VALU_DEP_3)
	v_add_co_ci_u32_e64 v22, null, s15, 0, s1
	v_cmp_gt_u64_e64 s1, 0x10000, s[4:5]
	v_add_co_u32 v1, vcc_lo, s8, v21
	s_delay_alu instid0(VALU_DEP_3)
	v_add_co_ci_u32_e32 v2, vcc_lo, s9, v22, vcc_lo
	v_add_co_u32 v3, vcc_lo, s10, v21
	v_add_co_ci_u32_e32 v4, vcc_lo, s11, v22, vcc_lo
	v_add_co_u32 v5, vcc_lo, s12, v21
	v_add_co_ci_u32_e32 v6, vcc_lo, s13, v22, vcc_lo
	s_waitcnt lgkmcnt(0)
	s_and_b32 s0, s0, 0xffff
	s_and_b32 s1, s1, exec_lo
	s_mul_i32 s2, s0, 3
	s_cselect_b32 s7, s5, 0
	s_cselect_b32 s6, s4, 0x10000
	s_lshl_b32 s1, s0, 1
	s_lshl_b32 s16, s0, 2
	s_add_u32 s17, s14, s2
	s_addc_u32 s18, s15, 0
	v_add_co_u32 v11, s17, s17, v0
	s_delay_alu instid0(VALU_DEP_1) | instskip(SKIP_1) | instid1(VALU_DEP_2)
	v_add_co_ci_u32_e64 v12, null, s18, 0, s17
	s_add_u32 s14, s14, s1
	v_add_co_u32 v7, vcc_lo, s8, v11
	s_delay_alu instid0(VALU_DEP_2)
	v_add_co_ci_u32_e32 v8, vcc_lo, s9, v12, vcc_lo
	v_add_co_u32 v9, vcc_lo, s10, v11
	s_addc_u32 s15, s15, 0
	v_add_co_u32 v19, s14, s14, v0
	v_add_co_ci_u32_e32 v10, vcc_lo, s11, v12, vcc_lo
	v_add_co_u32 v11, vcc_lo, s12, v11
	v_add_co_ci_u32_e64 v20, null, s15, 0, s14
	v_add_co_ci_u32_e32 v12, vcc_lo, s13, v12, vcc_lo
	v_add_co_u32 v15, vcc_lo, s8, v19
	s_delay_alu instid0(VALU_DEP_3)
	v_add_co_ci_u32_e32 v16, vcc_lo, s9, v20, vcc_lo
	v_add_co_u32 v17, vcc_lo, s10, v19
	v_add_co_ci_u32_e32 v18, vcc_lo, s11, v20, vcc_lo
	v_add_co_u32 v19, vcc_lo, s12, v19
	;; [unrolled: 2-line block ×3, first 2 shown]
	v_add_co_ci_u32_e32 v28, vcc_lo, 0, v22, vcc_lo
	v_add_co_u32 v13, s2, s2, v0
	s_delay_alu instid0(VALU_DEP_3) | instskip(NEXT) | instid1(VALU_DEP_3)
	v_add_co_u32 v23, vcc_lo, s8, v27
	v_add_co_ci_u32_e32 v24, vcc_lo, s9, v28, vcc_lo
	v_add_co_u32 v25, vcc_lo, s10, v27
	v_add_co_ci_u32_e32 v26, vcc_lo, s11, v28, vcc_lo
	v_add_co_u32 v21, s1, s1, v0
	v_add_co_u32 v27, vcc_lo, s12, v27
	v_add_co_u32 v29, s0, v0, s0
	v_add_co_ci_u32_e64 v14, null, 0, 0, s2
	v_add_co_ci_u32_e64 v22, null, 0, 0, s1
	v_add_co_ci_u32_e32 v28, vcc_lo, s13, v28, vcc_lo
	v_add_co_ci_u32_e64 v30, null, 0, 0, s0
	s_mov_b64 s[8:9], 0
	s_lshr_b32 s10, s3, 16
	s_branch .LBB36_9
.LBB36_8:                               ;   in Loop: Header=BB36_9 Depth=1
	s_or_b32 exec_lo, exec_lo, s0
	s_add_u32 s8, s8, s16
	s_addc_u32 s9, s9, 0
	s_delay_alu instid0(SALU_CYCLE_1) | instskip(SKIP_1) | instid1(VALU_DEP_1)
	v_cmp_ge_i64_e64 s0, s[8:9], s[4:5]
	v_cmp_lt_u64_e64 s1, 0xffff, s[8:9]
	s_or_b32 s0, s0, s1
	s_delay_alu instid0(SALU_CYCLE_1)
	s_and_b32 vcc_lo, exec_lo, s0
	s_cbranch_vccnz .LBB36_25
.LBB36_9:                               ; =>This Inner Loop Header: Depth=1
	s_waitcnt vmcnt(0)
	v_add_co_u32 v33, s0, v0, s8
	s_delay_alu instid0(VALU_DEP_1) | instskip(SKIP_1) | instid1(VALU_DEP_2)
	v_add_co_ci_u32_e64 v34, null, 0, s9, s0
	v_dual_mov_b32 v32, 0 :: v_dual_mov_b32 v31, 0
	v_cmp_gt_u64_e32 vcc_lo, s[6:7], v[33:34]
	v_mov_b32_e32 v33, 0
	s_and_saveexec_b32 s1, vcc_lo
	s_cbranch_execz .LBB36_11
; %bb.10:                               ;   in Loop: Header=BB36_9 Depth=1
	v_add_co_u32 v33, s0, v1, s8
	s_delay_alu instid0(VALU_DEP_1) | instskip(SKIP_1) | instid1(VALU_DEP_1)
	v_add_co_ci_u32_e64 v34, s0, s9, v2, s0
	v_add_co_u32 v35, s0, v3, s8
	v_add_co_ci_u32_e64 v36, s0, s9, v4, s0
	global_load_u8 v31, v[33:34], off
	global_load_u8 v33, v[35:36], off
.LBB36_11:                              ;   in Loop: Header=BB36_9 Depth=1
	s_or_b32 exec_lo, exec_lo, s1
	v_add_co_u32 v34, s0, v29, s8
	s_delay_alu instid0(VALU_DEP_1) | instskip(NEXT) | instid1(VALU_DEP_1)
	v_add_co_ci_u32_e64 v35, s0, s9, v30, s0
	v_cmp_gt_u64_e64 s0, s[6:7], v[34:35]
	s_delay_alu instid0(VALU_DEP_1)
	s_and_saveexec_b32 s2, s0
	s_cbranch_execz .LBB36_13
; %bb.12:                               ;   in Loop: Header=BB36_9 Depth=1
	v_add_co_u32 v34, s1, v23, s8
	s_delay_alu instid0(VALU_DEP_1) | instskip(SKIP_2) | instid1(VALU_DEP_1)
	v_add_co_ci_u32_e64 v35, s1, s9, v24, s1
	global_load_u8 v36, v[34:35], off
	v_add_co_u32 v34, s1, v25, s8
	v_add_co_ci_u32_e64 v35, s1, s9, v26, s1
	global_load_u8 v32, v[34:35], off
	s_waitcnt vmcnt(1)
	v_lshl_or_b32 v31, v36, 8, v31
.LBB36_13:                              ;   in Loop: Header=BB36_9 Depth=1
	s_or_b32 exec_lo, exec_lo, s2
	v_add_co_u32 v34, s1, v21, s8
	s_delay_alu instid0(VALU_DEP_1) | instskip(NEXT) | instid1(VALU_DEP_1)
	v_add_co_ci_u32_e64 v35, s1, s9, v22, s1
	v_cmp_gt_u64_e64 s1, s[6:7], v[34:35]
	v_dual_mov_b32 v34, 0 :: v_dual_mov_b32 v35, 0
	s_delay_alu instid0(VALU_DEP_2)
	s_and_saveexec_b32 s3, s1
	s_cbranch_execz .LBB36_15
; %bb.14:                               ;   in Loop: Header=BB36_9 Depth=1
	v_add_co_u32 v35, s2, v15, s8
	s_delay_alu instid0(VALU_DEP_1) | instskip(SKIP_2) | instid1(VALU_DEP_1)
	v_add_co_ci_u32_e64 v36, s2, s9, v16, s2
	global_load_u8 v37, v[35:36], off
	v_add_co_u32 v35, s2, v17, s8
	v_add_co_ci_u32_e64 v36, s2, s9, v18, s2
	global_load_u8 v35, v[35:36], off
	s_waitcnt vmcnt(1)
	v_lshl_or_b32 v31, v37, 16, v31
.LBB36_15:                              ;   in Loop: Header=BB36_9 Depth=1
	s_or_b32 exec_lo, exec_lo, s3
	v_add_co_u32 v36, s2, v13, s8
	s_delay_alu instid0(VALU_DEP_1) | instskip(NEXT) | instid1(VALU_DEP_1)
	v_add_co_ci_u32_e64 v37, s2, s9, v14, s2
	v_cmp_gt_u64_e64 s2, s[6:7], v[36:37]
	s_delay_alu instid0(VALU_DEP_1)
	s_and_saveexec_b32 s11, s2
	s_cbranch_execnz .LBB36_20
; %bb.16:                               ;   in Loop: Header=BB36_9 Depth=1
	s_or_b32 exec_lo, exec_lo, s11
	s_and_saveexec_b32 s3, vcc_lo
	s_cbranch_execnz .LBB36_21
.LBB36_17:                              ;   in Loop: Header=BB36_9 Depth=1
	s_or_b32 exec_lo, exec_lo, s3
	s_and_saveexec_b32 s3, s0
	s_cbranch_execnz .LBB36_22
.LBB36_18:                              ;   in Loop: Header=BB36_9 Depth=1
	s_or_b32 exec_lo, exec_lo, s3
	s_and_saveexec_b32 s0, s1
	s_cbranch_execnz .LBB36_23
.LBB36_19:                              ;   in Loop: Header=BB36_9 Depth=1
	s_or_b32 exec_lo, exec_lo, s0
	s_and_saveexec_b32 s0, s2
	s_cbranch_execz .LBB36_8
	s_branch .LBB36_24
.LBB36_20:                              ;   in Loop: Header=BB36_9 Depth=1
	v_add_co_u32 v36, s3, v7, s8
	s_delay_alu instid0(VALU_DEP_1) | instskip(SKIP_2) | instid1(VALU_DEP_1)
	v_add_co_ci_u32_e64 v37, s3, s9, v8, s3
	global_load_u8 v38, v[36:37], off
	v_add_co_u32 v36, s3, v9, s8
	v_add_co_ci_u32_e64 v37, s3, s9, v10, s3
	global_load_u8 v34, v[36:37], off
	s_waitcnt vmcnt(1)
	v_lshl_or_b32 v31, v38, 24, v31
	s_or_b32 exec_lo, exec_lo, s11
	s_and_saveexec_b32 s3, vcc_lo
	s_cbranch_execz .LBB36_17
.LBB36_21:                              ;   in Loop: Header=BB36_9 Depth=1
	s_waitcnt vmcnt(0)
	v_mul_lo_u16 v33, v33, s10
	v_add_co_u32 v36, vcc_lo, v5, s8
	v_add_co_ci_u32_e32 v37, vcc_lo, s9, v6, vcc_lo
	s_delay_alu instid0(VALU_DEP_3)
	v_sub_nc_u16 v33, v31, v33
	global_store_b8 v[36:37], v33, off
	s_or_b32 exec_lo, exec_lo, s3
	s_and_saveexec_b32 s3, s0
	s_cbranch_execz .LBB36_18
.LBB36_22:                              ;   in Loop: Header=BB36_9 Depth=1
	s_waitcnt vmcnt(0)
	v_lshrrev_b32_e32 v33, 8, v31
	v_mul_lo_u16 v32, v32, s10
	s_delay_alu instid0(VALU_DEP_1)
	v_sub_nc_u16 v36, v33, v32
	v_add_co_u32 v32, vcc_lo, v27, s8
	v_add_co_ci_u32_e32 v33, vcc_lo, s9, v28, vcc_lo
	global_store_b8 v[32:33], v36, off
	s_or_b32 exec_lo, exec_lo, s3
	s_and_saveexec_b32 s0, s1
	s_cbranch_execz .LBB36_19
.LBB36_23:                              ;   in Loop: Header=BB36_9 Depth=1
	s_waitcnt vmcnt(0)
	v_lshrrev_b32_e32 v32, 16, v31
	v_mul_lo_u16 v33, v35, s10
	s_delay_alu instid0(VALU_DEP_1)
	v_sub_nc_u16 v35, v32, v33
	v_add_co_u32 v32, vcc_lo, v19, s8
	v_add_co_ci_u32_e32 v33, vcc_lo, s9, v20, vcc_lo
	global_store_b8 v[32:33], v35, off
	s_or_b32 exec_lo, exec_lo, s0
	s_and_saveexec_b32 s0, s2
	s_cbranch_execz .LBB36_8
.LBB36_24:                              ;   in Loop: Header=BB36_9 Depth=1
	s_waitcnt vmcnt(1)
	v_lshrrev_b32_e32 v31, 24, v31
	s_waitcnt vmcnt(0)
	v_mul_lo_u16 v32, v34, s10
	s_delay_alu instid0(VALU_DEP_1)
	v_sub_nc_u16 v33, v31, v32
	v_add_co_u32 v31, vcc_lo, v11, s8
	v_add_co_ci_u32_e32 v32, vcc_lo, s9, v12, vcc_lo
	global_store_b8 v[31:32], v33, off
	s_branch .LBB36_8
.LBB36_25:
	s_nop 0
	s_sendmsg sendmsg(MSG_DEALLOC_VGPRS)
	s_endpgm
	.section	.rodata,"a",@progbits
	.p2align	6, 0x0
	.amdhsa_kernel _ZN2at6native12_GLOBAL__N_125multi_tensor_apply_kernelINS1_18TensorListMetadataILi3EEENS1_24BinaryOpListAlphaFunctorIhLi3ELi2ELi2EEEJSt5minusIhEhEEEvT_T0_DpT1_
		.amdhsa_group_segment_fixed_size 0
		.amdhsa_private_segment_fixed_size 0
		.amdhsa_kernarg_size 3408
		.amdhsa_user_sgpr_count 15
		.amdhsa_user_sgpr_dispatch_ptr 0
		.amdhsa_user_sgpr_queue_ptr 0
		.amdhsa_user_sgpr_kernarg_segment_ptr 1
		.amdhsa_user_sgpr_dispatch_id 0
		.amdhsa_user_sgpr_private_segment_size 0
		.amdhsa_wavefront_size32 1
		.amdhsa_uses_dynamic_stack 0
		.amdhsa_enable_private_segment 0
		.amdhsa_system_sgpr_workgroup_id_x 1
		.amdhsa_system_sgpr_workgroup_id_y 0
		.amdhsa_system_sgpr_workgroup_id_z 0
		.amdhsa_system_sgpr_workgroup_info 0
		.amdhsa_system_vgpr_workitem_id 0
		.amdhsa_next_free_vgpr 39
		.amdhsa_next_free_sgpr 24
		.amdhsa_reserve_vcc 1
		.amdhsa_float_round_mode_32 0
		.amdhsa_float_round_mode_16_64 0
		.amdhsa_float_denorm_mode_32 3
		.amdhsa_float_denorm_mode_16_64 3
		.amdhsa_dx10_clamp 1
		.amdhsa_ieee_mode 1
		.amdhsa_fp16_overflow 0
		.amdhsa_workgroup_processor_mode 1
		.amdhsa_memory_ordered 1
		.amdhsa_forward_progress 0
		.amdhsa_shared_vgpr_count 0
		.amdhsa_exception_fp_ieee_invalid_op 0
		.amdhsa_exception_fp_denorm_src 0
		.amdhsa_exception_fp_ieee_div_zero 0
		.amdhsa_exception_fp_ieee_overflow 0
		.amdhsa_exception_fp_ieee_underflow 0
		.amdhsa_exception_fp_ieee_inexact 0
		.amdhsa_exception_int_div_zero 0
	.end_amdhsa_kernel
	.section	.text._ZN2at6native12_GLOBAL__N_125multi_tensor_apply_kernelINS1_18TensorListMetadataILi3EEENS1_24BinaryOpListAlphaFunctorIhLi3ELi2ELi2EEEJSt5minusIhEhEEEvT_T0_DpT1_,"axG",@progbits,_ZN2at6native12_GLOBAL__N_125multi_tensor_apply_kernelINS1_18TensorListMetadataILi3EEENS1_24BinaryOpListAlphaFunctorIhLi3ELi2ELi2EEEJSt5minusIhEhEEEvT_T0_DpT1_,comdat
.Lfunc_end36:
	.size	_ZN2at6native12_GLOBAL__N_125multi_tensor_apply_kernelINS1_18TensorListMetadataILi3EEENS1_24BinaryOpListAlphaFunctorIhLi3ELi2ELi2EEEJSt5minusIhEhEEEvT_T0_DpT1_, .Lfunc_end36-_ZN2at6native12_GLOBAL__N_125multi_tensor_apply_kernelINS1_18TensorListMetadataILi3EEENS1_24BinaryOpListAlphaFunctorIhLi3ELi2ELi2EEEJSt5minusIhEhEEEvT_T0_DpT1_
                                        ; -- End function
	.section	.AMDGPU.csdata,"",@progbits
; Kernel info:
; codeLenInByte = 1744
; NumSgprs: 26
; NumVgprs: 39
; ScratchSize: 0
; MemoryBound: 0
; FloatMode: 240
; IeeeMode: 1
; LDSByteSize: 0 bytes/workgroup (compile time only)
; SGPRBlocks: 3
; VGPRBlocks: 4
; NumSGPRsForWavesPerEU: 26
; NumVGPRsForWavesPerEU: 39
; Occupancy: 16
; WaveLimiterHint : 0
; COMPUTE_PGM_RSRC2:SCRATCH_EN: 0
; COMPUTE_PGM_RSRC2:USER_SGPR: 15
; COMPUTE_PGM_RSRC2:TRAP_HANDLER: 0
; COMPUTE_PGM_RSRC2:TGID_X_EN: 1
; COMPUTE_PGM_RSRC2:TGID_Y_EN: 0
; COMPUTE_PGM_RSRC2:TGID_Z_EN: 0
; COMPUTE_PGM_RSRC2:TIDIG_COMP_CNT: 0
	.section	.text._ZN2at6native12_GLOBAL__N_125multi_tensor_apply_kernelINS1_18TensorListMetadataILi3EEENS1_24BinaryOpListAlphaFunctorIaLi3ELi2ELi2EEEJSt5minusIaEaEEEvT_T0_DpT1_,"axG",@progbits,_ZN2at6native12_GLOBAL__N_125multi_tensor_apply_kernelINS1_18TensorListMetadataILi3EEENS1_24BinaryOpListAlphaFunctorIaLi3ELi2ELi2EEEJSt5minusIaEaEEEvT_T0_DpT1_,comdat
	.globl	_ZN2at6native12_GLOBAL__N_125multi_tensor_apply_kernelINS1_18TensorListMetadataILi3EEENS1_24BinaryOpListAlphaFunctorIaLi3ELi2ELi2EEEJSt5minusIaEaEEEvT_T0_DpT1_ ; -- Begin function _ZN2at6native12_GLOBAL__N_125multi_tensor_apply_kernelINS1_18TensorListMetadataILi3EEENS1_24BinaryOpListAlphaFunctorIaLi3ELi2ELi2EEEJSt5minusIaEaEEEvT_T0_DpT1_
	.p2align	8
	.type	_ZN2at6native12_GLOBAL__N_125multi_tensor_apply_kernelINS1_18TensorListMetadataILi3EEENS1_24BinaryOpListAlphaFunctorIaLi3ELi2ELi2EEEJSt5minusIaEaEEEvT_T0_DpT1_,@function
_ZN2at6native12_GLOBAL__N_125multi_tensor_apply_kernelINS1_18TensorListMetadataILi3EEENS1_24BinaryOpListAlphaFunctorIaLi3ELi2ELi2EEEJSt5minusIaEaEEEvT_T0_DpT1_: ; @_ZN2at6native12_GLOBAL__N_125multi_tensor_apply_kernelINS1_18TensorListMetadataILi3EEENS1_24BinaryOpListAlphaFunctorIaLi3ELi2ELi2EEEJSt5minusIaEaEEEvT_T0_DpT1_
; %bb.0:
	v_mov_b32_e32 v1, s15
	s_add_u32 s2, s0, s15
	s_mul_hi_u32 s3, s15, 3
	s_mul_i32 s15, s15, 3
	s_addc_u32 s4, s1, 0
	global_load_u8 v1, v1, s[0:1] offset:1536
	s_add_u32 s2, s2, s15
	s_addc_u32 s3, s4, s3
	s_load_b32 s2, s[2:3], 0x740
	s_waitcnt vmcnt(0)
	v_readfirstlane_b32 s3, v1
	s_delay_alu instid0(VALU_DEP_1)
	s_lshl_b32 s3, s3, 3
	s_clause 0x3
	s_load_b64 s[8:9], s[0:1], s3 offset:0x0
	s_load_b64 s[10:11], s[0:1], s3 offset:0x180
	;; [unrolled: 1-line block ×4, first 2 shown]
	s_waitcnt lgkmcnt(0)
	s_ashr_i32 s3, s2, 31
	s_delay_alu instid0(SALU_CYCLE_1)
	s_lshl_b64 s[14:15], s[2:3], 16
	s_load_b32 s3, s[0:1], 0xc48
	s_add_u32 s6, s8, s14
	s_addc_u32 s7, s9, s15
	s_add_u32 s16, s10, s14
	s_addc_u32 s17, s11, s15
	;; [unrolled: 2-line block ×3, first 2 shown]
	s_or_b32 s2, s18, s16
	s_delay_alu instid0(SALU_CYCLE_1) | instskip(NEXT) | instid1(SALU_CYCLE_1)
	s_and_b32 s2, s2, 3
	s_cmp_lg_u32 s2, 0
	s_cselect_b32 s2, -1, 0
	s_sub_u32 s4, s20, s14
	s_subb_u32 s5, s21, s15
	s_or_b64 s[20:21], s[20:21], s[6:7]
	s_mov_b32 s21, 0
	s_and_b32 s20, s20, 3
	s_delay_alu instid0(SALU_CYCLE_1) | instskip(SKIP_1) | instid1(SALU_CYCLE_1)
	s_cmp_lg_u64 s[20:21], 0
	s_cselect_b32 s20, -1, 0
	s_or_b32 s2, s2, s20
	s_delay_alu instid0(SALU_CYCLE_1)
	s_and_not1_b32 vcc_lo, exec_lo, s2
	s_mov_b32 s2, -1
	s_cbranch_vccz .LBB37_5
; %bb.1:
	v_dual_mov_b32 v2, 0 :: v_dual_lshlrev_b32 v1, 2, v0
	s_mov_b32 s20, exec_lo
	s_delay_alu instid0(VALU_DEP_1)
	v_cmpx_gt_i64_e64 s[4:5], v[1:2]
	s_cbranch_execz .LBB37_4
; %bb.2:
	s_load_b32 s2, s[0:1], 0xc5c
	s_waitcnt lgkmcnt(0)
	s_lshr_b32 s23, s3, 16
	s_and_b32 s2, s2, 0xffff
	s_delay_alu instid0(SALU_CYCLE_1)
	s_lshl_b32 s22, s2, 2
.LBB37_3:                               ; =>This Inner Loop Header: Depth=1
	v_add_co_u32 v3, vcc_lo, s16, v1
	v_add_co_ci_u32_e32 v4, vcc_lo, s17, v2, vcc_lo
	v_add_co_u32 v5, vcc_lo, s6, v1
	v_add_co_ci_u32_e32 v6, vcc_lo, s7, v2, vcc_lo
	global_load_b32 v7, v[3:4], off
	global_load_b32 v5, v[5:6], off
	v_add_co_u32 v3, vcc_lo, s18, v1
	v_add_co_ci_u32_e32 v4, vcc_lo, s19, v2, vcc_lo
	v_add_co_u32 v1, vcc_lo, s22, v1
	v_add_co_ci_u32_e32 v2, vcc_lo, 0, v2, vcc_lo
	s_delay_alu instid0(VALU_DEP_1) | instskip(SKIP_1) | instid1(VALU_DEP_1)
	v_cmp_le_i64_e32 vcc_lo, s[4:5], v[1:2]
	v_cmp_lt_u64_e64 s2, 0xffff, v[1:2]
	s_or_b32 s2, vcc_lo, s2
	s_delay_alu instid0(SALU_CYCLE_1) | instskip(NEXT) | instid1(SALU_CYCLE_1)
	s_and_b32 s2, exec_lo, s2
	s_or_b32 s21, s2, s21
	s_waitcnt vmcnt(1)
	v_lshrrev_b32_e32 v8, 8, v7
	v_lshrrev_b32_e32 v9, 16, v7
	v_mul_lo_u16 v6, v7, s23
	s_waitcnt vmcnt(0)
	v_lshrrev_b32_e32 v10, 8, v5
	v_lshrrev_b32_e32 v11, 16, v5
	v_lshrrev_b32_e32 v7, 24, v7
	v_mul_lo_u16 v8, v8, s23
	v_mul_lo_u16 v9, v9, s23
	v_lshrrev_b32_e32 v12, 24, v5
	v_sub_nc_u16 v5, v5, v6
	v_mul_lo_u16 v7, v7, s23
	v_sub_nc_u16 v8, v10, v8
	v_sub_nc_u16 v9, v11, v9
	s_delay_alu instid0(VALU_DEP_3) | instskip(NEXT) | instid1(VALU_DEP_3)
	v_sub_nc_u16 v6, v12, v7
	v_and_b32_e32 v7, 0xff, v8
	s_delay_alu instid0(VALU_DEP_3) | instskip(NEXT) | instid1(VALU_DEP_3)
	v_and_b32_e32 v8, 0xff, v9
	v_lshlrev_b32_e32 v6, 24, v6
	s_delay_alu instid0(VALU_DEP_3) | instskip(NEXT) | instid1(VALU_DEP_3)
	v_perm_b32 v5, v7, v5, 0x6050400
	v_lshlrev_b32_e32 v7, 16, v8
	s_delay_alu instid0(VALU_DEP_1)
	v_or3_b32 v5, v5, v7, v6
	global_store_b32 v[3:4], v5, off
	s_and_not1_b32 exec_lo, exec_lo, s21
	s_cbranch_execnz .LBB37_3
.LBB37_4:
	s_or_b32 exec_lo, exec_lo, s20
	s_mov_b32 s2, 0
.LBB37_5:
	s_delay_alu instid0(SALU_CYCLE_1)
	s_and_not1_b32 vcc_lo, exec_lo, s2
	s_cbranch_vccnz .LBB37_25
; %bb.6:
	v_cmp_lt_i64_e64 s2, s[4:5], 1
	s_delay_alu instid0(VALU_DEP_1)
	s_and_b32 vcc_lo, exec_lo, s2
	s_cbranch_vccnz .LBB37_25
; %bb.7:
	s_load_b32 s0, s[0:1], 0xc5c
	v_add_co_u32 v21, s1, s14, v0
	s_delay_alu instid0(VALU_DEP_1) | instskip(SKIP_1) | instid1(VALU_DEP_3)
	v_add_co_ci_u32_e64 v22, null, s15, 0, s1
	v_cmp_gt_u64_e64 s1, 0x10000, s[4:5]
	v_add_co_u32 v1, vcc_lo, s8, v21
	s_delay_alu instid0(VALU_DEP_3)
	v_add_co_ci_u32_e32 v2, vcc_lo, s9, v22, vcc_lo
	v_add_co_u32 v3, vcc_lo, s10, v21
	v_add_co_ci_u32_e32 v4, vcc_lo, s11, v22, vcc_lo
	v_add_co_u32 v5, vcc_lo, s12, v21
	v_add_co_ci_u32_e32 v6, vcc_lo, s13, v22, vcc_lo
	s_waitcnt lgkmcnt(0)
	s_and_b32 s0, s0, 0xffff
	s_and_b32 s1, s1, exec_lo
	s_mul_i32 s2, s0, 3
	s_cselect_b32 s7, s5, 0
	s_cselect_b32 s6, s4, 0x10000
	s_lshl_b32 s1, s0, 1
	s_lshl_b32 s16, s0, 2
	s_add_u32 s17, s14, s2
	s_addc_u32 s18, s15, 0
	v_add_co_u32 v11, s17, s17, v0
	s_delay_alu instid0(VALU_DEP_1) | instskip(SKIP_1) | instid1(VALU_DEP_2)
	v_add_co_ci_u32_e64 v12, null, s18, 0, s17
	s_add_u32 s14, s14, s1
	v_add_co_u32 v7, vcc_lo, s8, v11
	s_delay_alu instid0(VALU_DEP_2)
	v_add_co_ci_u32_e32 v8, vcc_lo, s9, v12, vcc_lo
	v_add_co_u32 v9, vcc_lo, s10, v11
	s_addc_u32 s15, s15, 0
	v_add_co_u32 v19, s14, s14, v0
	v_add_co_ci_u32_e32 v10, vcc_lo, s11, v12, vcc_lo
	v_add_co_u32 v11, vcc_lo, s12, v11
	v_add_co_ci_u32_e64 v20, null, s15, 0, s14
	v_add_co_ci_u32_e32 v12, vcc_lo, s13, v12, vcc_lo
	v_add_co_u32 v15, vcc_lo, s8, v19
	s_delay_alu instid0(VALU_DEP_3)
	v_add_co_ci_u32_e32 v16, vcc_lo, s9, v20, vcc_lo
	v_add_co_u32 v17, vcc_lo, s10, v19
	v_add_co_ci_u32_e32 v18, vcc_lo, s11, v20, vcc_lo
	v_add_co_u32 v19, vcc_lo, s12, v19
	;; [unrolled: 2-line block ×3, first 2 shown]
	v_add_co_ci_u32_e32 v28, vcc_lo, 0, v22, vcc_lo
	v_add_co_u32 v13, s2, s2, v0
	s_delay_alu instid0(VALU_DEP_3) | instskip(NEXT) | instid1(VALU_DEP_3)
	v_add_co_u32 v23, vcc_lo, s8, v27
	v_add_co_ci_u32_e32 v24, vcc_lo, s9, v28, vcc_lo
	v_add_co_u32 v25, vcc_lo, s10, v27
	v_add_co_ci_u32_e32 v26, vcc_lo, s11, v28, vcc_lo
	v_add_co_u32 v21, s1, s1, v0
	v_add_co_u32 v27, vcc_lo, s12, v27
	v_add_co_u32 v29, s0, v0, s0
	v_add_co_ci_u32_e64 v14, null, 0, 0, s2
	v_add_co_ci_u32_e64 v22, null, 0, 0, s1
	v_add_co_ci_u32_e32 v28, vcc_lo, s13, v28, vcc_lo
	v_add_co_ci_u32_e64 v30, null, 0, 0, s0
	s_mov_b64 s[8:9], 0
	s_lshr_b32 s10, s3, 16
	s_branch .LBB37_9
.LBB37_8:                               ;   in Loop: Header=BB37_9 Depth=1
	s_or_b32 exec_lo, exec_lo, s0
	s_add_u32 s8, s8, s16
	s_addc_u32 s9, s9, 0
	s_delay_alu instid0(SALU_CYCLE_1) | instskip(SKIP_1) | instid1(VALU_DEP_1)
	v_cmp_ge_i64_e64 s0, s[8:9], s[4:5]
	v_cmp_lt_u64_e64 s1, 0xffff, s[8:9]
	s_or_b32 s0, s0, s1
	s_delay_alu instid0(SALU_CYCLE_1)
	s_and_b32 vcc_lo, exec_lo, s0
	s_cbranch_vccnz .LBB37_25
.LBB37_9:                               ; =>This Inner Loop Header: Depth=1
	s_waitcnt vmcnt(0)
	v_add_co_u32 v33, s0, v0, s8
	s_delay_alu instid0(VALU_DEP_1) | instskip(SKIP_1) | instid1(VALU_DEP_2)
	v_add_co_ci_u32_e64 v34, null, 0, s9, s0
	v_dual_mov_b32 v32, 0 :: v_dual_mov_b32 v31, 0
	v_cmp_gt_u64_e32 vcc_lo, s[6:7], v[33:34]
	v_mov_b32_e32 v33, 0
	s_and_saveexec_b32 s1, vcc_lo
	s_cbranch_execz .LBB37_11
; %bb.10:                               ;   in Loop: Header=BB37_9 Depth=1
	v_add_co_u32 v33, s0, v1, s8
	s_delay_alu instid0(VALU_DEP_1) | instskip(SKIP_1) | instid1(VALU_DEP_1)
	v_add_co_ci_u32_e64 v34, s0, s9, v2, s0
	v_add_co_u32 v35, s0, v3, s8
	v_add_co_ci_u32_e64 v36, s0, s9, v4, s0
	global_load_u8 v31, v[33:34], off
	global_load_u8 v33, v[35:36], off
.LBB37_11:                              ;   in Loop: Header=BB37_9 Depth=1
	s_or_b32 exec_lo, exec_lo, s1
	v_add_co_u32 v34, s0, v29, s8
	s_delay_alu instid0(VALU_DEP_1) | instskip(NEXT) | instid1(VALU_DEP_1)
	v_add_co_ci_u32_e64 v35, s0, s9, v30, s0
	v_cmp_gt_u64_e64 s0, s[6:7], v[34:35]
	s_delay_alu instid0(VALU_DEP_1)
	s_and_saveexec_b32 s2, s0
	s_cbranch_execz .LBB37_13
; %bb.12:                               ;   in Loop: Header=BB37_9 Depth=1
	v_add_co_u32 v34, s1, v23, s8
	s_delay_alu instid0(VALU_DEP_1) | instskip(SKIP_2) | instid1(VALU_DEP_1)
	v_add_co_ci_u32_e64 v35, s1, s9, v24, s1
	global_load_u8 v36, v[34:35], off
	v_add_co_u32 v34, s1, v25, s8
	v_add_co_ci_u32_e64 v35, s1, s9, v26, s1
	global_load_u8 v32, v[34:35], off
	s_waitcnt vmcnt(1)
	v_lshl_or_b32 v31, v36, 8, v31
.LBB37_13:                              ;   in Loop: Header=BB37_9 Depth=1
	s_or_b32 exec_lo, exec_lo, s2
	v_add_co_u32 v34, s1, v21, s8
	s_delay_alu instid0(VALU_DEP_1) | instskip(NEXT) | instid1(VALU_DEP_1)
	v_add_co_ci_u32_e64 v35, s1, s9, v22, s1
	v_cmp_gt_u64_e64 s1, s[6:7], v[34:35]
	v_dual_mov_b32 v34, 0 :: v_dual_mov_b32 v35, 0
	s_delay_alu instid0(VALU_DEP_2)
	s_and_saveexec_b32 s3, s1
	s_cbranch_execz .LBB37_15
; %bb.14:                               ;   in Loop: Header=BB37_9 Depth=1
	v_add_co_u32 v35, s2, v15, s8
	s_delay_alu instid0(VALU_DEP_1) | instskip(SKIP_2) | instid1(VALU_DEP_1)
	v_add_co_ci_u32_e64 v36, s2, s9, v16, s2
	global_load_u8 v37, v[35:36], off
	v_add_co_u32 v35, s2, v17, s8
	v_add_co_ci_u32_e64 v36, s2, s9, v18, s2
	global_load_u8 v35, v[35:36], off
	s_waitcnt vmcnt(1)
	v_lshl_or_b32 v31, v37, 16, v31
.LBB37_15:                              ;   in Loop: Header=BB37_9 Depth=1
	s_or_b32 exec_lo, exec_lo, s3
	v_add_co_u32 v36, s2, v13, s8
	s_delay_alu instid0(VALU_DEP_1) | instskip(NEXT) | instid1(VALU_DEP_1)
	v_add_co_ci_u32_e64 v37, s2, s9, v14, s2
	v_cmp_gt_u64_e64 s2, s[6:7], v[36:37]
	s_delay_alu instid0(VALU_DEP_1)
	s_and_saveexec_b32 s11, s2
	s_cbranch_execnz .LBB37_20
; %bb.16:                               ;   in Loop: Header=BB37_9 Depth=1
	s_or_b32 exec_lo, exec_lo, s11
	s_and_saveexec_b32 s3, vcc_lo
	s_cbranch_execnz .LBB37_21
.LBB37_17:                              ;   in Loop: Header=BB37_9 Depth=1
	s_or_b32 exec_lo, exec_lo, s3
	s_and_saveexec_b32 s3, s0
	s_cbranch_execnz .LBB37_22
.LBB37_18:                              ;   in Loop: Header=BB37_9 Depth=1
	s_or_b32 exec_lo, exec_lo, s3
	s_and_saveexec_b32 s0, s1
	s_cbranch_execnz .LBB37_23
.LBB37_19:                              ;   in Loop: Header=BB37_9 Depth=1
	s_or_b32 exec_lo, exec_lo, s0
	s_and_saveexec_b32 s0, s2
	s_cbranch_execz .LBB37_8
	s_branch .LBB37_24
.LBB37_20:                              ;   in Loop: Header=BB37_9 Depth=1
	v_add_co_u32 v36, s3, v7, s8
	s_delay_alu instid0(VALU_DEP_1) | instskip(SKIP_2) | instid1(VALU_DEP_1)
	v_add_co_ci_u32_e64 v37, s3, s9, v8, s3
	global_load_u8 v38, v[36:37], off
	v_add_co_u32 v36, s3, v9, s8
	v_add_co_ci_u32_e64 v37, s3, s9, v10, s3
	global_load_u8 v34, v[36:37], off
	s_waitcnt vmcnt(1)
	v_lshl_or_b32 v31, v38, 24, v31
	s_or_b32 exec_lo, exec_lo, s11
	s_and_saveexec_b32 s3, vcc_lo
	s_cbranch_execz .LBB37_17
.LBB37_21:                              ;   in Loop: Header=BB37_9 Depth=1
	s_waitcnt vmcnt(0)
	v_mul_lo_u16 v33, v33, s10
	v_add_co_u32 v36, vcc_lo, v5, s8
	v_add_co_ci_u32_e32 v37, vcc_lo, s9, v6, vcc_lo
	s_delay_alu instid0(VALU_DEP_3)
	v_sub_nc_u16 v33, v31, v33
	global_store_b8 v[36:37], v33, off
	s_or_b32 exec_lo, exec_lo, s3
	s_and_saveexec_b32 s3, s0
	s_cbranch_execz .LBB37_18
.LBB37_22:                              ;   in Loop: Header=BB37_9 Depth=1
	s_waitcnt vmcnt(0)
	v_lshrrev_b32_e32 v33, 8, v31
	v_mul_lo_u16 v32, v32, s10
	s_delay_alu instid0(VALU_DEP_1)
	v_sub_nc_u16 v36, v33, v32
	v_add_co_u32 v32, vcc_lo, v27, s8
	v_add_co_ci_u32_e32 v33, vcc_lo, s9, v28, vcc_lo
	global_store_b8 v[32:33], v36, off
	s_or_b32 exec_lo, exec_lo, s3
	s_and_saveexec_b32 s0, s1
	s_cbranch_execz .LBB37_19
.LBB37_23:                              ;   in Loop: Header=BB37_9 Depth=1
	s_waitcnt vmcnt(0)
	v_lshrrev_b32_e32 v32, 16, v31
	v_mul_lo_u16 v33, v35, s10
	s_delay_alu instid0(VALU_DEP_1)
	v_sub_nc_u16 v35, v32, v33
	v_add_co_u32 v32, vcc_lo, v19, s8
	v_add_co_ci_u32_e32 v33, vcc_lo, s9, v20, vcc_lo
	global_store_b8 v[32:33], v35, off
	s_or_b32 exec_lo, exec_lo, s0
	s_and_saveexec_b32 s0, s2
	s_cbranch_execz .LBB37_8
.LBB37_24:                              ;   in Loop: Header=BB37_9 Depth=1
	s_waitcnt vmcnt(1)
	v_lshrrev_b32_e32 v31, 24, v31
	s_waitcnt vmcnt(0)
	v_mul_lo_u16 v32, v34, s10
	s_delay_alu instid0(VALU_DEP_1)
	v_sub_nc_u16 v33, v31, v32
	v_add_co_u32 v31, vcc_lo, v11, s8
	v_add_co_ci_u32_e32 v32, vcc_lo, s9, v12, vcc_lo
	global_store_b8 v[31:32], v33, off
	s_branch .LBB37_8
.LBB37_25:
	s_nop 0
	s_sendmsg sendmsg(MSG_DEALLOC_VGPRS)
	s_endpgm
	.section	.rodata,"a",@progbits
	.p2align	6, 0x0
	.amdhsa_kernel _ZN2at6native12_GLOBAL__N_125multi_tensor_apply_kernelINS1_18TensorListMetadataILi3EEENS1_24BinaryOpListAlphaFunctorIaLi3ELi2ELi2EEEJSt5minusIaEaEEEvT_T0_DpT1_
		.amdhsa_group_segment_fixed_size 0
		.amdhsa_private_segment_fixed_size 0
		.amdhsa_kernarg_size 3408
		.amdhsa_user_sgpr_count 15
		.amdhsa_user_sgpr_dispatch_ptr 0
		.amdhsa_user_sgpr_queue_ptr 0
		.amdhsa_user_sgpr_kernarg_segment_ptr 1
		.amdhsa_user_sgpr_dispatch_id 0
		.amdhsa_user_sgpr_private_segment_size 0
		.amdhsa_wavefront_size32 1
		.amdhsa_uses_dynamic_stack 0
		.amdhsa_enable_private_segment 0
		.amdhsa_system_sgpr_workgroup_id_x 1
		.amdhsa_system_sgpr_workgroup_id_y 0
		.amdhsa_system_sgpr_workgroup_id_z 0
		.amdhsa_system_sgpr_workgroup_info 0
		.amdhsa_system_vgpr_workitem_id 0
		.amdhsa_next_free_vgpr 39
		.amdhsa_next_free_sgpr 24
		.amdhsa_reserve_vcc 1
		.amdhsa_float_round_mode_32 0
		.amdhsa_float_round_mode_16_64 0
		.amdhsa_float_denorm_mode_32 3
		.amdhsa_float_denorm_mode_16_64 3
		.amdhsa_dx10_clamp 1
		.amdhsa_ieee_mode 1
		.amdhsa_fp16_overflow 0
		.amdhsa_workgroup_processor_mode 1
		.amdhsa_memory_ordered 1
		.amdhsa_forward_progress 0
		.amdhsa_shared_vgpr_count 0
		.amdhsa_exception_fp_ieee_invalid_op 0
		.amdhsa_exception_fp_denorm_src 0
		.amdhsa_exception_fp_ieee_div_zero 0
		.amdhsa_exception_fp_ieee_overflow 0
		.amdhsa_exception_fp_ieee_underflow 0
		.amdhsa_exception_fp_ieee_inexact 0
		.amdhsa_exception_int_div_zero 0
	.end_amdhsa_kernel
	.section	.text._ZN2at6native12_GLOBAL__N_125multi_tensor_apply_kernelINS1_18TensorListMetadataILi3EEENS1_24BinaryOpListAlphaFunctorIaLi3ELi2ELi2EEEJSt5minusIaEaEEEvT_T0_DpT1_,"axG",@progbits,_ZN2at6native12_GLOBAL__N_125multi_tensor_apply_kernelINS1_18TensorListMetadataILi3EEENS1_24BinaryOpListAlphaFunctorIaLi3ELi2ELi2EEEJSt5minusIaEaEEEvT_T0_DpT1_,comdat
.Lfunc_end37:
	.size	_ZN2at6native12_GLOBAL__N_125multi_tensor_apply_kernelINS1_18TensorListMetadataILi3EEENS1_24BinaryOpListAlphaFunctorIaLi3ELi2ELi2EEEJSt5minusIaEaEEEvT_T0_DpT1_, .Lfunc_end37-_ZN2at6native12_GLOBAL__N_125multi_tensor_apply_kernelINS1_18TensorListMetadataILi3EEENS1_24BinaryOpListAlphaFunctorIaLi3ELi2ELi2EEEJSt5minusIaEaEEEvT_T0_DpT1_
                                        ; -- End function
	.section	.AMDGPU.csdata,"",@progbits
; Kernel info:
; codeLenInByte = 1744
; NumSgprs: 26
; NumVgprs: 39
; ScratchSize: 0
; MemoryBound: 0
; FloatMode: 240
; IeeeMode: 1
; LDSByteSize: 0 bytes/workgroup (compile time only)
; SGPRBlocks: 3
; VGPRBlocks: 4
; NumSGPRsForWavesPerEU: 26
; NumVGPRsForWavesPerEU: 39
; Occupancy: 16
; WaveLimiterHint : 0
; COMPUTE_PGM_RSRC2:SCRATCH_EN: 0
; COMPUTE_PGM_RSRC2:USER_SGPR: 15
; COMPUTE_PGM_RSRC2:TRAP_HANDLER: 0
; COMPUTE_PGM_RSRC2:TGID_X_EN: 1
; COMPUTE_PGM_RSRC2:TGID_Y_EN: 0
; COMPUTE_PGM_RSRC2:TGID_Z_EN: 0
; COMPUTE_PGM_RSRC2:TIDIG_COMP_CNT: 0
	.section	.text._ZN2at6native12_GLOBAL__N_125multi_tensor_apply_kernelINS1_18TensorListMetadataILi3EEENS1_24BinaryOpListAlphaFunctorIiLi3ELi2ELi2EEEJSt5minusIiEiEEEvT_T0_DpT1_,"axG",@progbits,_ZN2at6native12_GLOBAL__N_125multi_tensor_apply_kernelINS1_18TensorListMetadataILi3EEENS1_24BinaryOpListAlphaFunctorIiLi3ELi2ELi2EEEJSt5minusIiEiEEEvT_T0_DpT1_,comdat
	.globl	_ZN2at6native12_GLOBAL__N_125multi_tensor_apply_kernelINS1_18TensorListMetadataILi3EEENS1_24BinaryOpListAlphaFunctorIiLi3ELi2ELi2EEEJSt5minusIiEiEEEvT_T0_DpT1_ ; -- Begin function _ZN2at6native12_GLOBAL__N_125multi_tensor_apply_kernelINS1_18TensorListMetadataILi3EEENS1_24BinaryOpListAlphaFunctorIiLi3ELi2ELi2EEEJSt5minusIiEiEEEvT_T0_DpT1_
	.p2align	8
	.type	_ZN2at6native12_GLOBAL__N_125multi_tensor_apply_kernelINS1_18TensorListMetadataILi3EEENS1_24BinaryOpListAlphaFunctorIiLi3ELi2ELi2EEEJSt5minusIiEiEEEvT_T0_DpT1_,@function
_ZN2at6native12_GLOBAL__N_125multi_tensor_apply_kernelINS1_18TensorListMetadataILi3EEENS1_24BinaryOpListAlphaFunctorIiLi3ELi2ELi2EEEJSt5minusIiEiEEEvT_T0_DpT1_: ; @_ZN2at6native12_GLOBAL__N_125multi_tensor_apply_kernelINS1_18TensorListMetadataILi3EEENS1_24BinaryOpListAlphaFunctorIiLi3ELi2ELi2EEEJSt5minusIiEiEEEvT_T0_DpT1_
; %bb.0:
	v_mov_b32_e32 v1, s15
	s_add_u32 s2, s0, s15
	s_mul_hi_u32 s3, s15, 3
	s_mul_i32 s15, s15, 3
	s_addc_u32 s4, s1, 0
	global_load_u8 v1, v1, s[0:1] offset:1536
	s_load_b32 s16, s[0:1], 0xc4c
	s_add_u32 s2, s2, s15
	s_addc_u32 s3, s4, s3
	s_mov_b32 s25, 0
	s_load_b32 s2, s[2:3], 0x740
	s_mov_b32 s27, s25
	s_waitcnt vmcnt(0)
	v_readfirstlane_b32 s3, v1
	s_delay_alu instid0(VALU_DEP_1)
	s_lshl_b32 s3, s3, 3
	s_clause 0x3
	s_load_b64 s[10:11], s[0:1], s3 offset:0x0
	s_load_b64 s[12:13], s[0:1], s3 offset:0x180
	;; [unrolled: 1-line block ×4, first 2 shown]
	s_waitcnt lgkmcnt(0)
	s_ashr_i32 s3, s2, 31
	s_delay_alu instid0(SALU_CYCLE_1) | instskip(NEXT) | instid1(SALU_CYCLE_1)
	s_lshl_b64 s[4:5], s[2:3], 18
	s_add_u32 s8, s10, s4
	s_addc_u32 s9, s11, s5
	s_and_b32 s24, s8, 15
	s_add_u32 s17, s12, s4
	s_addc_u32 s18, s13, s5
	s_add_u32 s19, s14, s4
	s_addc_u32 s20, s15, s5
	s_or_b32 s6, s19, s17
	s_delay_alu instid0(SALU_CYCLE_1) | instskip(NEXT) | instid1(SALU_CYCLE_1)
	s_and_b32 s6, s6, 15
	s_cmp_lg_u32 s6, 0
	s_cselect_b32 s21, -1, 0
	s_lshl_b64 s[2:3], s[2:3], 16
	s_delay_alu instid0(SALU_CYCLE_1) | instskip(SKIP_2) | instid1(SALU_CYCLE_1)
	s_sub_u32 s6, s22, s2
	s_subb_u32 s7, s23, s3
	s_and_b32 s26, s22, 3
	s_or_b64 s[2:3], s[24:25], s[26:27]
	s_delay_alu instid0(SALU_CYCLE_1) | instskip(SKIP_1) | instid1(SALU_CYCLE_1)
	s_cmp_lg_u64 s[2:3], 0
	s_cselect_b32 s2, -1, 0
	s_or_b32 s2, s21, s2
	s_delay_alu instid0(SALU_CYCLE_1)
	s_and_not1_b32 vcc_lo, exec_lo, s2
	s_mov_b32 s2, -1
	s_cbranch_vccz .LBB38_5
; %bb.1:
	v_dual_mov_b32 v2, 0 :: v_dual_lshlrev_b32 v1, 2, v0
	s_mov_b32 s21, exec_lo
	s_delay_alu instid0(VALU_DEP_1)
	v_cmpx_gt_i64_e64 s[6:7], v[1:2]
	s_cbranch_execz .LBB38_4
; %bb.2:
	s_load_b32 s2, s[0:1], 0xc5c
	v_lshlrev_b32_e32 v3, 4, v0
	s_mov_b32 s22, 0
	s_waitcnt lgkmcnt(0)
	s_and_b32 s2, s2, 0xffff
	s_delay_alu instid0(SALU_CYCLE_1)
	v_add_lshl_u32 v1, v0, s2, 2
	s_lshl_b32 s23, s2, 2
	s_lshl_b32 s24, s2, 4
.LBB38_3:                               ; =>This Inner Loop Header: Depth=1
	v_add_co_u32 v4, s2, s17, v3
	s_delay_alu instid0(VALU_DEP_1) | instskip(SKIP_1) | instid1(VALU_DEP_1)
	v_add_co_ci_u32_e64 v5, null, s18, 0, s2
	v_add_co_u32 v8, s2, s8, v3
	v_add_co_ci_u32_e64 v9, null, s9, 0, s2
	global_load_b128 v[4:7], v[4:5], off
	v_cmp_le_i64_e32 vcc_lo, s[6:7], v[1:2]
	v_cmp_lt_u64_e64 s2, 0xffff, v[1:2]
	global_load_b128 v[8:11], v[8:9], off
	v_add_co_u32 v12, s3, s19, v3
	s_delay_alu instid0(VALU_DEP_1)
	v_add_co_ci_u32_e64 v13, null, s20, 0, s3
	s_or_b32 s2, vcc_lo, s2
	s_add_u32 s8, s8, s24
	s_addc_u32 s9, s9, 0
	s_add_u32 s19, s19, s24
	v_add_co_u32 v1, s3, v1, s23
	s_addc_u32 s20, s20, 0
	s_add_u32 s17, s17, s24
	v_add_co_ci_u32_e64 v2, s3, 0, v2, s3
	s_addc_u32 s18, s18, 0
	s_and_b32 s2, exec_lo, s2
	s_delay_alu instid0(SALU_CYCLE_1)
	s_or_b32 s22, s2, s22
	s_waitcnt vmcnt(1)
	v_mul_lo_u32 v4, v4, s16
	v_mul_lo_u32 v5, v5, s16
	;; [unrolled: 1-line block ×4, first 2 shown]
	s_waitcnt vmcnt(0)
	s_delay_alu instid0(VALU_DEP_4) | instskip(NEXT) | instid1(VALU_DEP_4)
	v_sub_nc_u32_e32 v4, v8, v4
	v_sub_nc_u32_e32 v5, v9, v5
	s_delay_alu instid0(VALU_DEP_4) | instskip(NEXT) | instid1(VALU_DEP_4)
	v_sub_nc_u32_e32 v6, v10, v6
	v_sub_nc_u32_e32 v7, v11, v7
	global_store_b128 v[12:13], v[4:7], off
	s_and_not1_b32 exec_lo, exec_lo, s22
	s_cbranch_execnz .LBB38_3
.LBB38_4:
	s_or_b32 exec_lo, exec_lo, s21
	s_mov_b32 s2, 0
.LBB38_5:
	s_delay_alu instid0(SALU_CYCLE_1)
	s_and_not1_b32 vcc_lo, exec_lo, s2
	s_cbranch_vccnz .LBB38_25
; %bb.6:
	v_cmp_lt_i64_e64 s2, s[6:7], 1
	s_delay_alu instid0(VALU_DEP_1)
	s_and_b32 vcc_lo, exec_lo, s2
	s_cbranch_vccnz .LBB38_25
; %bb.7:
	s_load_b32 s0, s[0:1], 0xc5c
	v_dual_mov_b32 v14, 0 :: v_dual_lshlrev_b32 v13, 2, v0
	v_cmp_gt_u64_e64 s1, 0x10000, s[6:7]
	s_delay_alu instid0(VALU_DEP_2) | instskip(NEXT) | instid1(VALU_DEP_1)
	v_add_co_u32 v1, s2, s10, v13
	v_add_co_ci_u32_e64 v2, null, s11, 0, s2
	v_add_co_u32 v3, s2, s12, v13
	s_delay_alu instid0(VALU_DEP_1) | instskip(SKIP_1) | instid1(VALU_DEP_1)
	v_add_co_ci_u32_e64 v4, null, s13, 0, s2
	v_add_co_u32 v5, s2, s14, v13
	v_add_co_ci_u32_e64 v6, null, s15, 0, s2
	s_waitcnt lgkmcnt(0)
	s_and_b32 s0, s0, 0xffff
	s_and_b32 s1, s1, exec_lo
	v_mad_u64_u32 v[11:12], null, s0, 12, v[13:14]
	s_cselect_b32 s9, s7, 0
	s_cselect_b32 s8, s6, 0x10000
	s_mul_i32 s2, s0, 3
	s_lshl_b32 s3, s0, 3
	s_lshl_b32 s1, s0, 1
	v_add_co_u32 v20, s3, s3, v13
	v_add_co_u32 v13, s2, s2, v0
	v_add_co_u32 v7, vcc_lo, s10, v11
	v_add_co_ci_u32_e64 v14, null, 0, 0, s2
	v_add_co_u32 v19, s2, v0, s0
	v_add_co_ci_u32_e32 v8, vcc_lo, s11, v12, vcc_lo
	v_add_co_u32 v9, vcc_lo, s12, v11
	v_add_co_ci_u32_e32 v10, vcc_lo, s13, v12, vcc_lo
	v_add_co_u32 v11, vcc_lo, s14, v11
	v_add_co_ci_u32_e64 v21, null, 0, 0, s3
	v_lshlrev_b32_e32 v29, 2, v19
	v_add_co_ci_u32_e32 v12, vcc_lo, s15, v12, vcc_lo
	v_add_co_u32 v15, vcc_lo, s10, v20
	v_add_co_u32 v23, s1, s1, v0
	v_add_co_ci_u32_e32 v16, vcc_lo, s11, v21, vcc_lo
	v_add_co_ci_u32_e64 v24, null, 0, 0, s1
	v_add_co_u32 v25, s1, s10, v29
	v_add_co_u32 v17, vcc_lo, s12, v20
	v_add_co_ci_u32_e64 v26, null, s11, 0, s1
	v_add_co_u32 v27, s1, s12, v29
	v_add_co_ci_u32_e32 v18, vcc_lo, s13, v21, vcc_lo
	v_add_co_u32 v20, vcc_lo, s14, v20
	v_add_co_ci_u32_e64 v28, null, s13, 0, s1
	v_add_co_u32 v29, s1, s14, v29
	v_add_co_ci_u32_e32 v21, vcc_lo, s15, v21, vcc_lo
	v_add_co_ci_u32_e64 v22, null, 0, 0, s2
	v_add_co_ci_u32_e64 v30, null, s15, 0, s1
	s_lshl_b32 s12, s0, 2
	s_lshl_b32 s13, s0, 4
	s_mov_b64 s[10:11], 0
	s_branch .LBB38_9
.LBB38_8:                               ;   in Loop: Header=BB38_9 Depth=1
	s_or_b32 exec_lo, exec_lo, s0
	v_add_co_u32 v1, vcc_lo, v1, s13
	v_add_co_ci_u32_e32 v2, vcc_lo, 0, v2, vcc_lo
	v_add_co_u32 v3, vcc_lo, v3, s13
	v_add_co_ci_u32_e32 v4, vcc_lo, 0, v4, vcc_lo
	;; [unrolled: 2-line block ×9, first 2 shown]
	s_add_u32 s10, s10, s12
	v_add_co_u32 v25, vcc_lo, v25, s13
	s_addc_u32 s11, s11, 0
	v_add_co_ci_u32_e32 v26, vcc_lo, 0, v26, vcc_lo
	v_cmp_ge_i64_e64 s0, s[10:11], s[6:7]
	v_cmp_lt_u64_e64 s1, 0xffff, s[10:11]
	v_add_co_u32 v27, vcc_lo, v27, s13
	v_add_co_ci_u32_e32 v28, vcc_lo, 0, v28, vcc_lo
	v_add_co_u32 v29, vcc_lo, v29, s13
	v_add_co_ci_u32_e32 v30, vcc_lo, 0, v30, vcc_lo
	s_or_b32 s0, s0, s1
	s_delay_alu instid0(SALU_CYCLE_1)
	s_and_b32 vcc_lo, exec_lo, s0
	s_cbranch_vccnz .LBB38_25
.LBB38_9:                               ; =>This Inner Loop Header: Depth=1
	s_waitcnt vmcnt(1)
	v_add_co_u32 v31, s0, v0, s10
	s_waitcnt vmcnt(0)
	v_add_co_ci_u32_e64 v32, null, 0, s11, s0
	s_delay_alu instid0(VALU_DEP_1)
	v_cmp_gt_u64_e32 vcc_lo, s[8:9], v[31:32]
	v_dual_mov_b32 v31, 0 :: v_dual_mov_b32 v32, 0
	s_and_saveexec_b32 s1, vcc_lo
	s_cbranch_execz .LBB38_11
; %bb.10:                               ;   in Loop: Header=BB38_9 Depth=1
	v_add_co_u32 v31, s0, v1, s4
	s_delay_alu instid0(VALU_DEP_1) | instskip(SKIP_1) | instid1(VALU_DEP_1)
	v_add_co_ci_u32_e64 v32, s0, s5, v2, s0
	v_add_co_u32 v33, s0, v3, s4
	v_add_co_ci_u32_e64 v34, s0, s5, v4, s0
	global_load_b32 v31, v[31:32], off
	global_load_b32 v32, v[33:34], off
.LBB38_11:                              ;   in Loop: Header=BB38_9 Depth=1
	s_or_b32 exec_lo, exec_lo, s1
	v_add_co_u32 v34, s0, v19, s10
	s_delay_alu instid0(VALU_DEP_1) | instskip(SKIP_1) | instid1(VALU_DEP_2)
	v_add_co_ci_u32_e64 v35, s0, s11, v22, s0
	v_mov_b32_e32 v33, 0
	v_cmp_gt_u64_e64 s0, s[8:9], v[34:35]
	v_dual_mov_b32 v34, 0 :: v_dual_mov_b32 v35, 0
	s_delay_alu instid0(VALU_DEP_2)
	s_and_saveexec_b32 s2, s0
	s_cbranch_execz .LBB38_13
; %bb.12:                               ;   in Loop: Header=BB38_9 Depth=1
	v_add_co_u32 v34, s1, v25, s4
	s_delay_alu instid0(VALU_DEP_1) | instskip(SKIP_1) | instid1(VALU_DEP_1)
	v_add_co_ci_u32_e64 v35, s1, s5, v26, s1
	v_add_co_u32 v36, s1, v27, s4
	v_add_co_ci_u32_e64 v37, s1, s5, v28, s1
	global_load_b32 v34, v[34:35], off
	global_load_b32 v35, v[36:37], off
.LBB38_13:                              ;   in Loop: Header=BB38_9 Depth=1
	s_or_b32 exec_lo, exec_lo, s2
	v_add_co_u32 v36, s1, v23, s10
	s_delay_alu instid0(VALU_DEP_1) | instskip(NEXT) | instid1(VALU_DEP_1)
	v_add_co_ci_u32_e64 v37, s1, s11, v24, s1
	v_cmp_gt_u64_e64 s1, s[8:9], v[36:37]
	v_mov_b32_e32 v36, 0
	s_delay_alu instid0(VALU_DEP_2)
	s_and_saveexec_b32 s3, s1
	s_cbranch_execz .LBB38_15
; %bb.14:                               ;   in Loop: Header=BB38_9 Depth=1
	v_add_co_u32 v36, s2, v15, s4
	s_delay_alu instid0(VALU_DEP_1) | instskip(SKIP_1) | instid1(VALU_DEP_1)
	v_add_co_ci_u32_e64 v37, s2, s5, v16, s2
	v_add_co_u32 v38, s2, v17, s4
	v_add_co_ci_u32_e64 v39, s2, s5, v18, s2
	global_load_b32 v33, v[36:37], off
	global_load_b32 v36, v[38:39], off
.LBB38_15:                              ;   in Loop: Header=BB38_9 Depth=1
	s_or_b32 exec_lo, exec_lo, s3
	v_add_co_u32 v37, s2, v13, s10
	s_delay_alu instid0(VALU_DEP_1) | instskip(NEXT) | instid1(VALU_DEP_1)
	v_add_co_ci_u32_e64 v38, s2, s11, v14, s2
	v_cmp_gt_u64_e64 s2, s[8:9], v[37:38]
	v_dual_mov_b32 v37, 0 :: v_dual_mov_b32 v38, 0
	s_delay_alu instid0(VALU_DEP_2)
	s_and_saveexec_b32 s14, s2
	s_cbranch_execnz .LBB38_20
; %bb.16:                               ;   in Loop: Header=BB38_9 Depth=1
	s_or_b32 exec_lo, exec_lo, s14
	s_and_saveexec_b32 s3, vcc_lo
	s_cbranch_execnz .LBB38_21
.LBB38_17:                              ;   in Loop: Header=BB38_9 Depth=1
	s_or_b32 exec_lo, exec_lo, s3
	s_and_saveexec_b32 s3, s0
	s_cbranch_execnz .LBB38_22
.LBB38_18:                              ;   in Loop: Header=BB38_9 Depth=1
	s_or_b32 exec_lo, exec_lo, s3
	s_and_saveexec_b32 s0, s1
	s_cbranch_execnz .LBB38_23
.LBB38_19:                              ;   in Loop: Header=BB38_9 Depth=1
	s_or_b32 exec_lo, exec_lo, s0
	s_and_saveexec_b32 s0, s2
	s_cbranch_execz .LBB38_8
	s_branch .LBB38_24
.LBB38_20:                              ;   in Loop: Header=BB38_9 Depth=1
	v_add_co_u32 v37, s3, v7, s4
	s_delay_alu instid0(VALU_DEP_1) | instskip(SKIP_1) | instid1(VALU_DEP_1)
	v_add_co_ci_u32_e64 v38, s3, s5, v8, s3
	v_add_co_u32 v39, s3, v9, s4
	v_add_co_ci_u32_e64 v40, s3, s5, v10, s3
	global_load_b32 v37, v[37:38], off
	global_load_b32 v38, v[39:40], off
	s_or_b32 exec_lo, exec_lo, s14
	s_and_saveexec_b32 s3, vcc_lo
	s_cbranch_execz .LBB38_17
.LBB38_21:                              ;   in Loop: Header=BB38_9 Depth=1
	s_waitcnt vmcnt(0)
	v_mul_lo_u32 v32, v32, s16
	v_add_co_u32 v39, vcc_lo, v5, s4
	v_add_co_ci_u32_e32 v40, vcc_lo, s5, v6, vcc_lo
	s_delay_alu instid0(VALU_DEP_3)
	v_sub_nc_u32_e32 v31, v31, v32
	global_store_b32 v[39:40], v31, off
	s_or_b32 exec_lo, exec_lo, s3
	s_and_saveexec_b32 s3, s0
	s_cbranch_execz .LBB38_18
.LBB38_22:                              ;   in Loop: Header=BB38_9 Depth=1
	s_waitcnt vmcnt(0)
	v_mul_lo_u32 v31, v35, s16
	s_delay_alu instid0(VALU_DEP_1)
	v_sub_nc_u32_e32 v34, v34, v31
	v_add_co_u32 v31, vcc_lo, v29, s4
	v_add_co_ci_u32_e32 v32, vcc_lo, s5, v30, vcc_lo
	global_store_b32 v[31:32], v34, off
	s_or_b32 exec_lo, exec_lo, s3
	s_and_saveexec_b32 s0, s1
	s_cbranch_execz .LBB38_19
.LBB38_23:                              ;   in Loop: Header=BB38_9 Depth=1
	s_waitcnt vmcnt(0)
	v_mul_lo_u32 v31, v36, s16
	s_delay_alu instid0(VALU_DEP_1)
	v_sub_nc_u32_e32 v33, v33, v31
	v_add_co_u32 v31, vcc_lo, v20, s4
	v_add_co_ci_u32_e32 v32, vcc_lo, s5, v21, vcc_lo
	global_store_b32 v[31:32], v33, off
	s_or_b32 exec_lo, exec_lo, s0
	s_and_saveexec_b32 s0, s2
	s_cbranch_execz .LBB38_8
.LBB38_24:                              ;   in Loop: Header=BB38_9 Depth=1
	s_waitcnt vmcnt(0)
	v_mul_lo_u32 v31, v38, s16
	s_delay_alu instid0(VALU_DEP_1)
	v_sub_nc_u32_e32 v33, v37, v31
	v_add_co_u32 v31, vcc_lo, v11, s4
	v_add_co_ci_u32_e32 v32, vcc_lo, s5, v12, vcc_lo
	global_store_b32 v[31:32], v33, off
	s_branch .LBB38_8
.LBB38_25:
	s_nop 0
	s_sendmsg sendmsg(MSG_DEALLOC_VGPRS)
	s_endpgm
	.section	.rodata,"a",@progbits
	.p2align	6, 0x0
	.amdhsa_kernel _ZN2at6native12_GLOBAL__N_125multi_tensor_apply_kernelINS1_18TensorListMetadataILi3EEENS1_24BinaryOpListAlphaFunctorIiLi3ELi2ELi2EEEJSt5minusIiEiEEEvT_T0_DpT1_
		.amdhsa_group_segment_fixed_size 0
		.amdhsa_private_segment_fixed_size 0
		.amdhsa_kernarg_size 3408
		.amdhsa_user_sgpr_count 15
		.amdhsa_user_sgpr_dispatch_ptr 0
		.amdhsa_user_sgpr_queue_ptr 0
		.amdhsa_user_sgpr_kernarg_segment_ptr 1
		.amdhsa_user_sgpr_dispatch_id 0
		.amdhsa_user_sgpr_private_segment_size 0
		.amdhsa_wavefront_size32 1
		.amdhsa_uses_dynamic_stack 0
		.amdhsa_enable_private_segment 0
		.amdhsa_system_sgpr_workgroup_id_x 1
		.amdhsa_system_sgpr_workgroup_id_y 0
		.amdhsa_system_sgpr_workgroup_id_z 0
		.amdhsa_system_sgpr_workgroup_info 0
		.amdhsa_system_vgpr_workitem_id 0
		.amdhsa_next_free_vgpr 41
		.amdhsa_next_free_sgpr 28
		.amdhsa_reserve_vcc 1
		.amdhsa_float_round_mode_32 0
		.amdhsa_float_round_mode_16_64 0
		.amdhsa_float_denorm_mode_32 3
		.amdhsa_float_denorm_mode_16_64 3
		.amdhsa_dx10_clamp 1
		.amdhsa_ieee_mode 1
		.amdhsa_fp16_overflow 0
		.amdhsa_workgroup_processor_mode 1
		.amdhsa_memory_ordered 1
		.amdhsa_forward_progress 0
		.amdhsa_shared_vgpr_count 0
		.amdhsa_exception_fp_ieee_invalid_op 0
		.amdhsa_exception_fp_denorm_src 0
		.amdhsa_exception_fp_ieee_div_zero 0
		.amdhsa_exception_fp_ieee_overflow 0
		.amdhsa_exception_fp_ieee_underflow 0
		.amdhsa_exception_fp_ieee_inexact 0
		.amdhsa_exception_int_div_zero 0
	.end_amdhsa_kernel
	.section	.text._ZN2at6native12_GLOBAL__N_125multi_tensor_apply_kernelINS1_18TensorListMetadataILi3EEENS1_24BinaryOpListAlphaFunctorIiLi3ELi2ELi2EEEJSt5minusIiEiEEEvT_T0_DpT1_,"axG",@progbits,_ZN2at6native12_GLOBAL__N_125multi_tensor_apply_kernelINS1_18TensorListMetadataILi3EEENS1_24BinaryOpListAlphaFunctorIiLi3ELi2ELi2EEEJSt5minusIiEiEEEvT_T0_DpT1_,comdat
.Lfunc_end38:
	.size	_ZN2at6native12_GLOBAL__N_125multi_tensor_apply_kernelINS1_18TensorListMetadataILi3EEENS1_24BinaryOpListAlphaFunctorIiLi3ELi2ELi2EEEJSt5minusIiEiEEEvT_T0_DpT1_, .Lfunc_end38-_ZN2at6native12_GLOBAL__N_125multi_tensor_apply_kernelINS1_18TensorListMetadataILi3EEENS1_24BinaryOpListAlphaFunctorIiLi3ELi2ELi2EEEJSt5minusIiEiEEEvT_T0_DpT1_
                                        ; -- End function
	.section	.AMDGPU.csdata,"",@progbits
; Kernel info:
; codeLenInByte = 1788
; NumSgprs: 30
; NumVgprs: 41
; ScratchSize: 0
; MemoryBound: 0
; FloatMode: 240
; IeeeMode: 1
; LDSByteSize: 0 bytes/workgroup (compile time only)
; SGPRBlocks: 3
; VGPRBlocks: 5
; NumSGPRsForWavesPerEU: 30
; NumVGPRsForWavesPerEU: 41
; Occupancy: 16
; WaveLimiterHint : 0
; COMPUTE_PGM_RSRC2:SCRATCH_EN: 0
; COMPUTE_PGM_RSRC2:USER_SGPR: 15
; COMPUTE_PGM_RSRC2:TRAP_HANDLER: 0
; COMPUTE_PGM_RSRC2:TGID_X_EN: 1
; COMPUTE_PGM_RSRC2:TGID_Y_EN: 0
; COMPUTE_PGM_RSRC2:TGID_Z_EN: 0
; COMPUTE_PGM_RSRC2:TIDIG_COMP_CNT: 0
	.section	.text._ZN2at6native12_GLOBAL__N_125multi_tensor_apply_kernelINS1_18TensorListMetadataILi3EEENS1_24BinaryOpListAlphaFunctorIlLi3ELi2ELi2EEEJSt5minusIlElEEEvT_T0_DpT1_,"axG",@progbits,_ZN2at6native12_GLOBAL__N_125multi_tensor_apply_kernelINS1_18TensorListMetadataILi3EEENS1_24BinaryOpListAlphaFunctorIlLi3ELi2ELi2EEEJSt5minusIlElEEEvT_T0_DpT1_,comdat
	.globl	_ZN2at6native12_GLOBAL__N_125multi_tensor_apply_kernelINS1_18TensorListMetadataILi3EEENS1_24BinaryOpListAlphaFunctorIlLi3ELi2ELi2EEEJSt5minusIlElEEEvT_T0_DpT1_ ; -- Begin function _ZN2at6native12_GLOBAL__N_125multi_tensor_apply_kernelINS1_18TensorListMetadataILi3EEENS1_24BinaryOpListAlphaFunctorIlLi3ELi2ELi2EEEJSt5minusIlElEEEvT_T0_DpT1_
	.p2align	8
	.type	_ZN2at6native12_GLOBAL__N_125multi_tensor_apply_kernelINS1_18TensorListMetadataILi3EEENS1_24BinaryOpListAlphaFunctorIlLi3ELi2ELi2EEEJSt5minusIlElEEEvT_T0_DpT1_,@function
_ZN2at6native12_GLOBAL__N_125multi_tensor_apply_kernelINS1_18TensorListMetadataILi3EEENS1_24BinaryOpListAlphaFunctorIlLi3ELi2ELi2EEEJSt5minusIlElEEEvT_T0_DpT1_: ; @_ZN2at6native12_GLOBAL__N_125multi_tensor_apply_kernelINS1_18TensorListMetadataILi3EEENS1_24BinaryOpListAlphaFunctorIlLi3ELi2ELi2EEEJSt5minusIlElEEEvT_T0_DpT1_
; %bb.0:
	v_mov_b32_e32 v1, s15
	s_add_u32 s2, s0, s15
	s_mul_hi_u32 s3, s15, 3
	s_mul_i32 s15, s15, 3
	s_addc_u32 s4, s1, 0
	global_load_u8 v1, v1, s[0:1] offset:1536
	s_add_u32 s2, s2, s15
	s_addc_u32 s3, s4, s3
	s_mov_b32 s25, 0
	s_load_b32 s2, s[2:3], 0x740
	s_mov_b32 s27, s25
	s_waitcnt vmcnt(0)
	v_readfirstlane_b32 s3, v1
	s_delay_alu instid0(VALU_DEP_1)
	s_lshl_b32 s3, s3, 3
	s_clause 0x3
	s_load_b64 s[12:13], s[0:1], s3 offset:0x0
	s_load_b64 s[14:15], s[0:1], s3 offset:0x180
	;; [unrolled: 1-line block ×4, first 2 shown]
	s_waitcnt lgkmcnt(0)
	s_ashr_i32 s3, s2, 31
	s_delay_alu instid0(SALU_CYCLE_1) | instskip(NEXT) | instid1(SALU_CYCLE_1)
	s_lshl_b64 s[6:7], s[2:3], 19
	s_add_u32 s5, s12, s6
	s_addc_u32 s18, s13, s7
	s_and_b32 s24, s5, 31
	s_add_u32 s19, s14, s6
	s_addc_u32 s20, s15, s7
	s_add_u32 s21, s16, s6
	s_addc_u32 s22, s17, s7
	s_or_b32 s4, s21, s19
	s_delay_alu instid0(SALU_CYCLE_1) | instskip(NEXT) | instid1(SALU_CYCLE_1)
	s_and_b32 s4, s4, 31
	s_cmp_lg_u32 s4, 0
	s_cselect_b32 s4, -1, 0
	s_lshl_b64 s[2:3], s[2:3], 16
	s_delay_alu instid0(SALU_CYCLE_1) | instskip(SKIP_4) | instid1(SALU_CYCLE_1)
	s_sub_u32 s8, s10, s2
	s_subb_u32 s9, s11, s3
	s_and_b32 s26, s10, 3
	s_load_b64 s[10:11], s[0:1], 0xc50
	s_or_b64 s[2:3], s[24:25], s[26:27]
	s_cmp_lg_u64 s[2:3], 0
	s_cselect_b32 s2, -1, 0
	s_delay_alu instid0(SALU_CYCLE_1) | instskip(NEXT) | instid1(SALU_CYCLE_1)
	s_or_b32 s2, s4, s2
	s_and_not1_b32 vcc_lo, exec_lo, s2
	s_mov_b32 s2, -1
	s_cbranch_vccz .LBB39_5
; %bb.1:
	v_dual_mov_b32 v2, 0 :: v_dual_lshlrev_b32 v1, 2, v0
	s_mov_b32 s23, exec_lo
	s_delay_alu instid0(VALU_DEP_1)
	v_cmpx_gt_i64_e64 s[8:9], v[1:2]
	s_cbranch_execz .LBB39_4
; %bb.2:
	s_load_b32 s2, s[0:1], 0xc64
	v_lshlrev_b32_e32 v3, 5, v0
	s_mov_b32 s24, 0
	s_waitcnt lgkmcnt(0)
	s_and_b32 s2, s2, 0xffff
	s_delay_alu instid0(SALU_CYCLE_1)
	v_add_lshl_u32 v1, v0, s2, 2
	s_lshl_b32 s25, s2, 2
	s_lshl_b32 s26, s2, 5
.LBB39_3:                               ; =>This Inner Loop Header: Depth=1
	v_add_co_u32 v8, s2, s19, v3
	s_delay_alu instid0(VALU_DEP_1) | instskip(SKIP_1) | instid1(VALU_DEP_1)
	v_add_co_ci_u32_e64 v9, null, s20, 0, s2
	v_add_co_u32 v16, s2, s5, v3
	v_add_co_ci_u32_e64 v17, null, s18, 0, s2
	s_clause 0x1
	global_load_b128 v[4:7], v[8:9], off
	global_load_b128 v[8:11], v[8:9], off offset:16
	s_clause 0x1
	global_load_b128 v[12:15], v[16:17], off
	global_load_b128 v[16:19], v[16:17], off offset:16
	v_cmp_le_i64_e32 vcc_lo, s[8:9], v[1:2]
	v_cmp_lt_u64_e64 s2, 0xffff, v[1:2]
	v_add_co_u32 v20, s3, s21, v3
	s_delay_alu instid0(VALU_DEP_1) | instskip(SKIP_1) | instid1(VALU_DEP_4)
	v_add_co_ci_u32_e64 v21, null, s22, 0, s3
	v_add_co_u32 v1, s3, v1, s25
	s_or_b32 s27, vcc_lo, s2
	s_add_u32 s5, s5, s26
	s_addc_u32 s18, s18, 0
	s_add_u32 s21, s21, s26
	v_add_co_ci_u32_e64 v2, s3, 0, v2, s3
	s_addc_u32 s22, s22, 0
	s_add_u32 s19, s19, s26
	s_addc_u32 s20, s20, 0
	s_waitcnt vmcnt(3)
	v_mul_lo_u32 v28, v5, s10
	v_mul_lo_u32 v29, v4, s11
	v_mad_u64_u32 v[22:23], null, v4, s10, 0
	v_mul_lo_u32 v7, v7, s10
	v_mul_lo_u32 v30, v6, s11
	v_mad_u64_u32 v[4:5], null, v6, s10, 0
	s_waitcnt vmcnt(2)
	v_mul_lo_u32 v9, v9, s10
	v_mul_lo_u32 v31, v8, s11
	v_mad_u64_u32 v[24:25], null, v8, s10, 0
	v_mul_lo_u32 v11, v11, s10
	v_mul_lo_u32 v32, v10, s11
	v_mad_u64_u32 v[26:27], null, v10, s10, 0
	v_add3_u32 v23, v23, v29, v28
	v_add3_u32 v7, v5, v30, v7
	;; [unrolled: 1-line block ×3, first 2 shown]
	s_waitcnt vmcnt(1)
	v_sub_co_u32 v6, vcc_lo, v14, v4
	v_sub_co_u32 v4, s4, v12, v22
	v_add3_u32 v11, v27, v32, v11
	s_waitcnt vmcnt(0)
	v_sub_co_u32 v8, s2, v16, v24
	v_sub_co_u32 v10, s3, v18, v26
	v_sub_co_ci_u32_e64 v5, s4, v13, v23, s4
	v_sub_co_ci_u32_e32 v7, vcc_lo, v15, v7, vcc_lo
	v_sub_co_ci_u32_e64 v9, vcc_lo, v17, v9, s2
	v_sub_co_ci_u32_e64 v11, vcc_lo, v19, v11, s3
	s_and_b32 s2, exec_lo, s27
	s_clause 0x1
	global_store_b128 v[20:21], v[4:7], off
	global_store_b128 v[20:21], v[8:11], off offset:16
	s_or_b32 s24, s2, s24
	s_delay_alu instid0(SALU_CYCLE_1)
	s_and_not1_b32 exec_lo, exec_lo, s24
	s_cbranch_execnz .LBB39_3
.LBB39_4:
	s_or_b32 exec_lo, exec_lo, s23
	s_mov_b32 s2, 0
.LBB39_5:
	s_delay_alu instid0(SALU_CYCLE_1)
	s_and_not1_b32 vcc_lo, exec_lo, s2
	s_cbranch_vccnz .LBB39_25
; %bb.6:
	v_cmp_lt_i64_e64 s2, s[8:9], 1
	s_delay_alu instid0(VALU_DEP_1)
	s_and_b32 vcc_lo, exec_lo, s2
	s_cbranch_vccnz .LBB39_25
; %bb.7:
	s_load_b32 s0, s[0:1], 0xc64
	v_dual_mov_b32 v2, 0 :: v_dual_lshlrev_b32 v1, 3, v0
	v_cmp_gt_u64_e64 s1, 0x10000, s[8:9]
	s_delay_alu instid0(VALU_DEP_2) | instskip(NEXT) | instid1(VALU_DEP_1)
	v_add_co_u32 v17, s2, s12, v1
	v_add_co_ci_u32_e64 v18, null, s13, 0, s2
	v_add_co_u32 v19, s2, s14, v1
	s_delay_alu instid0(VALU_DEP_1) | instskip(SKIP_1) | instid1(VALU_DEP_1)
	v_add_co_ci_u32_e64 v20, null, s15, 0, s2
	v_add_co_u32 v21, s2, s16, v1
	v_add_co_ci_u32_e64 v22, null, s17, 0, s2
	s_waitcnt lgkmcnt(0)
	s_and_b32 s0, s0, 0xffff
	s_and_b32 s1, s1, exec_lo
	v_mad_u64_u32 v[3:4], null, s0, 24, v[1:2]
	s_cselect_b32 s5, s9, 0
	s_cselect_b32 s4, s8, 0x10000
	s_lshl_b32 s3, s0, 4
	s_mul_i32 s2, s0, 3
	v_add_co_u32 v1, s3, s3, v1
	s_delay_alu instid0(VALU_DEP_2) | instskip(NEXT) | instid1(VALU_DEP_3)
	v_add_co_u32 v23, vcc_lo, s12, v3
	v_add_co_ci_u32_e32 v24, vcc_lo, s13, v4, vcc_lo
	v_add_co_u32 v25, vcc_lo, s14, v3
	v_add_co_ci_u32_e32 v26, vcc_lo, s15, v4, vcc_lo
	v_add_co_u32 v27, vcc_lo, s16, v3
	v_add_co_ci_u32_e64 v2, null, 0, 0, s3
	v_add_co_ci_u32_e32 v28, vcc_lo, s17, v4, vcc_lo
	v_add_co_u32 v29, s2, s2, v0
	v_add_co_u32 v31, vcc_lo, s12, v1
	v_add_co_ci_u32_e64 v30, null, 0, 0, s2
	v_add_co_u32 v35, s2, v0, s0
	v_add_co_ci_u32_e32 v32, vcc_lo, s13, v2, vcc_lo
	v_add_co_u32 v33, vcc_lo, s14, v1
	v_add_co_ci_u32_e32 v34, vcc_lo, s15, v2, vcc_lo
	v_add_co_u32 v36, vcc_lo, s16, v1
	v_lshlrev_b32_e32 v1, 3, v35
	s_lshl_b32 s1, s0, 1
	v_add_co_ci_u32_e32 v37, vcc_lo, s17, v2, vcc_lo
	v_add_co_u32 v39, s1, s1, v0
	s_delay_alu instid0(VALU_DEP_1) | instskip(SKIP_1) | instid1(VALU_DEP_1)
	v_add_co_ci_u32_e64 v40, null, 0, 0, s1
	v_add_co_u32 v41, s1, s12, v1
	v_add_co_ci_u32_e64 v42, null, s13, 0, s1
	v_add_co_u32 v43, s1, s14, v1
	s_delay_alu instid0(VALU_DEP_1)
	v_add_co_ci_u32_e64 v44, null, s15, 0, s1
	v_add_co_u32 v45, s1, s16, v1
	v_add_co_ci_u32_e64 v38, null, 0, 0, s2
	v_add_co_ci_u32_e64 v46, null, s17, 0, s1
	s_lshl_b32 s14, s0, 2
	s_lshl_b32 s15, s0, 5
	s_mov_b64 s[12:13], 0
	s_branch .LBB39_9
.LBB39_8:                               ;   in Loop: Header=BB39_9 Depth=1
	s_or_b32 exec_lo, exec_lo, s0
	v_add_co_u32 v17, vcc_lo, v17, s15
	v_add_co_ci_u32_e32 v18, vcc_lo, 0, v18, vcc_lo
	v_add_co_u32 v19, vcc_lo, v19, s15
	v_add_co_ci_u32_e32 v20, vcc_lo, 0, v20, vcc_lo
	;; [unrolled: 2-line block ×9, first 2 shown]
	s_add_u32 s12, s12, s14
	v_add_co_u32 v41, vcc_lo, v41, s15
	s_addc_u32 s13, s13, 0
	v_add_co_ci_u32_e32 v42, vcc_lo, 0, v42, vcc_lo
	v_cmp_ge_i64_e64 s0, s[12:13], s[8:9]
	v_cmp_lt_u64_e64 s1, 0xffff, s[12:13]
	v_add_co_u32 v43, vcc_lo, v43, s15
	v_add_co_ci_u32_e32 v44, vcc_lo, 0, v44, vcc_lo
	v_add_co_u32 v45, vcc_lo, v45, s15
	v_add_co_ci_u32_e32 v46, vcc_lo, 0, v46, vcc_lo
	s_or_b32 s0, s0, s1
	s_delay_alu instid0(SALU_CYCLE_1)
	s_and_b32 vcc_lo, exec_lo, s0
	s_cbranch_vccnz .LBB39_25
.LBB39_9:                               ; =>This Inner Loop Header: Depth=1
	s_waitcnt vmcnt(1)
	v_add_co_u32 v3, s0, v0, s12
	s_delay_alu instid0(VALU_DEP_1) | instskip(SKIP_2) | instid1(VALU_DEP_3)
	v_add_co_ci_u32_e64 v4, null, 0, s13, s0
	v_mov_b32_e32 v1, 0
	v_mov_b32_e32 v2, 0
	v_cmp_gt_u64_e32 vcc_lo, s[4:5], v[3:4]
	s_delay_alu instid0(VALU_DEP_2)
	v_dual_mov_b32 v6, v2 :: v_dual_mov_b32 v5, v1
	s_waitcnt vmcnt(0)
	v_dual_mov_b32 v8, v2 :: v_dual_mov_b32 v7, v1
	s_and_saveexec_b32 s1, vcc_lo
	s_cbranch_execz .LBB39_11
; %bb.10:                               ;   in Loop: Header=BB39_9 Depth=1
	v_add_co_u32 v3, s0, v17, s6
	s_delay_alu instid0(VALU_DEP_1) | instskip(SKIP_1) | instid1(VALU_DEP_1)
	v_add_co_ci_u32_e64 v4, s0, s7, v18, s0
	v_add_co_u32 v7, s0, v19, s6
	v_add_co_ci_u32_e64 v8, s0, s7, v20, s0
	global_load_b64 v[5:6], v[3:4], off
	global_load_b64 v[7:8], v[7:8], off
.LBB39_11:                              ;   in Loop: Header=BB39_9 Depth=1
	s_or_b32 exec_lo, exec_lo, s1
	v_add_co_u32 v3, s0, v35, s12
	s_delay_alu instid0(VALU_DEP_1) | instskip(SKIP_1) | instid1(VALU_DEP_2)
	v_add_co_ci_u32_e64 v4, s0, s13, v38, s0
	v_dual_mov_b32 v10, v2 :: v_dual_mov_b32 v9, v1
	v_cmp_gt_u64_e64 s0, s[4:5], v[3:4]
	s_delay_alu instid0(VALU_DEP_1)
	s_and_saveexec_b32 s2, s0
	s_cbranch_execz .LBB39_13
; %bb.12:                               ;   in Loop: Header=BB39_9 Depth=1
	v_add_co_u32 v1, s1, v41, s6
	s_delay_alu instid0(VALU_DEP_1) | instskip(SKIP_1) | instid1(VALU_DEP_1)
	v_add_co_ci_u32_e64 v2, s1, s7, v42, s1
	v_add_co_u32 v3, s1, v43, s6
	v_add_co_ci_u32_e64 v4, s1, s7, v44, s1
	global_load_b64 v[1:2], v[1:2], off
	global_load_b64 v[9:10], v[3:4], off
.LBB39_13:                              ;   in Loop: Header=BB39_9 Depth=1
	s_or_b32 exec_lo, exec_lo, s2
	v_add_co_u32 v11, s1, v39, s12
	s_delay_alu instid0(VALU_DEP_1) | instskip(SKIP_2) | instid1(VALU_DEP_3)
	v_add_co_ci_u32_e64 v12, s1, s13, v40, s1
	v_mov_b32_e32 v3, 0
	v_mov_b32_e32 v4, 0
	v_cmp_gt_u64_e64 s1, s[4:5], v[11:12]
	s_delay_alu instid0(VALU_DEP_2) | instskip(SKIP_1) | instid1(VALU_DEP_3)
	v_dual_mov_b32 v12, v4 :: v_dual_mov_b32 v11, v3
	v_dual_mov_b32 v14, v4 :: v_dual_mov_b32 v13, v3
	s_and_saveexec_b32 s3, s1
	s_cbranch_execz .LBB39_15
; %bb.14:                               ;   in Loop: Header=BB39_9 Depth=1
	v_add_co_u32 v11, s2, v31, s6
	s_delay_alu instid0(VALU_DEP_1) | instskip(SKIP_1) | instid1(VALU_DEP_1)
	v_add_co_ci_u32_e64 v12, s2, s7, v32, s2
	v_add_co_u32 v13, s2, v33, s6
	v_add_co_ci_u32_e64 v14, s2, s7, v34, s2
	global_load_b64 v[11:12], v[11:12], off
	global_load_b64 v[13:14], v[13:14], off
.LBB39_15:                              ;   in Loop: Header=BB39_9 Depth=1
	s_or_b32 exec_lo, exec_lo, s3
	v_add_co_u32 v15, s2, v29, s12
	s_delay_alu instid0(VALU_DEP_1) | instskip(NEXT) | instid1(VALU_DEP_1)
	v_add_co_ci_u32_e64 v16, s2, s13, v30, s2
	v_cmp_gt_u64_e64 s2, s[4:5], v[15:16]
	v_dual_mov_b32 v16, v4 :: v_dual_mov_b32 v15, v3
	s_delay_alu instid0(VALU_DEP_2)
	s_and_saveexec_b32 s16, s2
	s_cbranch_execnz .LBB39_20
; %bb.16:                               ;   in Loop: Header=BB39_9 Depth=1
	s_or_b32 exec_lo, exec_lo, s16
	s_and_saveexec_b32 s3, vcc_lo
	s_cbranch_execnz .LBB39_21
.LBB39_17:                              ;   in Loop: Header=BB39_9 Depth=1
	s_or_b32 exec_lo, exec_lo, s3
	s_and_saveexec_b32 s3, s0
	s_cbranch_execnz .LBB39_22
.LBB39_18:                              ;   in Loop: Header=BB39_9 Depth=1
	s_or_b32 exec_lo, exec_lo, s3
	s_and_saveexec_b32 s0, s1
	s_cbranch_execnz .LBB39_23
.LBB39_19:                              ;   in Loop: Header=BB39_9 Depth=1
	s_or_b32 exec_lo, exec_lo, s0
	s_and_saveexec_b32 s0, s2
	s_cbranch_execz .LBB39_8
	s_branch .LBB39_24
.LBB39_20:                              ;   in Loop: Header=BB39_9 Depth=1
	v_add_co_u32 v3, s3, v23, s6
	s_delay_alu instid0(VALU_DEP_1) | instskip(SKIP_1) | instid1(VALU_DEP_1)
	v_add_co_ci_u32_e64 v4, s3, s7, v24, s3
	v_add_co_u32 v15, s3, v25, s6
	v_add_co_ci_u32_e64 v16, s3, s7, v26, s3
	global_load_b64 v[3:4], v[3:4], off
	global_load_b64 v[15:16], v[15:16], off
	s_or_b32 exec_lo, exec_lo, s16
	s_and_saveexec_b32 s3, vcc_lo
	s_cbranch_execz .LBB39_17
.LBB39_21:                              ;   in Loop: Header=BB39_9 Depth=1
	s_waitcnt vmcnt(0)
	v_mul_lo_u32 v8, v8, s10
	v_mul_lo_u32 v49, v7, s11
	v_mad_u64_u32 v[47:48], null, v7, s10, 0
	s_delay_alu instid0(VALU_DEP_1) | instskip(NEXT) | instid1(VALU_DEP_2)
	v_add3_u32 v7, v48, v49, v8
	v_sub_co_u32 v5, vcc_lo, v5, v47
	s_delay_alu instid0(VALU_DEP_2)
	v_sub_co_ci_u32_e32 v6, vcc_lo, v6, v7, vcc_lo
	v_add_co_u32 v7, vcc_lo, v21, s6
	v_add_co_ci_u32_e32 v8, vcc_lo, s7, v22, vcc_lo
	global_store_b64 v[7:8], v[5:6], off
	s_or_b32 exec_lo, exec_lo, s3
	s_and_saveexec_b32 s3, s0
	s_cbranch_execz .LBB39_18
.LBB39_22:                              ;   in Loop: Header=BB39_9 Depth=1
	s_waitcnt vmcnt(0)
	v_mul_lo_u32 v7, v10, s10
	v_mul_lo_u32 v8, v9, s11
	v_mad_u64_u32 v[5:6], null, v9, s10, 0
	s_delay_alu instid0(VALU_DEP_1) | instskip(NEXT) | instid1(VALU_DEP_2)
	v_add3_u32 v6, v6, v8, v7
	v_sub_co_u32 v1, vcc_lo, v1, v5
	s_delay_alu instid0(VALU_DEP_2)
	v_sub_co_ci_u32_e32 v2, vcc_lo, v2, v6, vcc_lo
	v_add_co_u32 v5, vcc_lo, v45, s6
	v_add_co_ci_u32_e32 v6, vcc_lo, s7, v46, vcc_lo
	global_store_b64 v[5:6], v[1:2], off
	s_or_b32 exec_lo, exec_lo, s3
	s_and_saveexec_b32 s0, s1
	s_cbranch_execz .LBB39_19
.LBB39_23:                              ;   in Loop: Header=BB39_9 Depth=1
	s_waitcnt vmcnt(0)
	v_mul_lo_u32 v5, v14, s10
	v_mul_lo_u32 v6, v13, s11
	v_mad_u64_u32 v[1:2], null, v13, s10, 0
	s_delay_alu instid0(VALU_DEP_1) | instskip(NEXT) | instid1(VALU_DEP_2)
	v_add3_u32 v2, v2, v6, v5
	v_sub_co_u32 v1, vcc_lo, v11, v1
	s_delay_alu instid0(VALU_DEP_2)
	v_sub_co_ci_u32_e32 v2, vcc_lo, v12, v2, vcc_lo
	v_add_co_u32 v5, vcc_lo, v36, s6
	v_add_co_ci_u32_e32 v6, vcc_lo, s7, v37, vcc_lo
	global_store_b64 v[5:6], v[1:2], off
	s_or_b32 exec_lo, exec_lo, s0
	s_and_saveexec_b32 s0, s2
	s_cbranch_execz .LBB39_8
.LBB39_24:                              ;   in Loop: Header=BB39_9 Depth=1
	s_waitcnt vmcnt(0)
	v_mul_lo_u32 v5, v16, s10
	v_mul_lo_u32 v6, v15, s11
	v_mad_u64_u32 v[1:2], null, v15, s10, 0
	s_delay_alu instid0(VALU_DEP_1) | instskip(NEXT) | instid1(VALU_DEP_2)
	v_add3_u32 v2, v2, v6, v5
	v_sub_co_u32 v1, vcc_lo, v3, v1
	s_delay_alu instid0(VALU_DEP_2)
	v_sub_co_ci_u32_e32 v2, vcc_lo, v4, v2, vcc_lo
	v_add_co_u32 v3, vcc_lo, v27, s6
	v_add_co_ci_u32_e32 v4, vcc_lo, s7, v28, vcc_lo
	global_store_b64 v[3:4], v[1:2], off
	s_branch .LBB39_8
.LBB39_25:
	s_nop 0
	s_sendmsg sendmsg(MSG_DEALLOC_VGPRS)
	s_endpgm
	.section	.rodata,"a",@progbits
	.p2align	6, 0x0
	.amdhsa_kernel _ZN2at6native12_GLOBAL__N_125multi_tensor_apply_kernelINS1_18TensorListMetadataILi3EEENS1_24BinaryOpListAlphaFunctorIlLi3ELi2ELi2EEEJSt5minusIlElEEEvT_T0_DpT1_
		.amdhsa_group_segment_fixed_size 0
		.amdhsa_private_segment_fixed_size 0
		.amdhsa_kernarg_size 3416
		.amdhsa_user_sgpr_count 15
		.amdhsa_user_sgpr_dispatch_ptr 0
		.amdhsa_user_sgpr_queue_ptr 0
		.amdhsa_user_sgpr_kernarg_segment_ptr 1
		.amdhsa_user_sgpr_dispatch_id 0
		.amdhsa_user_sgpr_private_segment_size 0
		.amdhsa_wavefront_size32 1
		.amdhsa_uses_dynamic_stack 0
		.amdhsa_enable_private_segment 0
		.amdhsa_system_sgpr_workgroup_id_x 1
		.amdhsa_system_sgpr_workgroup_id_y 0
		.amdhsa_system_sgpr_workgroup_id_z 0
		.amdhsa_system_sgpr_workgroup_info 0
		.amdhsa_system_vgpr_workitem_id 0
		.amdhsa_next_free_vgpr 50
		.amdhsa_next_free_sgpr 28
		.amdhsa_reserve_vcc 1
		.amdhsa_float_round_mode_32 0
		.amdhsa_float_round_mode_16_64 0
		.amdhsa_float_denorm_mode_32 3
		.amdhsa_float_denorm_mode_16_64 3
		.amdhsa_dx10_clamp 1
		.amdhsa_ieee_mode 1
		.amdhsa_fp16_overflow 0
		.amdhsa_workgroup_processor_mode 1
		.amdhsa_memory_ordered 1
		.amdhsa_forward_progress 0
		.amdhsa_shared_vgpr_count 0
		.amdhsa_exception_fp_ieee_invalid_op 0
		.amdhsa_exception_fp_denorm_src 0
		.amdhsa_exception_fp_ieee_div_zero 0
		.amdhsa_exception_fp_ieee_overflow 0
		.amdhsa_exception_fp_ieee_underflow 0
		.amdhsa_exception_fp_ieee_inexact 0
		.amdhsa_exception_int_div_zero 0
	.end_amdhsa_kernel
	.section	.text._ZN2at6native12_GLOBAL__N_125multi_tensor_apply_kernelINS1_18TensorListMetadataILi3EEENS1_24BinaryOpListAlphaFunctorIlLi3ELi2ELi2EEEJSt5minusIlElEEEvT_T0_DpT1_,"axG",@progbits,_ZN2at6native12_GLOBAL__N_125multi_tensor_apply_kernelINS1_18TensorListMetadataILi3EEENS1_24BinaryOpListAlphaFunctorIlLi3ELi2ELi2EEEJSt5minusIlElEEEvT_T0_DpT1_,comdat
.Lfunc_end39:
	.size	_ZN2at6native12_GLOBAL__N_125multi_tensor_apply_kernelINS1_18TensorListMetadataILi3EEENS1_24BinaryOpListAlphaFunctorIlLi3ELi2ELi2EEEJSt5minusIlElEEEvT_T0_DpT1_, .Lfunc_end39-_ZN2at6native12_GLOBAL__N_125multi_tensor_apply_kernelINS1_18TensorListMetadataILi3EEENS1_24BinaryOpListAlphaFunctorIlLi3ELi2ELi2EEEJSt5minusIlElEEEvT_T0_DpT1_
                                        ; -- End function
	.section	.AMDGPU.csdata,"",@progbits
; Kernel info:
; codeLenInByte = 2152
; NumSgprs: 30
; NumVgprs: 50
; ScratchSize: 0
; MemoryBound: 0
; FloatMode: 240
; IeeeMode: 1
; LDSByteSize: 0 bytes/workgroup (compile time only)
; SGPRBlocks: 3
; VGPRBlocks: 6
; NumSGPRsForWavesPerEU: 30
; NumVGPRsForWavesPerEU: 50
; Occupancy: 16
; WaveLimiterHint : 0
; COMPUTE_PGM_RSRC2:SCRATCH_EN: 0
; COMPUTE_PGM_RSRC2:USER_SGPR: 15
; COMPUTE_PGM_RSRC2:TRAP_HANDLER: 0
; COMPUTE_PGM_RSRC2:TGID_X_EN: 1
; COMPUTE_PGM_RSRC2:TGID_Y_EN: 0
; COMPUTE_PGM_RSRC2:TGID_Z_EN: 0
; COMPUTE_PGM_RSRC2:TIDIG_COMP_CNT: 0
	.section	.text._ZN2at6native12_GLOBAL__N_125multi_tensor_apply_kernelINS1_18TensorListMetadataILi3EEENS1_24BinaryOpListAlphaFunctorIsLi3ELi2ELi2EEEJSt5minusIsEsEEEvT_T0_DpT1_,"axG",@progbits,_ZN2at6native12_GLOBAL__N_125multi_tensor_apply_kernelINS1_18TensorListMetadataILi3EEENS1_24BinaryOpListAlphaFunctorIsLi3ELi2ELi2EEEJSt5minusIsEsEEEvT_T0_DpT1_,comdat
	.globl	_ZN2at6native12_GLOBAL__N_125multi_tensor_apply_kernelINS1_18TensorListMetadataILi3EEENS1_24BinaryOpListAlphaFunctorIsLi3ELi2ELi2EEEJSt5minusIsEsEEEvT_T0_DpT1_ ; -- Begin function _ZN2at6native12_GLOBAL__N_125multi_tensor_apply_kernelINS1_18TensorListMetadataILi3EEENS1_24BinaryOpListAlphaFunctorIsLi3ELi2ELi2EEEJSt5minusIsEsEEEvT_T0_DpT1_
	.p2align	8
	.type	_ZN2at6native12_GLOBAL__N_125multi_tensor_apply_kernelINS1_18TensorListMetadataILi3EEENS1_24BinaryOpListAlphaFunctorIsLi3ELi2ELi2EEEJSt5minusIsEsEEEvT_T0_DpT1_,@function
_ZN2at6native12_GLOBAL__N_125multi_tensor_apply_kernelINS1_18TensorListMetadataILi3EEENS1_24BinaryOpListAlphaFunctorIsLi3ELi2ELi2EEEJSt5minusIsEsEEEvT_T0_DpT1_: ; @_ZN2at6native12_GLOBAL__N_125multi_tensor_apply_kernelINS1_18TensorListMetadataILi3EEENS1_24BinaryOpListAlphaFunctorIsLi3ELi2ELi2EEEJSt5minusIsEsEEEvT_T0_DpT1_
; %bb.0:
	v_mov_b32_e32 v1, s15
	s_mul_i32 s4, s15, 3
	s_mul_hi_u32 s3, s15, 3
	s_mov_b32 s19, 0
	s_load_b32 s2, s[0:1], 0xc48
	global_load_u8 v1, v1, s[0:1] offset:1536
	s_mov_b32 s21, s19
	s_waitcnt lgkmcnt(0)
	s_lshr_b32 s16, s2, 16
	s_add_u32 s2, s0, s15
	s_addc_u32 s5, s1, 0
	s_add_u32 s2, s2, s4
	s_addc_u32 s3, s5, s3
	s_load_b32 s2, s[2:3], 0x740
	s_waitcnt vmcnt(0)
	v_readfirstlane_b32 s4, v1
	s_delay_alu instid0(VALU_DEP_1)
	s_lshl_b32 s3, s4, 3
	s_clause 0x3
	s_load_b64 s[12:13], s[0:1], s3 offset:0x180
	s_load_b64 s[10:11], s[0:1], s3 offset:0x300
	;; [unrolled: 1-line block ×4, first 2 shown]
	s_waitcnt lgkmcnt(0)
	s_ashr_i32 s3, s2, 31
	s_delay_alu instid0(SALU_CYCLE_1) | instskip(NEXT) | instid1(SALU_CYCLE_1)
	s_lshl_b64 s[4:5], s[2:3], 17
	s_add_u32 s6, s12, s4
	s_delay_alu instid0(SALU_CYCLE_1) | instskip(SKIP_2) | instid1(SALU_CYCLE_1)
	s_or_b32 s6, s10, s6
	s_and_b32 s18, s14, 7
	s_and_b32 s6, s6, 7
	s_cmp_lg_u32 s6, 0
	s_cselect_b32 s17, -1, 0
	s_lshl_b64 s[2:3], s[2:3], 16
	s_delay_alu instid0(SALU_CYCLE_1) | instskip(SKIP_2) | instid1(SALU_CYCLE_1)
	s_sub_u32 s6, s8, s2
	s_subb_u32 s7, s9, s3
	s_and_b32 s20, s8, 3
	s_or_b64 s[2:3], s[18:19], s[20:21]
	s_delay_alu instid0(SALU_CYCLE_1) | instskip(SKIP_1) | instid1(SALU_CYCLE_1)
	s_cmp_lg_u64 s[2:3], 0
	s_cselect_b32 s2, -1, 0
	s_or_b32 s2, s17, s2
	s_delay_alu instid0(SALU_CYCLE_1)
	s_and_not1_b32 vcc_lo, exec_lo, s2
	s_mov_b32 s2, -1
	s_cbranch_vccz .LBB40_5
; %bb.1:
	v_dual_mov_b32 v2, 0 :: v_dual_lshlrev_b32 v1, 2, v0
	s_mov_b32 s8, exec_lo
	s_delay_alu instid0(VALU_DEP_1)
	v_cmpx_gt_i64_e64 s[6:7], v[1:2]
	s_cbranch_execz .LBB40_4
; %bb.2:
	s_load_b32 s2, s[0:1], 0xc5c
	v_lshlrev_b32_e32 v1, 3, v0
	s_mov_b32 s9, 0
	s_delay_alu instid0(VALU_DEP_1) | instskip(NEXT) | instid1(VALU_DEP_1)
	v_add_co_u32 v3, s3, s4, v1
	v_add_co_ci_u32_e64 v4, null, s5, 0, s3
	s_waitcnt lgkmcnt(0)
	s_and_b32 s2, s2, 0xffff
	s_delay_alu instid0(SALU_CYCLE_1)
	v_add_lshl_u32 v1, v0, s2, 2
	s_lshl_b32 s17, s2, 3
	s_lshl_b32 s18, s2, 2
.LBB40_3:                               ; =>This Inner Loop Header: Depth=1
	v_add_co_u32 v5, vcc_lo, s12, v3
	v_add_co_ci_u32_e32 v6, vcc_lo, s13, v4, vcc_lo
	v_add_co_u32 v7, vcc_lo, s14, v3
	v_add_co_ci_u32_e32 v8, vcc_lo, s15, v4, vcc_lo
	v_add_co_u32 v9, vcc_lo, s10, v3
	global_load_b64 v[5:6], v[5:6], off
	global_load_b64 v[7:8], v[7:8], off
	v_add_co_ci_u32_e32 v10, vcc_lo, s11, v4, vcc_lo
	v_cmp_le_i64_e32 vcc_lo, s[6:7], v[1:2]
	v_cmp_lt_u64_e64 s2, 0xffff, v[1:2]
	v_add_co_u32 v3, s3, v3, s17
	s_delay_alu instid0(VALU_DEP_1) | instskip(SKIP_1) | instid1(VALU_DEP_4)
	v_add_co_ci_u32_e64 v4, s3, 0, v4, s3
	v_add_co_u32 v1, s3, v1, s18
	s_or_b32 s2, vcc_lo, s2
	v_add_co_ci_u32_e64 v2, s3, 0, v2, s3
	s_and_b32 s2, exec_lo, s2
	s_delay_alu instid0(SALU_CYCLE_1)
	s_or_b32 s9, s2, s9
	s_waitcnt vmcnt(1)
	v_lshrrev_b32_e32 v11, 16, v5
	v_mul_lo_u16 v5, v5, s16
	s_waitcnt vmcnt(0)
	v_lshrrev_b32_e32 v12, 16, v7
	v_mul_lo_u16 v13, v6, s16
	v_lshrrev_b32_e32 v6, 16, v6
	v_mul_lo_u16 v11, v11, s16
	v_lshrrev_b32_e32 v14, 16, v8
	v_sub_nc_u16 v5, v7, v5
	v_sub_nc_u16 v8, v8, v13
	v_mul_lo_u16 v6, v6, s16
	v_sub_nc_u16 v7, v12, v11
	s_delay_alu instid0(VALU_DEP_4) | instskip(NEXT) | instid1(VALU_DEP_4)
	v_and_b32_e32 v5, 0xffff, v5
	v_and_b32_e32 v8, 0xffff, v8
	s_delay_alu instid0(VALU_DEP_4) | instskip(NEXT) | instid1(VALU_DEP_4)
	v_sub_nc_u16 v6, v14, v6
	v_lshlrev_b32_e32 v7, 16, v7
	s_delay_alu instid0(VALU_DEP_2) | instskip(NEXT) | instid1(VALU_DEP_2)
	v_lshlrev_b32_e32 v6, 16, v6
	v_or_b32_e32 v5, v7, v5
	s_delay_alu instid0(VALU_DEP_2) | instskip(NEXT) | instid1(VALU_DEP_2)
	v_or3_b32 v6, 0, v8, v6
	v_or3_b32 v5, v5, 0, 0
	global_store_b64 v[9:10], v[5:6], off
	s_and_not1_b32 exec_lo, exec_lo, s9
	s_cbranch_execnz .LBB40_3
.LBB40_4:
	s_or_b32 exec_lo, exec_lo, s8
	s_mov_b32 s2, 0
.LBB40_5:
	s_delay_alu instid0(SALU_CYCLE_1)
	s_and_not1_b32 vcc_lo, exec_lo, s2
	s_cbranch_vccnz .LBB40_25
; %bb.6:
	v_cmp_lt_i64_e64 s2, s[6:7], 1
	s_delay_alu instid0(VALU_DEP_1)
	s_and_b32 vcc_lo, exec_lo, s2
	s_cbranch_vccnz .LBB40_25
; %bb.7:
	s_load_b32 s0, s[0:1], 0xc5c
	v_dual_mov_b32 v2, 0 :: v_dual_lshlrev_b32 v1, 1, v0
	v_cmp_gt_u64_e64 s1, 0x10000, s[6:7]
	s_delay_alu instid0(VALU_DEP_2) | instskip(NEXT) | instid1(VALU_DEP_1)
	v_add_co_u32 v3, s2, s14, v1
	v_add_co_ci_u32_e64 v4, null, s15, 0, s2
	v_add_co_u32 v5, s2, s12, v1
	s_delay_alu instid0(VALU_DEP_1) | instskip(SKIP_1) | instid1(VALU_DEP_1)
	v_add_co_ci_u32_e64 v6, null, s13, 0, s2
	v_add_co_u32 v7, s2, s10, v1
	v_add_co_ci_u32_e64 v8, null, s11, 0, s2
	s_waitcnt lgkmcnt(0)
	s_and_b32 s0, s0, 0xffff
	s_and_b32 s1, s1, exec_lo
	v_mad_u64_u32 v[13:14], null, s0, 6, v[1:2]
	s_cselect_b32 s9, s7, 0
	s_cselect_b32 s8, s6, 0x10000
	s_lshl_b32 s17, s0, 2
	s_mul_i32 s2, s0, 3
	v_add_co_u32 v1, s3, s17, v1
	s_delay_alu instid0(VALU_DEP_2) | instskip(NEXT) | instid1(VALU_DEP_3)
	v_add_co_u32 v9, vcc_lo, s14, v13
	v_add_co_ci_u32_e32 v10, vcc_lo, s15, v14, vcc_lo
	v_add_co_u32 v11, vcc_lo, s12, v13
	v_add_co_ci_u32_e32 v12, vcc_lo, s13, v14, vcc_lo
	v_add_co_u32 v13, vcc_lo, s10, v13
	v_add_co_ci_u32_e64 v2, null, 0, 0, s3
	v_add_co_ci_u32_e32 v14, vcc_lo, s11, v14, vcc_lo
	v_add_co_u32 v15, s2, s2, v0
	v_add_co_u32 v17, vcc_lo, s14, v1
	v_add_co_ci_u32_e64 v16, null, 0, 0, s2
	v_add_co_u32 v21, s2, v0, s0
	v_add_co_ci_u32_e32 v18, vcc_lo, s15, v2, vcc_lo
	v_add_co_u32 v19, vcc_lo, s12, v1
	v_add_co_ci_u32_e32 v20, vcc_lo, s13, v2, vcc_lo
	v_add_co_u32 v22, vcc_lo, s10, v1
	v_lshlrev_b32_e32 v1, 1, v21
	s_lshl_b32 s1, s0, 1
	v_add_co_ci_u32_e32 v23, vcc_lo, s11, v2, vcc_lo
	v_add_co_u32 v25, s1, s1, v0
	s_delay_alu instid0(VALU_DEP_1) | instskip(SKIP_1) | instid1(VALU_DEP_1)
	v_add_co_ci_u32_e64 v26, null, 0, 0, s1
	v_add_co_u32 v27, s1, s14, v1
	v_add_co_ci_u32_e64 v28, null, s15, 0, s1
	v_add_co_u32 v29, s1, s12, v1
	s_delay_alu instid0(VALU_DEP_1)
	v_add_co_ci_u32_e64 v30, null, s13, 0, s1
	v_add_co_u32 v31, s1, s10, v1
	v_add_co_ci_u32_e64 v24, null, 0, 0, s2
	v_add_co_ci_u32_e64 v32, null, s11, 0, s1
	s_mov_b32 s12, 0
	s_lshl_b32 s13, s0, 3
	s_mov_b64 s[10:11], 0
	s_branch .LBB40_9
.LBB40_8:                               ;   in Loop: Header=BB40_9 Depth=1
	s_or_b32 exec_lo, exec_lo, s0
	v_add_co_u32 v3, vcc_lo, v3, s13
	v_add_co_ci_u32_e32 v4, vcc_lo, 0, v4, vcc_lo
	v_add_co_u32 v5, vcc_lo, v5, s13
	v_add_co_ci_u32_e32 v6, vcc_lo, 0, v6, vcc_lo
	;; [unrolled: 2-line block ×9, first 2 shown]
	s_add_u32 s10, s10, s17
	v_add_co_u32 v27, vcc_lo, v27, s13
	s_addc_u32 s11, s11, 0
	v_add_co_ci_u32_e32 v28, vcc_lo, 0, v28, vcc_lo
	v_cmp_ge_i64_e64 s0, s[10:11], s[6:7]
	v_cmp_lt_u64_e64 s1, 0xffff, s[10:11]
	v_add_co_u32 v29, vcc_lo, v29, s13
	v_add_co_ci_u32_e32 v30, vcc_lo, 0, v30, vcc_lo
	v_add_co_u32 v31, vcc_lo, v31, s13
	v_add_co_ci_u32_e32 v32, vcc_lo, 0, v32, vcc_lo
	s_or_b32 s0, s0, s1
	s_delay_alu instid0(SALU_CYCLE_1)
	s_and_b32 vcc_lo, exec_lo, s0
	s_cbranch_vccnz .LBB40_25
.LBB40_9:                               ; =>This Inner Loop Header: Depth=1
	v_add_co_u32 v1, s0, v0, s10
	s_delay_alu instid0(VALU_DEP_1) | instskip(SKIP_2) | instid1(VALU_DEP_2)
	v_add_co_ci_u32_e64 v2, null, 0, s11, s0
	s_waitcnt vmcnt(0)
	v_mov_b32_e32 v33, 0
	v_cmp_gt_u64_e32 vcc_lo, s[8:9], v[1:2]
	v_mov_b32_e32 v1, 0
	v_mov_b32_e32 v2, 0
	s_and_saveexec_b32 s1, vcc_lo
	s_cbranch_execz .LBB40_11
; %bb.10:                               ;   in Loop: Header=BB40_9 Depth=1
	v_add_co_u32 v1, s0, v3, s4
	s_delay_alu instid0(VALU_DEP_1) | instskip(SKIP_2) | instid1(VALU_DEP_1)
	v_add_co_ci_u32_e64 v2, s0, s5, v4, s0
	global_load_u16 v34, v[1:2], off
	v_add_co_u32 v1, s0, v5, s4
	v_add_co_ci_u32_e64 v2, s0, s5, v6, s0
	global_load_u16 v33, v[1:2], off
	s_waitcnt vmcnt(1)
	v_dual_mov_b32 v2, s12 :: v_dual_and_b32 v1, 0xffff, v34
.LBB40_11:                              ;   in Loop: Header=BB40_9 Depth=1
	s_or_b32 exec_lo, exec_lo, s1
	v_add_co_u32 v34, s0, v21, s10
	s_delay_alu instid0(VALU_DEP_1) | instskip(NEXT) | instid1(VALU_DEP_1)
	v_add_co_ci_u32_e64 v35, s0, s11, v24, s0
	v_cmp_gt_u64_e64 s0, s[8:9], v[34:35]
	v_dual_mov_b32 v34, 0 :: v_dual_mov_b32 v35, 0
	s_delay_alu instid0(VALU_DEP_2)
	s_and_saveexec_b32 s2, s0
	s_cbranch_execz .LBB40_13
; %bb.12:                               ;   in Loop: Header=BB40_9 Depth=1
	v_add_co_u32 v35, s1, v27, s4
	s_delay_alu instid0(VALU_DEP_1) | instskip(SKIP_2) | instid1(VALU_DEP_1)
	v_add_co_ci_u32_e64 v36, s1, s5, v28, s1
	global_load_u16 v37, v[35:36], off
	v_add_co_u32 v35, s1, v29, s4
	v_add_co_ci_u32_e64 v36, s1, s5, v30, s1
	global_load_u16 v35, v[35:36], off
	s_waitcnt vmcnt(1)
	v_lshl_or_b32 v1, v37, 16, v1
.LBB40_13:                              ;   in Loop: Header=BB40_9 Depth=1
	s_or_b32 exec_lo, exec_lo, s2
	v_add_co_u32 v36, s1, v25, s10
	s_delay_alu instid0(VALU_DEP_1) | instskip(NEXT) | instid1(VALU_DEP_1)
	v_add_co_ci_u32_e64 v37, s1, s11, v26, s1
	v_cmp_gt_u64_e64 s1, s[8:9], v[36:37]
	s_delay_alu instid0(VALU_DEP_1)
	s_and_saveexec_b32 s3, s1
	s_cbranch_execz .LBB40_15
; %bb.14:                               ;   in Loop: Header=BB40_9 Depth=1
	v_add_co_u32 v36, s2, v17, s4
	s_delay_alu instid0(VALU_DEP_1) | instskip(SKIP_2) | instid1(VALU_DEP_1)
	v_add_co_ci_u32_e64 v37, s2, s5, v18, s2
	global_load_u16 v38, v[36:37], off
	v_add_co_u32 v36, s2, v19, s4
	v_add_co_ci_u32_e64 v37, s2, s5, v20, s2
	global_load_u16 v34, v[36:37], off
	s_waitcnt vmcnt(1)
	v_or_b32_e32 v2, v38, v2
.LBB40_15:                              ;   in Loop: Header=BB40_9 Depth=1
	s_or_b32 exec_lo, exec_lo, s3
	v_add_co_u32 v36, s2, v15, s10
	s_delay_alu instid0(VALU_DEP_1) | instskip(NEXT) | instid1(VALU_DEP_1)
	v_add_co_ci_u32_e64 v37, s2, s11, v16, s2
	v_cmp_gt_u64_e64 s2, s[8:9], v[36:37]
	v_mov_b32_e32 v36, 0
	s_delay_alu instid0(VALU_DEP_2)
	s_and_saveexec_b32 s14, s2
	s_cbranch_execnz .LBB40_20
; %bb.16:                               ;   in Loop: Header=BB40_9 Depth=1
	s_or_b32 exec_lo, exec_lo, s14
	s_and_saveexec_b32 s3, vcc_lo
	s_cbranch_execnz .LBB40_21
.LBB40_17:                              ;   in Loop: Header=BB40_9 Depth=1
	s_or_b32 exec_lo, exec_lo, s3
	s_and_saveexec_b32 s3, s0
	s_cbranch_execnz .LBB40_22
.LBB40_18:                              ;   in Loop: Header=BB40_9 Depth=1
	s_or_b32 exec_lo, exec_lo, s3
	s_and_saveexec_b32 s0, s1
	s_cbranch_execnz .LBB40_23
.LBB40_19:                              ;   in Loop: Header=BB40_9 Depth=1
	s_or_b32 exec_lo, exec_lo, s0
	s_and_saveexec_b32 s0, s2
	s_cbranch_execz .LBB40_8
	s_branch .LBB40_24
.LBB40_20:                              ;   in Loop: Header=BB40_9 Depth=1
	v_add_co_u32 v36, s3, v9, s4
	s_delay_alu instid0(VALU_DEP_1) | instskip(SKIP_3) | instid1(VALU_DEP_1)
	v_add_co_ci_u32_e64 v37, s3, s5, v10, s3
	v_mov_b32_e32 v38, 0
	global_load_d16_hi_b16 v38, v[36:37], off
	v_add_co_u32 v36, s3, v11, s4
	v_add_co_ci_u32_e64 v37, s3, s5, v12, s3
	global_load_u16 v36, v[36:37], off
	s_waitcnt vmcnt(1)
	v_or_b32_e32 v2, v38, v2
	s_or_b32 exec_lo, exec_lo, s14
	s_and_saveexec_b32 s3, vcc_lo
	s_cbranch_execz .LBB40_17
.LBB40_21:                              ;   in Loop: Header=BB40_9 Depth=1
	s_waitcnt vmcnt(0)
	v_mul_lo_u16 v33, v33, s16
	v_add_co_u32 v37, vcc_lo, v7, s4
	v_add_co_ci_u32_e32 v38, vcc_lo, s5, v8, vcc_lo
	s_delay_alu instid0(VALU_DEP_3)
	v_sub_nc_u16 v33, v1, v33
	global_store_b16 v[37:38], v33, off
	s_or_b32 exec_lo, exec_lo, s3
	s_and_saveexec_b32 s3, s0
	s_cbranch_execz .LBB40_18
.LBB40_22:                              ;   in Loop: Header=BB40_9 Depth=1
	v_lshrrev_b32_e32 v1, 16, v1
	s_waitcnt vmcnt(0)
	v_mul_lo_u16 v33, v35, s16
	v_add_co_u32 v37, vcc_lo, v31, s4
	v_add_co_ci_u32_e32 v38, vcc_lo, s5, v32, vcc_lo
	s_delay_alu instid0(VALU_DEP_3)
	v_sub_nc_u16 v1, v1, v33
	global_store_b16 v[37:38], v1, off
	s_or_b32 exec_lo, exec_lo, s3
	s_and_saveexec_b32 s0, s1
	s_cbranch_execz .LBB40_19
.LBB40_23:                              ;   in Loop: Header=BB40_9 Depth=1
	s_waitcnt vmcnt(0)
	v_mul_lo_u16 v1, v34, s16
	v_add_co_u32 v33, vcc_lo, v22, s4
	v_add_co_ci_u32_e32 v34, vcc_lo, s5, v23, vcc_lo
	s_delay_alu instid0(VALU_DEP_3)
	v_sub_nc_u16 v1, v2, v1
	global_store_b16 v[33:34], v1, off
	s_or_b32 exec_lo, exec_lo, s0
	s_and_saveexec_b32 s0, s2
	s_cbranch_execz .LBB40_8
.LBB40_24:                              ;   in Loop: Header=BB40_9 Depth=1
	v_lshrrev_b32_e32 v1, 16, v2
	s_waitcnt vmcnt(0)
	v_mul_lo_u16 v2, v36, s16
	s_delay_alu instid0(VALU_DEP_1)
	v_sub_nc_u16 v33, v1, v2
	v_add_co_u32 v1, vcc_lo, v13, s4
	v_add_co_ci_u32_e32 v2, vcc_lo, s5, v14, vcc_lo
	global_store_b16 v[1:2], v33, off
	s_branch .LBB40_8
.LBB40_25:
	s_nop 0
	s_sendmsg sendmsg(MSG_DEALLOC_VGPRS)
	s_endpgm
	.section	.rodata,"a",@progbits
	.p2align	6, 0x0
	.amdhsa_kernel _ZN2at6native12_GLOBAL__N_125multi_tensor_apply_kernelINS1_18TensorListMetadataILi3EEENS1_24BinaryOpListAlphaFunctorIsLi3ELi2ELi2EEEJSt5minusIsEsEEEvT_T0_DpT1_
		.amdhsa_group_segment_fixed_size 0
		.amdhsa_private_segment_fixed_size 0
		.amdhsa_kernarg_size 3408
		.amdhsa_user_sgpr_count 15
		.amdhsa_user_sgpr_dispatch_ptr 0
		.amdhsa_user_sgpr_queue_ptr 0
		.amdhsa_user_sgpr_kernarg_segment_ptr 1
		.amdhsa_user_sgpr_dispatch_id 0
		.amdhsa_user_sgpr_private_segment_size 0
		.amdhsa_wavefront_size32 1
		.amdhsa_uses_dynamic_stack 0
		.amdhsa_enable_private_segment 0
		.amdhsa_system_sgpr_workgroup_id_x 1
		.amdhsa_system_sgpr_workgroup_id_y 0
		.amdhsa_system_sgpr_workgroup_id_z 0
		.amdhsa_system_sgpr_workgroup_info 0
		.amdhsa_system_vgpr_workitem_id 0
		.amdhsa_next_free_vgpr 39
		.amdhsa_next_free_sgpr 22
		.amdhsa_reserve_vcc 1
		.amdhsa_float_round_mode_32 0
		.amdhsa_float_round_mode_16_64 0
		.amdhsa_float_denorm_mode_32 3
		.amdhsa_float_denorm_mode_16_64 3
		.amdhsa_dx10_clamp 1
		.amdhsa_ieee_mode 1
		.amdhsa_fp16_overflow 0
		.amdhsa_workgroup_processor_mode 1
		.amdhsa_memory_ordered 1
		.amdhsa_forward_progress 0
		.amdhsa_shared_vgpr_count 0
		.amdhsa_exception_fp_ieee_invalid_op 0
		.amdhsa_exception_fp_denorm_src 0
		.amdhsa_exception_fp_ieee_div_zero 0
		.amdhsa_exception_fp_ieee_overflow 0
		.amdhsa_exception_fp_ieee_underflow 0
		.amdhsa_exception_fp_ieee_inexact 0
		.amdhsa_exception_int_div_zero 0
	.end_amdhsa_kernel
	.section	.text._ZN2at6native12_GLOBAL__N_125multi_tensor_apply_kernelINS1_18TensorListMetadataILi3EEENS1_24BinaryOpListAlphaFunctorIsLi3ELi2ELi2EEEJSt5minusIsEsEEEvT_T0_DpT1_,"axG",@progbits,_ZN2at6native12_GLOBAL__N_125multi_tensor_apply_kernelINS1_18TensorListMetadataILi3EEENS1_24BinaryOpListAlphaFunctorIsLi3ELi2ELi2EEEJSt5minusIsEsEEEvT_T0_DpT1_,comdat
.Lfunc_end40:
	.size	_ZN2at6native12_GLOBAL__N_125multi_tensor_apply_kernelINS1_18TensorListMetadataILi3EEENS1_24BinaryOpListAlphaFunctorIsLi3ELi2ELi2EEEJSt5minusIsEsEEEvT_T0_DpT1_, .Lfunc_end40-_ZN2at6native12_GLOBAL__N_125multi_tensor_apply_kernelINS1_18TensorListMetadataILi3EEENS1_24BinaryOpListAlphaFunctorIsLi3ELi2ELi2EEEJSt5minusIsEsEEEvT_T0_DpT1_
                                        ; -- End function
	.section	.AMDGPU.csdata,"",@progbits
; Kernel info:
; codeLenInByte = 1928
; NumSgprs: 24
; NumVgprs: 39
; ScratchSize: 0
; MemoryBound: 0
; FloatMode: 240
; IeeeMode: 1
; LDSByteSize: 0 bytes/workgroup (compile time only)
; SGPRBlocks: 2
; VGPRBlocks: 4
; NumSGPRsForWavesPerEU: 24
; NumVGPRsForWavesPerEU: 39
; Occupancy: 16
; WaveLimiterHint : 0
; COMPUTE_PGM_RSRC2:SCRATCH_EN: 0
; COMPUTE_PGM_RSRC2:USER_SGPR: 15
; COMPUTE_PGM_RSRC2:TRAP_HANDLER: 0
; COMPUTE_PGM_RSRC2:TGID_X_EN: 1
; COMPUTE_PGM_RSRC2:TGID_Y_EN: 0
; COMPUTE_PGM_RSRC2:TGID_Z_EN: 0
; COMPUTE_PGM_RSRC2:TIDIG_COMP_CNT: 0
	.section	.text._ZN2at6native12_GLOBAL__N_125multi_tensor_apply_kernelINS1_18TensorListMetadataILi3EEENS1_24BinaryOpListAlphaFunctorIdLi3ELi2ELi2EEEJSt5minusIdEdEEEvT_T0_DpT1_,"axG",@progbits,_ZN2at6native12_GLOBAL__N_125multi_tensor_apply_kernelINS1_18TensorListMetadataILi3EEENS1_24BinaryOpListAlphaFunctorIdLi3ELi2ELi2EEEJSt5minusIdEdEEEvT_T0_DpT1_,comdat
	.globl	_ZN2at6native12_GLOBAL__N_125multi_tensor_apply_kernelINS1_18TensorListMetadataILi3EEENS1_24BinaryOpListAlphaFunctorIdLi3ELi2ELi2EEEJSt5minusIdEdEEEvT_T0_DpT1_ ; -- Begin function _ZN2at6native12_GLOBAL__N_125multi_tensor_apply_kernelINS1_18TensorListMetadataILi3EEENS1_24BinaryOpListAlphaFunctorIdLi3ELi2ELi2EEEJSt5minusIdEdEEEvT_T0_DpT1_
	.p2align	8
	.type	_ZN2at6native12_GLOBAL__N_125multi_tensor_apply_kernelINS1_18TensorListMetadataILi3EEENS1_24BinaryOpListAlphaFunctorIdLi3ELi2ELi2EEEJSt5minusIdEdEEEvT_T0_DpT1_,@function
_ZN2at6native12_GLOBAL__N_125multi_tensor_apply_kernelINS1_18TensorListMetadataILi3EEENS1_24BinaryOpListAlphaFunctorIdLi3ELi2ELi2EEEJSt5minusIdEdEEEvT_T0_DpT1_: ; @_ZN2at6native12_GLOBAL__N_125multi_tensor_apply_kernelINS1_18TensorListMetadataILi3EEENS1_24BinaryOpListAlphaFunctorIdLi3ELi2ELi2EEEJSt5minusIdEdEEEvT_T0_DpT1_
; %bb.0:
	v_mov_b32_e32 v1, s15
	s_add_u32 s2, s0, s15
	s_mul_hi_u32 s3, s15, 3
	s_mul_i32 s15, s15, 3
	s_addc_u32 s4, s1, 0
	global_load_u8 v1, v1, s[0:1] offset:1536
	s_add_u32 s2, s2, s15
	s_addc_u32 s3, s4, s3
	s_mov_b32 s23, 0
	s_load_b32 s2, s[2:3], 0x740
	s_mov_b32 s25, s23
	s_waitcnt vmcnt(0)
	v_readfirstlane_b32 s3, v1
	s_delay_alu instid0(VALU_DEP_1)
	s_lshl_b32 s3, s3, 3
	s_clause 0x3
	s_load_b64 s[12:13], s[0:1], s3 offset:0x0
	s_load_b64 s[14:15], s[0:1], s3 offset:0x180
	;; [unrolled: 1-line block ×4, first 2 shown]
	s_waitcnt lgkmcnt(0)
	s_ashr_i32 s3, s2, 31
	s_delay_alu instid0(SALU_CYCLE_1) | instskip(NEXT) | instid1(SALU_CYCLE_1)
	s_lshl_b64 s[4:5], s[2:3], 19
	s_add_u32 s10, s12, s4
	s_addc_u32 s11, s13, s5
	s_and_b32 s22, s10, 31
	s_add_u32 s18, s14, s4
	s_addc_u32 s19, s15, s5
	s_add_u32 s20, s16, s4
	s_addc_u32 s21, s17, s5
	s_or_b32 s6, s20, s18
	s_delay_alu instid0(SALU_CYCLE_1) | instskip(NEXT) | instid1(SALU_CYCLE_1)
	s_and_b32 s6, s6, 31
	s_cmp_lg_u32 s6, 0
	s_cselect_b32 s26, -1, 0
	s_lshl_b64 s[2:3], s[2:3], 16
	s_delay_alu instid0(SALU_CYCLE_1) | instskip(SKIP_4) | instid1(SALU_CYCLE_1)
	s_sub_u32 s6, s8, s2
	s_subb_u32 s7, s9, s3
	s_and_b32 s24, s8, 3
	s_load_b64 s[8:9], s[0:1], 0xc50
	s_or_b64 s[2:3], s[22:23], s[24:25]
	s_cmp_lg_u64 s[2:3], 0
	s_cselect_b32 s2, -1, 0
	s_delay_alu instid0(SALU_CYCLE_1) | instskip(NEXT) | instid1(SALU_CYCLE_1)
	s_or_b32 s2, s26, s2
	s_and_not1_b32 vcc_lo, exec_lo, s2
	s_mov_b32 s2, -1
	s_cbranch_vccz .LBB41_5
; %bb.1:
	v_dual_mov_b32 v2, 0 :: v_dual_lshlrev_b32 v1, 2, v0
	s_mov_b32 s22, exec_lo
	s_delay_alu instid0(VALU_DEP_1)
	v_cmpx_gt_i64_e64 s[6:7], v[1:2]
	s_cbranch_execz .LBB41_4
; %bb.2:
	s_load_b32 s2, s[0:1], 0xc64
	v_lshlrev_b32_e32 v3, 5, v0
	s_waitcnt lgkmcnt(0)
	s_and_b32 s2, s2, 0xffff
	s_delay_alu instid0(SALU_CYCLE_1)
	v_add_lshl_u32 v1, v0, s2, 2
	s_lshl_b32 s24, s2, 2
	s_lshl_b32 s25, s2, 5
.LBB41_3:                               ; =>This Inner Loop Header: Depth=1
	v_add_co_u32 v12, s2, s10, v3
	s_delay_alu instid0(VALU_DEP_1) | instskip(SKIP_1) | instid1(VALU_DEP_1)
	v_add_co_ci_u32_e64 v13, null, s11, 0, s2
	v_add_co_u32 v16, s2, s18, v3
	v_add_co_ci_u32_e64 v17, null, s19, 0, s2
	global_load_b128 v[4:7], v[12:13], off
	global_load_b128 v[8:11], v[16:17], off
	global_load_b128 v[12:15], v[12:13], off offset:16
	global_load_b128 v[16:19], v[16:17], off offset:16
	v_cmp_le_i64_e32 vcc_lo, s[6:7], v[1:2]
	v_cmp_lt_u64_e64 s2, 0xffff, v[1:2]
	s_delay_alu instid0(VALU_DEP_1)
	s_or_b32 s2, vcc_lo, s2
	s_add_u32 s10, s10, s25
	s_addc_u32 s11, s11, 0
	s_waitcnt vmcnt(2)
	v_fma_f64 v[4:5], -v[8:9], s[8:9], v[4:5]
	v_fma_f64 v[6:7], -v[10:11], s[8:9], v[6:7]
	s_waitcnt vmcnt(0)
	v_fma_f64 v[8:9], -v[16:17], s[8:9], v[12:13]
	v_fma_f64 v[10:11], -v[18:19], s[8:9], v[14:15]
	v_add_co_u32 v12, s3, s20, v3
	s_add_u32 s20, s20, s25
	v_add_co_ci_u32_e64 v13, null, s21, 0, s3
	v_add_co_u32 v1, s3, v1, s24
	s_addc_u32 s21, s21, 0
	s_add_u32 s18, s18, s25
	v_add_co_ci_u32_e64 v2, s3, 0, v2, s3
	s_addc_u32 s19, s19, 0
	s_and_b32 s2, exec_lo, s2
	s_clause 0x1
	global_store_b128 v[12:13], v[4:7], off
	global_store_b128 v[12:13], v[8:11], off offset:16
	s_or_b32 s23, s2, s23
	s_delay_alu instid0(SALU_CYCLE_1)
	s_and_not1_b32 exec_lo, exec_lo, s23
	s_cbranch_execnz .LBB41_3
.LBB41_4:
	s_or_b32 exec_lo, exec_lo, s22
	s_mov_b32 s2, 0
.LBB41_5:
	s_delay_alu instid0(SALU_CYCLE_1)
	s_and_not1_b32 vcc_lo, exec_lo, s2
	s_cbranch_vccnz .LBB41_25
; %bb.6:
	v_cmp_lt_i64_e64 s2, s[6:7], 1
	s_delay_alu instid0(VALU_DEP_1)
	s_and_b32 vcc_lo, exec_lo, s2
	s_cbranch_vccnz .LBB41_25
; %bb.7:
	s_load_b32 s0, s[0:1], 0xc64
	v_dual_mov_b32 v2, 0 :: v_dual_lshlrev_b32 v1, 3, v0
	v_cmp_gt_u64_e64 s1, 0x10000, s[6:7]
	s_delay_alu instid0(VALU_DEP_2) | instskip(NEXT) | instid1(VALU_DEP_1)
	v_add_co_u32 v17, s2, s12, v1
	v_add_co_ci_u32_e64 v18, null, s13, 0, s2
	v_add_co_u32 v19, s2, s14, v1
	s_delay_alu instid0(VALU_DEP_1) | instskip(SKIP_1) | instid1(VALU_DEP_1)
	v_add_co_ci_u32_e64 v20, null, s15, 0, s2
	v_add_co_u32 v21, s2, s16, v1
	v_add_co_ci_u32_e64 v22, null, s17, 0, s2
	s_waitcnt lgkmcnt(0)
	s_and_b32 s0, s0, 0xffff
	s_and_b32 s1, s1, exec_lo
	v_mad_u64_u32 v[3:4], null, s0, 24, v[1:2]
	s_cselect_b32 s11, s7, 0
	s_cselect_b32 s10, s6, 0x10000
	s_lshl_b32 s3, s0, 4
	s_mul_i32 s2, s0, 3
	v_add_co_u32 v1, s3, s3, v1
	s_delay_alu instid0(VALU_DEP_2) | instskip(NEXT) | instid1(VALU_DEP_3)
	v_add_co_u32 v23, vcc_lo, s12, v3
	v_add_co_ci_u32_e32 v24, vcc_lo, s13, v4, vcc_lo
	v_add_co_u32 v25, vcc_lo, s14, v3
	v_add_co_ci_u32_e32 v26, vcc_lo, s15, v4, vcc_lo
	v_add_co_u32 v27, vcc_lo, s16, v3
	v_add_co_ci_u32_e64 v2, null, 0, 0, s3
	v_add_co_ci_u32_e32 v28, vcc_lo, s17, v4, vcc_lo
	v_add_co_u32 v29, s2, s2, v0
	v_add_co_u32 v31, vcc_lo, s12, v1
	v_add_co_ci_u32_e64 v30, null, 0, 0, s2
	v_add_co_u32 v35, s2, v0, s0
	v_add_co_ci_u32_e32 v32, vcc_lo, s13, v2, vcc_lo
	v_add_co_u32 v33, vcc_lo, s14, v1
	v_add_co_ci_u32_e32 v34, vcc_lo, s15, v2, vcc_lo
	v_add_co_u32 v36, vcc_lo, s16, v1
	v_lshlrev_b32_e32 v1, 3, v35
	s_lshl_b32 s1, s0, 1
	v_add_co_ci_u32_e32 v37, vcc_lo, s17, v2, vcc_lo
	v_add_co_u32 v39, s1, s1, v0
	s_delay_alu instid0(VALU_DEP_1) | instskip(SKIP_1) | instid1(VALU_DEP_1)
	v_add_co_ci_u32_e64 v40, null, 0, 0, s1
	v_add_co_u32 v41, s1, s12, v1
	v_add_co_ci_u32_e64 v42, null, s13, 0, s1
	v_add_co_u32 v43, s1, s14, v1
	s_delay_alu instid0(VALU_DEP_1)
	v_add_co_ci_u32_e64 v44, null, s15, 0, s1
	v_add_co_u32 v45, s1, s16, v1
	v_add_co_ci_u32_e64 v38, null, 0, 0, s2
	v_add_co_ci_u32_e64 v46, null, s17, 0, s1
	s_lshl_b32 s14, s0, 2
	s_lshl_b32 s15, s0, 5
	s_mov_b64 s[12:13], 0
	s_branch .LBB41_9
.LBB41_8:                               ;   in Loop: Header=BB41_9 Depth=1
	s_or_b32 exec_lo, exec_lo, s0
	v_add_co_u32 v17, vcc_lo, v17, s15
	v_add_co_ci_u32_e32 v18, vcc_lo, 0, v18, vcc_lo
	v_add_co_u32 v19, vcc_lo, v19, s15
	v_add_co_ci_u32_e32 v20, vcc_lo, 0, v20, vcc_lo
	;; [unrolled: 2-line block ×9, first 2 shown]
	s_add_u32 s12, s12, s14
	v_add_co_u32 v41, vcc_lo, v41, s15
	s_addc_u32 s13, s13, 0
	v_add_co_ci_u32_e32 v42, vcc_lo, 0, v42, vcc_lo
	v_cmp_ge_i64_e64 s0, s[12:13], s[6:7]
	v_cmp_lt_u64_e64 s1, 0xffff, s[12:13]
	v_add_co_u32 v43, vcc_lo, v43, s15
	v_add_co_ci_u32_e32 v44, vcc_lo, 0, v44, vcc_lo
	v_add_co_u32 v45, vcc_lo, v45, s15
	v_add_co_ci_u32_e32 v46, vcc_lo, 0, v46, vcc_lo
	s_or_b32 s0, s0, s1
	s_delay_alu instid0(SALU_CYCLE_1)
	s_and_b32 vcc_lo, exec_lo, s0
	s_cbranch_vccnz .LBB41_25
.LBB41_9:                               ; =>This Inner Loop Header: Depth=1
	s_waitcnt vmcnt(1)
	v_add_co_u32 v3, s0, v0, s12
	s_delay_alu instid0(VALU_DEP_1) | instskip(SKIP_2) | instid1(VALU_DEP_3)
	v_add_co_ci_u32_e64 v4, null, 0, s13, s0
	v_mov_b32_e32 v1, 0
	v_mov_b32_e32 v2, 0
	v_cmp_gt_u64_e32 vcc_lo, s[10:11], v[3:4]
	s_delay_alu instid0(VALU_DEP_2)
	v_dual_mov_b32 v4, v2 :: v_dual_mov_b32 v3, v1
	s_waitcnt vmcnt(0)
	v_dual_mov_b32 v6, v2 :: v_dual_mov_b32 v5, v1
	s_and_saveexec_b32 s1, vcc_lo
	s_cbranch_execz .LBB41_11
; %bb.10:                               ;   in Loop: Header=BB41_9 Depth=1
	v_add_co_u32 v3, s0, v17, s4
	s_delay_alu instid0(VALU_DEP_1) | instskip(SKIP_1) | instid1(VALU_DEP_1)
	v_add_co_ci_u32_e64 v4, s0, s5, v18, s0
	v_add_co_u32 v5, s0, v19, s4
	v_add_co_ci_u32_e64 v6, s0, s5, v20, s0
	global_load_b64 v[3:4], v[3:4], off
	global_load_b64 v[5:6], v[5:6], off
.LBB41_11:                              ;   in Loop: Header=BB41_9 Depth=1
	s_or_b32 exec_lo, exec_lo, s1
	v_add_co_u32 v7, s0, v35, s12
	s_delay_alu instid0(VALU_DEP_1) | instskip(NEXT) | instid1(VALU_DEP_1)
	v_add_co_ci_u32_e64 v8, s0, s13, v38, s0
	v_cmp_gt_u64_e64 s0, s[10:11], v[7:8]
	v_dual_mov_b32 v8, v2 :: v_dual_mov_b32 v7, v1
	s_delay_alu instid0(VALU_DEP_2)
	s_and_saveexec_b32 s2, s0
	s_cbranch_execz .LBB41_13
; %bb.12:                               ;   in Loop: Header=BB41_9 Depth=1
	v_add_co_u32 v1, s1, v41, s4
	s_delay_alu instid0(VALU_DEP_1) | instskip(SKIP_1) | instid1(VALU_DEP_1)
	v_add_co_ci_u32_e64 v2, s1, s5, v42, s1
	v_add_co_u32 v7, s1, v43, s4
	v_add_co_ci_u32_e64 v8, s1, s5, v44, s1
	global_load_b64 v[1:2], v[1:2], off
	global_load_b64 v[7:8], v[7:8], off
.LBB41_13:                              ;   in Loop: Header=BB41_9 Depth=1
	s_or_b32 exec_lo, exec_lo, s2
	v_add_co_u32 v11, s1, v39, s12
	s_delay_alu instid0(VALU_DEP_1) | instskip(SKIP_2) | instid1(VALU_DEP_3)
	v_add_co_ci_u32_e64 v12, s1, s13, v40, s1
	v_mov_b32_e32 v9, 0
	v_mov_b32_e32 v10, 0
	v_cmp_gt_u64_e64 s1, s[10:11], v[11:12]
	s_delay_alu instid0(VALU_DEP_2) | instskip(SKIP_1) | instid1(VALU_DEP_3)
	v_dual_mov_b32 v12, v10 :: v_dual_mov_b32 v11, v9
	v_dual_mov_b32 v14, v10 :: v_dual_mov_b32 v13, v9
	s_and_saveexec_b32 s3, s1
	s_cbranch_execz .LBB41_15
; %bb.14:                               ;   in Loop: Header=BB41_9 Depth=1
	v_add_co_u32 v11, s2, v31, s4
	s_delay_alu instid0(VALU_DEP_1) | instskip(SKIP_1) | instid1(VALU_DEP_1)
	v_add_co_ci_u32_e64 v12, s2, s5, v32, s2
	v_add_co_u32 v13, s2, v33, s4
	v_add_co_ci_u32_e64 v14, s2, s5, v34, s2
	global_load_b64 v[11:12], v[11:12], off
	global_load_b64 v[13:14], v[13:14], off
.LBB41_15:                              ;   in Loop: Header=BB41_9 Depth=1
	s_or_b32 exec_lo, exec_lo, s3
	v_add_co_u32 v15, s2, v29, s12
	s_delay_alu instid0(VALU_DEP_1) | instskip(NEXT) | instid1(VALU_DEP_1)
	v_add_co_ci_u32_e64 v16, s2, s13, v30, s2
	v_cmp_gt_u64_e64 s2, s[10:11], v[15:16]
	v_dual_mov_b32 v16, v10 :: v_dual_mov_b32 v15, v9
	s_delay_alu instid0(VALU_DEP_2)
	s_and_saveexec_b32 s16, s2
	s_cbranch_execnz .LBB41_20
; %bb.16:                               ;   in Loop: Header=BB41_9 Depth=1
	s_or_b32 exec_lo, exec_lo, s16
	s_and_saveexec_b32 s3, vcc_lo
	s_cbranch_execnz .LBB41_21
.LBB41_17:                              ;   in Loop: Header=BB41_9 Depth=1
	s_or_b32 exec_lo, exec_lo, s3
	s_and_saveexec_b32 s3, s0
	s_cbranch_execnz .LBB41_22
.LBB41_18:                              ;   in Loop: Header=BB41_9 Depth=1
	s_or_b32 exec_lo, exec_lo, s3
	s_and_saveexec_b32 s0, s1
	s_cbranch_execnz .LBB41_23
.LBB41_19:                              ;   in Loop: Header=BB41_9 Depth=1
	s_or_b32 exec_lo, exec_lo, s0
	s_and_saveexec_b32 s0, s2
	s_cbranch_execz .LBB41_8
	s_branch .LBB41_24
.LBB41_20:                              ;   in Loop: Header=BB41_9 Depth=1
	v_add_co_u32 v9, s3, v23, s4
	s_delay_alu instid0(VALU_DEP_1) | instskip(SKIP_1) | instid1(VALU_DEP_1)
	v_add_co_ci_u32_e64 v10, s3, s5, v24, s3
	v_add_co_u32 v15, s3, v25, s4
	v_add_co_ci_u32_e64 v16, s3, s5, v26, s3
	global_load_b64 v[9:10], v[9:10], off
	global_load_b64 v[15:16], v[15:16], off
	s_or_b32 exec_lo, exec_lo, s16
	s_and_saveexec_b32 s3, vcc_lo
	s_cbranch_execz .LBB41_17
.LBB41_21:                              ;   in Loop: Header=BB41_9 Depth=1
	s_waitcnt vmcnt(0)
	v_fma_f64 v[3:4], -v[5:6], s[8:9], v[3:4]
	v_add_co_u32 v5, vcc_lo, v21, s4
	v_add_co_ci_u32_e32 v6, vcc_lo, s5, v22, vcc_lo
	global_store_b64 v[5:6], v[3:4], off
	s_or_b32 exec_lo, exec_lo, s3
	s_and_saveexec_b32 s3, s0
	s_cbranch_execz .LBB41_18
.LBB41_22:                              ;   in Loop: Header=BB41_9 Depth=1
	s_waitcnt vmcnt(0)
	v_fma_f64 v[1:2], -v[7:8], s[8:9], v[1:2]
	v_add_co_u32 v3, vcc_lo, v45, s4
	v_add_co_ci_u32_e32 v4, vcc_lo, s5, v46, vcc_lo
	global_store_b64 v[3:4], v[1:2], off
	s_or_b32 exec_lo, exec_lo, s3
	s_and_saveexec_b32 s0, s1
	s_cbranch_execz .LBB41_19
.LBB41_23:                              ;   in Loop: Header=BB41_9 Depth=1
	s_waitcnt vmcnt(0)
	v_fma_f64 v[1:2], -v[13:14], s[8:9], v[11:12]
	v_add_co_u32 v3, vcc_lo, v36, s4
	v_add_co_ci_u32_e32 v4, vcc_lo, s5, v37, vcc_lo
	global_store_b64 v[3:4], v[1:2], off
	s_or_b32 exec_lo, exec_lo, s0
	s_and_saveexec_b32 s0, s2
	s_cbranch_execz .LBB41_8
.LBB41_24:                              ;   in Loop: Header=BB41_9 Depth=1
	s_waitcnt vmcnt(0)
	v_fma_f64 v[1:2], -v[15:16], s[8:9], v[9:10]
	v_add_co_u32 v3, vcc_lo, v27, s4
	v_add_co_ci_u32_e32 v4, vcc_lo, s5, v28, vcc_lo
	global_store_b64 v[3:4], v[1:2], off
	s_branch .LBB41_8
.LBB41_25:
	s_nop 0
	s_sendmsg sendmsg(MSG_DEALLOC_VGPRS)
	s_endpgm
	.section	.rodata,"a",@progbits
	.p2align	6, 0x0
	.amdhsa_kernel _ZN2at6native12_GLOBAL__N_125multi_tensor_apply_kernelINS1_18TensorListMetadataILi3EEENS1_24BinaryOpListAlphaFunctorIdLi3ELi2ELi2EEEJSt5minusIdEdEEEvT_T0_DpT1_
		.amdhsa_group_segment_fixed_size 0
		.amdhsa_private_segment_fixed_size 0
		.amdhsa_kernarg_size 3416
		.amdhsa_user_sgpr_count 15
		.amdhsa_user_sgpr_dispatch_ptr 0
		.amdhsa_user_sgpr_queue_ptr 0
		.amdhsa_user_sgpr_kernarg_segment_ptr 1
		.amdhsa_user_sgpr_dispatch_id 0
		.amdhsa_user_sgpr_private_segment_size 0
		.amdhsa_wavefront_size32 1
		.amdhsa_uses_dynamic_stack 0
		.amdhsa_enable_private_segment 0
		.amdhsa_system_sgpr_workgroup_id_x 1
		.amdhsa_system_sgpr_workgroup_id_y 0
		.amdhsa_system_sgpr_workgroup_id_z 0
		.amdhsa_system_sgpr_workgroup_info 0
		.amdhsa_system_vgpr_workitem_id 0
		.amdhsa_next_free_vgpr 47
		.amdhsa_next_free_sgpr 27
		.amdhsa_reserve_vcc 1
		.amdhsa_float_round_mode_32 0
		.amdhsa_float_round_mode_16_64 0
		.amdhsa_float_denorm_mode_32 3
		.amdhsa_float_denorm_mode_16_64 3
		.amdhsa_dx10_clamp 1
		.amdhsa_ieee_mode 1
		.amdhsa_fp16_overflow 0
		.amdhsa_workgroup_processor_mode 1
		.amdhsa_memory_ordered 1
		.amdhsa_forward_progress 0
		.amdhsa_shared_vgpr_count 0
		.amdhsa_exception_fp_ieee_invalid_op 0
		.amdhsa_exception_fp_denorm_src 0
		.amdhsa_exception_fp_ieee_div_zero 0
		.amdhsa_exception_fp_ieee_overflow 0
		.amdhsa_exception_fp_ieee_underflow 0
		.amdhsa_exception_fp_ieee_inexact 0
		.amdhsa_exception_int_div_zero 0
	.end_amdhsa_kernel
	.section	.text._ZN2at6native12_GLOBAL__N_125multi_tensor_apply_kernelINS1_18TensorListMetadataILi3EEENS1_24BinaryOpListAlphaFunctorIdLi3ELi2ELi2EEEJSt5minusIdEdEEEvT_T0_DpT1_,"axG",@progbits,_ZN2at6native12_GLOBAL__N_125multi_tensor_apply_kernelINS1_18TensorListMetadataILi3EEENS1_24BinaryOpListAlphaFunctorIdLi3ELi2ELi2EEEJSt5minusIdEdEEEvT_T0_DpT1_,comdat
.Lfunc_end41:
	.size	_ZN2at6native12_GLOBAL__N_125multi_tensor_apply_kernelINS1_18TensorListMetadataILi3EEENS1_24BinaryOpListAlphaFunctorIdLi3ELi2ELi2EEEJSt5minusIdEdEEEvT_T0_DpT1_, .Lfunc_end41-_ZN2at6native12_GLOBAL__N_125multi_tensor_apply_kernelINS1_18TensorListMetadataILi3EEENS1_24BinaryOpListAlphaFunctorIdLi3ELi2ELi2EEEJSt5minusIdEdEEEvT_T0_DpT1_
                                        ; -- End function
	.section	.AMDGPU.csdata,"",@progbits
; Kernel info:
; codeLenInByte = 1800
; NumSgprs: 29
; NumVgprs: 47
; ScratchSize: 0
; MemoryBound: 0
; FloatMode: 240
; IeeeMode: 1
; LDSByteSize: 0 bytes/workgroup (compile time only)
; SGPRBlocks: 3
; VGPRBlocks: 5
; NumSGPRsForWavesPerEU: 29
; NumVGPRsForWavesPerEU: 47
; Occupancy: 16
; WaveLimiterHint : 0
; COMPUTE_PGM_RSRC2:SCRATCH_EN: 0
; COMPUTE_PGM_RSRC2:USER_SGPR: 15
; COMPUTE_PGM_RSRC2:TRAP_HANDLER: 0
; COMPUTE_PGM_RSRC2:TGID_X_EN: 1
; COMPUTE_PGM_RSRC2:TGID_Y_EN: 0
; COMPUTE_PGM_RSRC2:TGID_Z_EN: 0
; COMPUTE_PGM_RSRC2:TIDIG_COMP_CNT: 0
	.section	.text._ZN2at6native12_GLOBAL__N_125multi_tensor_apply_kernelINS1_18TensorListMetadataILi3EEENS1_24BinaryOpListAlphaFunctorIfLi3ELi2ELi2EEEJSt5minusIfEfEEEvT_T0_DpT1_,"axG",@progbits,_ZN2at6native12_GLOBAL__N_125multi_tensor_apply_kernelINS1_18TensorListMetadataILi3EEENS1_24BinaryOpListAlphaFunctorIfLi3ELi2ELi2EEEJSt5minusIfEfEEEvT_T0_DpT1_,comdat
	.globl	_ZN2at6native12_GLOBAL__N_125multi_tensor_apply_kernelINS1_18TensorListMetadataILi3EEENS1_24BinaryOpListAlphaFunctorIfLi3ELi2ELi2EEEJSt5minusIfEfEEEvT_T0_DpT1_ ; -- Begin function _ZN2at6native12_GLOBAL__N_125multi_tensor_apply_kernelINS1_18TensorListMetadataILi3EEENS1_24BinaryOpListAlphaFunctorIfLi3ELi2ELi2EEEJSt5minusIfEfEEEvT_T0_DpT1_
	.p2align	8
	.type	_ZN2at6native12_GLOBAL__N_125multi_tensor_apply_kernelINS1_18TensorListMetadataILi3EEENS1_24BinaryOpListAlphaFunctorIfLi3ELi2ELi2EEEJSt5minusIfEfEEEvT_T0_DpT1_,@function
_ZN2at6native12_GLOBAL__N_125multi_tensor_apply_kernelINS1_18TensorListMetadataILi3EEENS1_24BinaryOpListAlphaFunctorIfLi3ELi2ELi2EEEJSt5minusIfEfEEEvT_T0_DpT1_: ; @_ZN2at6native12_GLOBAL__N_125multi_tensor_apply_kernelINS1_18TensorListMetadataILi3EEENS1_24BinaryOpListAlphaFunctorIfLi3ELi2ELi2EEEJSt5minusIfEfEEEvT_T0_DpT1_
; %bb.0:
	v_mov_b32_e32 v1, s15
	s_add_u32 s2, s0, s15
	s_mul_hi_u32 s3, s15, 3
	s_mul_i32 s15, s15, 3
	s_addc_u32 s4, s1, 0
	global_load_u8 v1, v1, s[0:1] offset:1536
	s_load_b32 s16, s[0:1], 0xc4c
	s_add_u32 s2, s2, s15
	s_addc_u32 s3, s4, s3
	s_mov_b32 s25, 0
	s_load_b32 s2, s[2:3], 0x740
	s_mov_b32 s27, s25
	s_waitcnt vmcnt(0)
	v_readfirstlane_b32 s3, v1
	s_delay_alu instid0(VALU_DEP_1)
	s_lshl_b32 s3, s3, 3
	s_clause 0x3
	s_load_b64 s[10:11], s[0:1], s3 offset:0x0
	s_load_b64 s[12:13], s[0:1], s3 offset:0x180
	;; [unrolled: 1-line block ×4, first 2 shown]
	s_waitcnt lgkmcnt(0)
	s_ashr_i32 s3, s2, 31
	s_delay_alu instid0(SALU_CYCLE_1) | instskip(NEXT) | instid1(SALU_CYCLE_1)
	s_lshl_b64 s[4:5], s[2:3], 18
	s_add_u32 s8, s10, s4
	s_addc_u32 s9, s11, s5
	s_and_b32 s24, s8, 15
	s_add_u32 s17, s12, s4
	s_addc_u32 s18, s13, s5
	s_add_u32 s19, s14, s4
	s_addc_u32 s20, s15, s5
	s_or_b32 s6, s19, s17
	s_delay_alu instid0(SALU_CYCLE_1) | instskip(NEXT) | instid1(SALU_CYCLE_1)
	s_and_b32 s6, s6, 15
	s_cmp_lg_u32 s6, 0
	s_cselect_b32 s21, -1, 0
	s_lshl_b64 s[2:3], s[2:3], 16
	s_delay_alu instid0(SALU_CYCLE_1) | instskip(SKIP_2) | instid1(SALU_CYCLE_1)
	s_sub_u32 s6, s22, s2
	s_subb_u32 s7, s23, s3
	s_and_b32 s26, s22, 3
	s_or_b64 s[2:3], s[24:25], s[26:27]
	s_delay_alu instid0(SALU_CYCLE_1) | instskip(SKIP_1) | instid1(SALU_CYCLE_1)
	s_cmp_lg_u64 s[2:3], 0
	s_cselect_b32 s2, -1, 0
	s_or_b32 s2, s21, s2
	s_delay_alu instid0(SALU_CYCLE_1)
	s_and_not1_b32 vcc_lo, exec_lo, s2
	s_mov_b32 s2, -1
	s_cbranch_vccz .LBB42_5
; %bb.1:
	v_dual_mov_b32 v2, 0 :: v_dual_lshlrev_b32 v1, 2, v0
	s_mov_b32 s21, exec_lo
	s_delay_alu instid0(VALU_DEP_1)
	v_cmpx_gt_i64_e64 s[6:7], v[1:2]
	s_cbranch_execz .LBB42_4
; %bb.2:
	s_load_b32 s2, s[0:1], 0xc5c
	v_lshlrev_b32_e32 v3, 4, v0
	s_mov_b32 s22, 0
	s_waitcnt lgkmcnt(0)
	s_and_b32 s2, s2, 0xffff
	s_delay_alu instid0(SALU_CYCLE_1)
	v_add_lshl_u32 v1, v0, s2, 2
	s_lshl_b32 s23, s2, 2
	s_lshl_b32 s24, s2, 4
	s_set_inst_prefetch_distance 0x1
	.p2align	6
.LBB42_3:                               ; =>This Inner Loop Header: Depth=1
	v_add_co_u32 v4, s2, s8, v3
	s_delay_alu instid0(VALU_DEP_1) | instskip(SKIP_1) | instid1(VALU_DEP_1)
	v_add_co_ci_u32_e64 v5, null, s9, 0, s2
	v_add_co_u32 v8, s2, s17, v3
	v_add_co_ci_u32_e64 v9, null, s18, 0, s2
	global_load_b128 v[4:7], v[4:5], off
	global_load_b128 v[8:11], v[8:9], off
	v_cmp_le_i64_e32 vcc_lo, s[6:7], v[1:2]
	v_cmp_lt_u64_e64 s2, 0xffff, v[1:2]
	v_add_co_u32 v12, s3, s19, v3
	s_delay_alu instid0(VALU_DEP_1) | instskip(SKIP_1) | instid1(VALU_DEP_4)
	v_add_co_ci_u32_e64 v13, null, s20, 0, s3
	v_add_co_u32 v1, s3, v1, s23
	s_or_b32 s2, vcc_lo, s2
	s_add_u32 s8, s8, s24
	s_addc_u32 s9, s9, 0
	s_add_u32 s19, s19, s24
	s_addc_u32 s20, s20, 0
	s_add_u32 s17, s17, s24
	v_add_co_ci_u32_e64 v2, s3, 0, v2, s3
	s_addc_u32 s18, s18, 0
	s_and_b32 s2, exec_lo, s2
	s_delay_alu instid0(SALU_CYCLE_1)
	s_or_b32 s22, s2, s22
	s_waitcnt vmcnt(0)
	v_fma_f32 v4, -v8, s16, v4
	v_fma_f32 v5, -v9, s16, v5
	;; [unrolled: 1-line block ×4, first 2 shown]
	global_store_b128 v[12:13], v[4:7], off
	s_and_not1_b32 exec_lo, exec_lo, s22
	s_cbranch_execnz .LBB42_3
.LBB42_4:
	s_set_inst_prefetch_distance 0x2
	s_or_b32 exec_lo, exec_lo, s21
	s_mov_b32 s2, 0
.LBB42_5:
	s_delay_alu instid0(SALU_CYCLE_1)
	s_and_not1_b32 vcc_lo, exec_lo, s2
	s_cbranch_vccnz .LBB42_25
; %bb.6:
	v_cmp_lt_i64_e64 s2, s[6:7], 1
	s_delay_alu instid0(VALU_DEP_1)
	s_and_b32 vcc_lo, exec_lo, s2
	s_cbranch_vccnz .LBB42_25
; %bb.7:
	s_load_b32 s0, s[0:1], 0xc5c
	v_dual_mov_b32 v14, 0 :: v_dual_lshlrev_b32 v13, 2, v0
	v_cmp_gt_u64_e64 s1, 0x10000, s[6:7]
	s_delay_alu instid0(VALU_DEP_2) | instskip(NEXT) | instid1(VALU_DEP_1)
	v_add_co_u32 v1, s2, s10, v13
	v_add_co_ci_u32_e64 v2, null, s11, 0, s2
	v_add_co_u32 v3, s2, s12, v13
	s_delay_alu instid0(VALU_DEP_1) | instskip(SKIP_1) | instid1(VALU_DEP_1)
	v_add_co_ci_u32_e64 v4, null, s13, 0, s2
	v_add_co_u32 v5, s2, s14, v13
	v_add_co_ci_u32_e64 v6, null, s15, 0, s2
	s_waitcnt lgkmcnt(0)
	s_and_b32 s0, s0, 0xffff
	s_and_b32 s1, s1, exec_lo
	v_mad_u64_u32 v[11:12], null, s0, 12, v[13:14]
	s_cselect_b32 s9, s7, 0
	s_cselect_b32 s8, s6, 0x10000
	s_mul_i32 s2, s0, 3
	s_lshl_b32 s3, s0, 3
	s_lshl_b32 s1, s0, 1
	v_add_co_u32 v20, s3, s3, v13
	v_add_co_u32 v13, s2, s2, v0
	v_add_co_u32 v7, vcc_lo, s10, v11
	v_add_co_ci_u32_e64 v14, null, 0, 0, s2
	v_add_co_u32 v19, s2, v0, s0
	v_add_co_ci_u32_e32 v8, vcc_lo, s11, v12, vcc_lo
	v_add_co_u32 v9, vcc_lo, s12, v11
	v_add_co_ci_u32_e32 v10, vcc_lo, s13, v12, vcc_lo
	v_add_co_u32 v11, vcc_lo, s14, v11
	v_add_co_ci_u32_e64 v21, null, 0, 0, s3
	v_lshlrev_b32_e32 v29, 2, v19
	v_add_co_ci_u32_e32 v12, vcc_lo, s15, v12, vcc_lo
	v_add_co_u32 v15, vcc_lo, s10, v20
	v_add_co_u32 v23, s1, s1, v0
	v_add_co_ci_u32_e32 v16, vcc_lo, s11, v21, vcc_lo
	v_add_co_ci_u32_e64 v24, null, 0, 0, s1
	v_add_co_u32 v25, s1, s10, v29
	v_add_co_u32 v17, vcc_lo, s12, v20
	v_add_co_ci_u32_e64 v26, null, s11, 0, s1
	v_add_co_u32 v27, s1, s12, v29
	v_add_co_ci_u32_e32 v18, vcc_lo, s13, v21, vcc_lo
	v_add_co_u32 v20, vcc_lo, s14, v20
	v_add_co_ci_u32_e64 v28, null, s13, 0, s1
	v_add_co_u32 v29, s1, s14, v29
	v_add_co_ci_u32_e32 v21, vcc_lo, s15, v21, vcc_lo
	v_add_co_ci_u32_e64 v22, null, 0, 0, s2
	v_add_co_ci_u32_e64 v30, null, s15, 0, s1
	s_lshl_b32 s12, s0, 2
	s_lshl_b32 s13, s0, 4
	s_mov_b64 s[10:11], 0
	s_branch .LBB42_9
.LBB42_8:                               ;   in Loop: Header=BB42_9 Depth=1
	s_or_b32 exec_lo, exec_lo, s0
	v_add_co_u32 v1, vcc_lo, v1, s13
	v_add_co_ci_u32_e32 v2, vcc_lo, 0, v2, vcc_lo
	v_add_co_u32 v3, vcc_lo, v3, s13
	v_add_co_ci_u32_e32 v4, vcc_lo, 0, v4, vcc_lo
	;; [unrolled: 2-line block ×9, first 2 shown]
	s_add_u32 s10, s10, s12
	v_add_co_u32 v25, vcc_lo, v25, s13
	s_addc_u32 s11, s11, 0
	v_add_co_ci_u32_e32 v26, vcc_lo, 0, v26, vcc_lo
	v_cmp_ge_i64_e64 s0, s[10:11], s[6:7]
	v_cmp_lt_u64_e64 s1, 0xffff, s[10:11]
	v_add_co_u32 v27, vcc_lo, v27, s13
	v_add_co_ci_u32_e32 v28, vcc_lo, 0, v28, vcc_lo
	v_add_co_u32 v29, vcc_lo, v29, s13
	v_add_co_ci_u32_e32 v30, vcc_lo, 0, v30, vcc_lo
	s_or_b32 s0, s0, s1
	s_delay_alu instid0(SALU_CYCLE_1)
	s_and_b32 vcc_lo, exec_lo, s0
	s_cbranch_vccnz .LBB42_25
.LBB42_9:                               ; =>This Inner Loop Header: Depth=1
	s_waitcnt vmcnt(1)
	v_add_co_u32 v31, s0, v0, s10
	s_waitcnt vmcnt(0)
	v_add_co_ci_u32_e64 v32, null, 0, s11, s0
	s_delay_alu instid0(VALU_DEP_1)
	v_cmp_gt_u64_e32 vcc_lo, s[8:9], v[31:32]
	v_dual_mov_b32 v31, 0 :: v_dual_mov_b32 v32, 0
	s_and_saveexec_b32 s1, vcc_lo
	s_cbranch_execz .LBB42_11
; %bb.10:                               ;   in Loop: Header=BB42_9 Depth=1
	v_add_co_u32 v31, s0, v1, s4
	s_delay_alu instid0(VALU_DEP_1) | instskip(SKIP_1) | instid1(VALU_DEP_1)
	v_add_co_ci_u32_e64 v32, s0, s5, v2, s0
	v_add_co_u32 v33, s0, v3, s4
	v_add_co_ci_u32_e64 v34, s0, s5, v4, s0
	global_load_b32 v31, v[31:32], off
	global_load_b32 v32, v[33:34], off
.LBB42_11:                              ;   in Loop: Header=BB42_9 Depth=1
	s_or_b32 exec_lo, exec_lo, s1
	v_add_co_u32 v34, s0, v19, s10
	s_delay_alu instid0(VALU_DEP_1) | instskip(SKIP_1) | instid1(VALU_DEP_2)
	v_add_co_ci_u32_e64 v35, s0, s11, v22, s0
	v_mov_b32_e32 v33, 0
	v_cmp_gt_u64_e64 s0, s[8:9], v[34:35]
	v_dual_mov_b32 v34, 0 :: v_dual_mov_b32 v35, 0
	s_delay_alu instid0(VALU_DEP_2)
	s_and_saveexec_b32 s2, s0
	s_cbranch_execz .LBB42_13
; %bb.12:                               ;   in Loop: Header=BB42_9 Depth=1
	v_add_co_u32 v34, s1, v25, s4
	s_delay_alu instid0(VALU_DEP_1) | instskip(SKIP_1) | instid1(VALU_DEP_1)
	v_add_co_ci_u32_e64 v35, s1, s5, v26, s1
	v_add_co_u32 v36, s1, v27, s4
	v_add_co_ci_u32_e64 v37, s1, s5, v28, s1
	global_load_b32 v34, v[34:35], off
	global_load_b32 v35, v[36:37], off
.LBB42_13:                              ;   in Loop: Header=BB42_9 Depth=1
	s_or_b32 exec_lo, exec_lo, s2
	v_add_co_u32 v36, s1, v23, s10
	s_delay_alu instid0(VALU_DEP_1) | instskip(NEXT) | instid1(VALU_DEP_1)
	v_add_co_ci_u32_e64 v37, s1, s11, v24, s1
	v_cmp_gt_u64_e64 s1, s[8:9], v[36:37]
	v_mov_b32_e32 v36, 0
	s_delay_alu instid0(VALU_DEP_2)
	s_and_saveexec_b32 s3, s1
	s_cbranch_execz .LBB42_15
; %bb.14:                               ;   in Loop: Header=BB42_9 Depth=1
	v_add_co_u32 v36, s2, v15, s4
	s_delay_alu instid0(VALU_DEP_1) | instskip(SKIP_1) | instid1(VALU_DEP_1)
	v_add_co_ci_u32_e64 v37, s2, s5, v16, s2
	v_add_co_u32 v38, s2, v17, s4
	v_add_co_ci_u32_e64 v39, s2, s5, v18, s2
	global_load_b32 v33, v[36:37], off
	global_load_b32 v36, v[38:39], off
.LBB42_15:                              ;   in Loop: Header=BB42_9 Depth=1
	s_or_b32 exec_lo, exec_lo, s3
	v_add_co_u32 v37, s2, v13, s10
	s_delay_alu instid0(VALU_DEP_1) | instskip(NEXT) | instid1(VALU_DEP_1)
	v_add_co_ci_u32_e64 v38, s2, s11, v14, s2
	v_cmp_gt_u64_e64 s2, s[8:9], v[37:38]
	v_dual_mov_b32 v37, 0 :: v_dual_mov_b32 v38, 0
	s_delay_alu instid0(VALU_DEP_2)
	s_and_saveexec_b32 s14, s2
	s_cbranch_execnz .LBB42_20
; %bb.16:                               ;   in Loop: Header=BB42_9 Depth=1
	s_or_b32 exec_lo, exec_lo, s14
	s_and_saveexec_b32 s3, vcc_lo
	s_cbranch_execnz .LBB42_21
.LBB42_17:                              ;   in Loop: Header=BB42_9 Depth=1
	s_or_b32 exec_lo, exec_lo, s3
	s_and_saveexec_b32 s3, s0
	s_cbranch_execnz .LBB42_22
.LBB42_18:                              ;   in Loop: Header=BB42_9 Depth=1
	s_or_b32 exec_lo, exec_lo, s3
	s_and_saveexec_b32 s0, s1
	s_cbranch_execnz .LBB42_23
.LBB42_19:                              ;   in Loop: Header=BB42_9 Depth=1
	s_or_b32 exec_lo, exec_lo, s0
	s_and_saveexec_b32 s0, s2
	s_cbranch_execz .LBB42_8
	s_branch .LBB42_24
.LBB42_20:                              ;   in Loop: Header=BB42_9 Depth=1
	v_add_co_u32 v37, s3, v7, s4
	s_delay_alu instid0(VALU_DEP_1) | instskip(SKIP_1) | instid1(VALU_DEP_1)
	v_add_co_ci_u32_e64 v38, s3, s5, v8, s3
	v_add_co_u32 v39, s3, v9, s4
	v_add_co_ci_u32_e64 v40, s3, s5, v10, s3
	global_load_b32 v37, v[37:38], off
	global_load_b32 v38, v[39:40], off
	s_or_b32 exec_lo, exec_lo, s14
	s_and_saveexec_b32 s3, vcc_lo
	s_cbranch_execz .LBB42_17
.LBB42_21:                              ;   in Loop: Header=BB42_9 Depth=1
	v_add_co_u32 v39, vcc_lo, v5, s4
	v_add_co_ci_u32_e32 v40, vcc_lo, s5, v6, vcc_lo
	s_waitcnt vmcnt(0)
	v_fma_f32 v31, -v32, s16, v31
	global_store_b32 v[39:40], v31, off
	s_or_b32 exec_lo, exec_lo, s3
	s_and_saveexec_b32 s3, s0
	s_cbranch_execz .LBB42_18
.LBB42_22:                              ;   in Loop: Header=BB42_9 Depth=1
	s_waitcnt vmcnt(1)
	v_add_co_u32 v31, vcc_lo, v29, s4
	s_waitcnt vmcnt(0)
	v_fma_f32 v34, -v35, s16, v34
	v_add_co_ci_u32_e32 v32, vcc_lo, s5, v30, vcc_lo
	global_store_b32 v[31:32], v34, off
	s_or_b32 exec_lo, exec_lo, s3
	s_and_saveexec_b32 s0, s1
	s_cbranch_execz .LBB42_19
.LBB42_23:                              ;   in Loop: Header=BB42_9 Depth=1
	s_waitcnt vmcnt(1)
	v_add_co_u32 v31, vcc_lo, v20, s4
	s_waitcnt vmcnt(0)
	v_fma_f32 v33, -v36, s16, v33
	v_add_co_ci_u32_e32 v32, vcc_lo, s5, v21, vcc_lo
	global_store_b32 v[31:32], v33, off
	s_or_b32 exec_lo, exec_lo, s0
	s_and_saveexec_b32 s0, s2
	s_cbranch_execz .LBB42_8
.LBB42_24:                              ;   in Loop: Header=BB42_9 Depth=1
	s_waitcnt vmcnt(1)
	v_add_co_u32 v31, vcc_lo, v11, s4
	s_waitcnt vmcnt(0)
	v_fma_f32 v33, -v38, s16, v37
	v_add_co_ci_u32_e32 v32, vcc_lo, s5, v12, vcc_lo
	global_store_b32 v[31:32], v33, off
	s_branch .LBB42_8
.LBB42_25:
	s_nop 0
	s_sendmsg sendmsg(MSG_DEALLOC_VGPRS)
	s_endpgm
	.section	.rodata,"a",@progbits
	.p2align	6, 0x0
	.amdhsa_kernel _ZN2at6native12_GLOBAL__N_125multi_tensor_apply_kernelINS1_18TensorListMetadataILi3EEENS1_24BinaryOpListAlphaFunctorIfLi3ELi2ELi2EEEJSt5minusIfEfEEEvT_T0_DpT1_
		.amdhsa_group_segment_fixed_size 0
		.amdhsa_private_segment_fixed_size 0
		.amdhsa_kernarg_size 3408
		.amdhsa_user_sgpr_count 15
		.amdhsa_user_sgpr_dispatch_ptr 0
		.amdhsa_user_sgpr_queue_ptr 0
		.amdhsa_user_sgpr_kernarg_segment_ptr 1
		.amdhsa_user_sgpr_dispatch_id 0
		.amdhsa_user_sgpr_private_segment_size 0
		.amdhsa_wavefront_size32 1
		.amdhsa_uses_dynamic_stack 0
		.amdhsa_enable_private_segment 0
		.amdhsa_system_sgpr_workgroup_id_x 1
		.amdhsa_system_sgpr_workgroup_id_y 0
		.amdhsa_system_sgpr_workgroup_id_z 0
		.amdhsa_system_sgpr_workgroup_info 0
		.amdhsa_system_vgpr_workitem_id 0
		.amdhsa_next_free_vgpr 41
		.amdhsa_next_free_sgpr 28
		.amdhsa_reserve_vcc 1
		.amdhsa_float_round_mode_32 0
		.amdhsa_float_round_mode_16_64 0
		.amdhsa_float_denorm_mode_32 3
		.amdhsa_float_denorm_mode_16_64 3
		.amdhsa_dx10_clamp 1
		.amdhsa_ieee_mode 1
		.amdhsa_fp16_overflow 0
		.amdhsa_workgroup_processor_mode 1
		.amdhsa_memory_ordered 1
		.amdhsa_forward_progress 0
		.amdhsa_shared_vgpr_count 0
		.amdhsa_exception_fp_ieee_invalid_op 0
		.amdhsa_exception_fp_denorm_src 0
		.amdhsa_exception_fp_ieee_div_zero 0
		.amdhsa_exception_fp_ieee_overflow 0
		.amdhsa_exception_fp_ieee_underflow 0
		.amdhsa_exception_fp_ieee_inexact 0
		.amdhsa_exception_int_div_zero 0
	.end_amdhsa_kernel
	.section	.text._ZN2at6native12_GLOBAL__N_125multi_tensor_apply_kernelINS1_18TensorListMetadataILi3EEENS1_24BinaryOpListAlphaFunctorIfLi3ELi2ELi2EEEJSt5minusIfEfEEEvT_T0_DpT1_,"axG",@progbits,_ZN2at6native12_GLOBAL__N_125multi_tensor_apply_kernelINS1_18TensorListMetadataILi3EEENS1_24BinaryOpListAlphaFunctorIfLi3ELi2ELi2EEEJSt5minusIfEfEEEvT_T0_DpT1_,comdat
.Lfunc_end42:
	.size	_ZN2at6native12_GLOBAL__N_125multi_tensor_apply_kernelINS1_18TensorListMetadataILi3EEENS1_24BinaryOpListAlphaFunctorIfLi3ELi2ELi2EEEJSt5minusIfEfEEEvT_T0_DpT1_, .Lfunc_end42-_ZN2at6native12_GLOBAL__N_125multi_tensor_apply_kernelINS1_18TensorListMetadataILi3EEENS1_24BinaryOpListAlphaFunctorIfLi3ELi2ELi2EEEJSt5minusIfEfEEEvT_T0_DpT1_
                                        ; -- End function
	.section	.AMDGPU.csdata,"",@progbits
; Kernel info:
; codeLenInByte = 1748
; NumSgprs: 30
; NumVgprs: 41
; ScratchSize: 0
; MemoryBound: 0
; FloatMode: 240
; IeeeMode: 1
; LDSByteSize: 0 bytes/workgroup (compile time only)
; SGPRBlocks: 3
; VGPRBlocks: 5
; NumSGPRsForWavesPerEU: 30
; NumVGPRsForWavesPerEU: 41
; Occupancy: 16
; WaveLimiterHint : 0
; COMPUTE_PGM_RSRC2:SCRATCH_EN: 0
; COMPUTE_PGM_RSRC2:USER_SGPR: 15
; COMPUTE_PGM_RSRC2:TRAP_HANDLER: 0
; COMPUTE_PGM_RSRC2:TGID_X_EN: 1
; COMPUTE_PGM_RSRC2:TGID_Y_EN: 0
; COMPUTE_PGM_RSRC2:TGID_Z_EN: 0
; COMPUTE_PGM_RSRC2:TIDIG_COMP_CNT: 0
	.section	.text._ZN2at6native12_GLOBAL__N_125multi_tensor_apply_kernelINS1_18TensorListMetadataILi3EEENS1_24BinaryOpListAlphaFunctorIN3c107complexIdEELi3ELi2ELi2EEEJSt5minusIS8_ES8_EEEvT_T0_DpT1_,"axG",@progbits,_ZN2at6native12_GLOBAL__N_125multi_tensor_apply_kernelINS1_18TensorListMetadataILi3EEENS1_24BinaryOpListAlphaFunctorIN3c107complexIdEELi3ELi2ELi2EEEJSt5minusIS8_ES8_EEEvT_T0_DpT1_,comdat
	.globl	_ZN2at6native12_GLOBAL__N_125multi_tensor_apply_kernelINS1_18TensorListMetadataILi3EEENS1_24BinaryOpListAlphaFunctorIN3c107complexIdEELi3ELi2ELi2EEEJSt5minusIS8_ES8_EEEvT_T0_DpT1_ ; -- Begin function _ZN2at6native12_GLOBAL__N_125multi_tensor_apply_kernelINS1_18TensorListMetadataILi3EEENS1_24BinaryOpListAlphaFunctorIN3c107complexIdEELi3ELi2ELi2EEEJSt5minusIS8_ES8_EEEvT_T0_DpT1_
	.p2align	8
	.type	_ZN2at6native12_GLOBAL__N_125multi_tensor_apply_kernelINS1_18TensorListMetadataILi3EEENS1_24BinaryOpListAlphaFunctorIN3c107complexIdEELi3ELi2ELi2EEEJSt5minusIS8_ES8_EEEvT_T0_DpT1_,@function
_ZN2at6native12_GLOBAL__N_125multi_tensor_apply_kernelINS1_18TensorListMetadataILi3EEENS1_24BinaryOpListAlphaFunctorIN3c107complexIdEELi3ELi2ELi2EEEJSt5minusIS8_ES8_EEEvT_T0_DpT1_: ; @_ZN2at6native12_GLOBAL__N_125multi_tensor_apply_kernelINS1_18TensorListMetadataILi3EEENS1_24BinaryOpListAlphaFunctorIN3c107complexIdEELi3ELi2ELi2EEEJSt5minusIS8_ES8_EEEvT_T0_DpT1_
; %bb.0:
	v_mov_b32_e32 v1, s15
	s_add_u32 s2, s0, s15
	s_mul_hi_u32 s3, s15, 3
	s_mul_i32 s15, s15, 3
	s_addc_u32 s4, s1, 0
	global_load_u8 v1, v1, s[0:1] offset:1536
	s_add_u32 s2, s2, s15
	s_addc_u32 s3, s4, s3
	s_mov_b32 s25, 0
	s_load_b32 s2, s[2:3], 0x740
	s_mov_b32 s27, s25
	s_waitcnt vmcnt(0)
	v_readfirstlane_b32 s3, v1
	s_delay_alu instid0(VALU_DEP_1)
	s_lshl_b32 s3, s3, 3
	s_clause 0x3
	s_load_b64 s[16:17], s[0:1], s3 offset:0x0
	s_load_b64 s[18:19], s[0:1], s3 offset:0x180
	s_load_b64 s[20:21], s[0:1], s3 offset:0x300
	s_load_b64 s[4:5], s[0:1], s3 offset:0x480
	s_waitcnt lgkmcnt(0)
	s_ashr_i32 s3, s2, 31
	s_delay_alu instid0(SALU_CYCLE_1) | instskip(NEXT) | instid1(SALU_CYCLE_1)
	s_lshl_b64 s[8:9], s[2:3], 20
	s_add_u32 s12, s16, s8
	s_addc_u32 s13, s17, s9
	s_add_u32 s14, s18, s8
	s_addc_u32 s15, s19, s9
	;; [unrolled: 2-line block ×3, first 2 shown]
	s_or_b32 s6, s22, s14
	s_lshl_b64 s[2:3], s[2:3], 16
	s_and_b32 s6, s6, 63
	s_and_b32 s24, s12, 63
	s_cmp_lg_u32 s6, 0
	s_cselect_b32 s28, -1, 0
	s_sub_u32 s10, s4, s2
	s_subb_u32 s11, s5, s3
	s_and_b32 s26, s4, 3
	s_load_b128 s[4:7], s[0:1], 0xc50
	s_or_b64 s[2:3], s[24:25], s[26:27]
	s_delay_alu instid0(SALU_CYCLE_1) | instskip(SKIP_1) | instid1(SALU_CYCLE_1)
	s_cmp_lg_u64 s[2:3], 0
	s_cselect_b32 s2, -1, 0
	s_or_b32 s2, s28, s2
	s_delay_alu instid0(SALU_CYCLE_1)
	s_and_not1_b32 vcc_lo, exec_lo, s2
	s_mov_b32 s2, -1
	s_cbranch_vccz .LBB43_5
; %bb.1:
	v_dual_mov_b32 v2, 0 :: v_dual_lshlrev_b32 v1, 2, v0
	s_mov_b32 s24, exec_lo
	s_delay_alu instid0(VALU_DEP_1)
	v_cmpx_gt_i64_e64 s[10:11], v[1:2]
	s_cbranch_execz .LBB43_4
; %bb.2:
	s_load_b32 s2, s[0:1], 0xc6c
	v_lshlrev_b32_e32 v3, 6, v0
	s_waitcnt lgkmcnt(0)
	s_and_b32 s2, s2, 0xffff
	s_delay_alu instid0(SALU_CYCLE_1)
	v_add_lshl_u32 v1, v0, s2, 2
	s_lshl_b32 s26, s2, 2
	s_lshl_b32 s27, s2, 6
.LBB43_3:                               ; =>This Inner Loop Header: Depth=1
	v_add_co_u32 v16, s2, s14, v3
	s_delay_alu instid0(VALU_DEP_1) | instskip(SKIP_1) | instid1(VALU_DEP_1)
	v_add_co_ci_u32_e64 v17, null, s15, 0, s2
	v_add_co_u32 v32, s2, s12, v3
	v_add_co_ci_u32_e64 v33, null, s13, 0, s2
	s_clause 0x3
	global_load_b128 v[4:7], v[16:17], off
	global_load_b128 v[8:11], v[16:17], off offset:16
	global_load_b128 v[12:15], v[16:17], off offset:32
	;; [unrolled: 1-line block ×3, first 2 shown]
	s_clause 0x3
	global_load_b128 v[20:23], v[32:33], off
	global_load_b128 v[24:27], v[32:33], off offset:16
	global_load_b128 v[28:31], v[32:33], off offset:32
	;; [unrolled: 1-line block ×3, first 2 shown]
	v_cmp_le_i64_e32 vcc_lo, s[10:11], v[1:2]
	v_cmp_lt_u64_e64 s2, 0xffff, v[1:2]
	s_delay_alu instid0(VALU_DEP_1)
	s_or_b32 s2, vcc_lo, s2
	s_add_u32 s12, s12, s27
	s_addc_u32 s13, s13, 0
	s_waitcnt vmcnt(7)
	v_mul_f64 v[36:37], s[6:7], v[6:7]
	v_mul_f64 v[6:7], s[4:5], v[6:7]
	s_waitcnt vmcnt(6)
	v_mul_f64 v[38:39], s[6:7], v[10:11]
	v_mul_f64 v[10:11], s[4:5], v[10:11]
	;; [unrolled: 3-line block ×4, first 2 shown]
	v_fma_f64 v[36:37], s[4:5], v[4:5], -v[36:37]
	v_fma_f64 v[6:7], s[6:7], v[4:5], v[6:7]
	v_fma_f64 v[38:39], s[4:5], v[8:9], -v[38:39]
	v_fma_f64 v[10:11], s[6:7], v[8:9], v[10:11]
	;; [unrolled: 2-line block ×4, first 2 shown]
	s_waitcnt vmcnt(3)
	v_add_f64 v[4:5], v[20:21], -v[36:37]
	v_add_f64 v[6:7], v[22:23], -v[6:7]
	s_waitcnt vmcnt(2)
	v_add_f64 v[8:9], v[24:25], -v[38:39]
	v_add_f64 v[10:11], v[26:27], -v[10:11]
	;; [unrolled: 3-line block ×4, first 2 shown]
	v_add_co_u32 v20, s3, s22, v3
	s_add_u32 s22, s22, s27
	v_add_co_ci_u32_e64 v21, null, s23, 0, s3
	v_add_co_u32 v1, s3, v1, s26
	s_addc_u32 s23, s23, 0
	s_add_u32 s14, s14, s27
	v_add_co_ci_u32_e64 v2, s3, 0, v2, s3
	s_addc_u32 s15, s15, 0
	s_and_b32 s2, exec_lo, s2
	s_clause 0x3
	global_store_b128 v[20:21], v[4:7], off
	global_store_b128 v[20:21], v[8:11], off offset:16
	global_store_b128 v[20:21], v[12:15], off offset:32
	global_store_b128 v[20:21], v[16:19], off offset:48
	s_or_b32 s25, s2, s25
	s_delay_alu instid0(SALU_CYCLE_1)
	s_and_not1_b32 exec_lo, exec_lo, s25
	s_cbranch_execnz .LBB43_3
.LBB43_4:
	s_or_b32 exec_lo, exec_lo, s24
	s_mov_b32 s2, 0
.LBB43_5:
	s_delay_alu instid0(SALU_CYCLE_1)
	s_and_not1_b32 vcc_lo, exec_lo, s2
	s_cbranch_vccnz .LBB43_25
; %bb.6:
	v_cmp_lt_i64_e64 s2, s[10:11], 1
	s_delay_alu instid0(VALU_DEP_1)
	s_and_b32 vcc_lo, exec_lo, s2
	s_cbranch_vccnz .LBB43_25
; %bb.7:
	s_load_b32 s0, s[0:1], 0xc6c
	v_dual_mov_b32 v1, 0 :: v_dual_lshlrev_b32 v6, 4, v0
	v_cmp_gt_u64_e64 s1, 0x10000, s[10:11]
	s_mov_b32 s13, 0
	s_delay_alu instid0(VALU_DEP_2) | instskip(NEXT) | instid1(VALU_DEP_3)
	v_or_b32_e32 v2, 8, v6
	v_mov_b32_e32 v3, v1
	s_delay_alu instid0(VALU_DEP_2) | instskip(NEXT) | instid1(VALU_DEP_1)
	v_add_co_u32 v34, s2, s18, v2
	v_add_co_ci_u32_e64 v35, null, s19, 0, s2
	v_add_co_u32 v36, s2, s16, v2
	s_delay_alu instid0(VALU_DEP_1)
	v_add_co_ci_u32_e64 v37, null, s17, 0, s2
	s_waitcnt lgkmcnt(0)
	s_and_b32 s22, s0, 0xffff
	s_and_b32 s0, s1, exec_lo
	v_add_lshl_u32 v7, v0, s22, 4
	v_mad_u64_u32 v[4:5], null, s22, 48, v[2:3]
	s_cselect_b32 s15, s11, 0
	s_cselect_b32 s14, s10, 0x10000
	s_delay_alu instid0(VALU_DEP_2) | instskip(NEXT) | instid1(VALU_DEP_1)
	v_add_co_u32 v38, s0, s20, v7
	v_add_co_ci_u32_e64 v39, null, s21, 0, s0
	v_add_co_u32 v40, s0, s20, v2
	s_delay_alu instid0(VALU_DEP_1) | instskip(SKIP_1) | instid1(VALU_DEP_1)
	v_add_co_ci_u32_e64 v41, null, s21, 0, s0
	v_add_co_u32 v42, s0, s16, v7
	v_add_co_ci_u32_e64 v43, null, s17, 0, s0
	v_add_co_u32 v46, s0, s18, v7
	v_add_co_u32 v44, vcc_lo, s18, v4
	v_add_co_ci_u32_e64 v47, null, s19, 0, s0
	s_lshl_b32 s0, s22, 5
	v_add_co_ci_u32_e32 v45, vcc_lo, s19, v5, vcc_lo
	v_add_co_u32 v2, s0, s0, v6
	v_add_co_u32 v48, vcc_lo, s16, v4
	v_add_co_ci_u32_e32 v49, vcc_lo, s17, v5, vcc_lo
	v_add_co_u32 v50, vcc_lo, s20, v4
	v_add_co_ci_u32_e64 v3, null, 0, 0, s0
	v_or_b32_e32 v4, 8, v2
	v_add_co_ci_u32_e32 v51, vcc_lo, s21, v5, vcc_lo
	v_add_co_u32 v52, vcc_lo, s20, v2
	s_delay_alu instid0(VALU_DEP_4) | instskip(NEXT) | instid1(VALU_DEP_4)
	v_add_co_ci_u32_e32 v53, vcc_lo, s21, v3, vcc_lo
	v_add_co_u32 v54, vcc_lo, s18, v4
	v_add_co_ci_u32_e32 v55, vcc_lo, s19, v3, vcc_lo
	v_add_co_u32 v56, vcc_lo, s16, v4
	v_add_co_ci_u32_e32 v57, vcc_lo, s17, v3, vcc_lo
	s_lshl_b32 s12, s22, 2
	s_lshl_b32 s23, s22, 1
	s_mul_i32 s24, s22, 3
	s_lshl_b32 s18, s22, 6
	s_mov_b64 s[16:17], s[12:13]
	s_branch .LBB43_9
.LBB43_8:                               ;   in Loop: Header=BB43_9 Depth=1
	s_or_b32 exec_lo, exec_lo, s0
	v_add_co_u32 v0, vcc_lo, v0, s12
	v_add_co_ci_u32_e32 v1, vcc_lo, 0, v1, vcc_lo
	v_add_co_u32 v34, vcc_lo, v34, s18
	v_add_co_ci_u32_e32 v35, vcc_lo, 0, v35, vcc_lo
	;; [unrolled: 2-line block ×11, first 2 shown]
	v_cmp_ge_i64_e64 s0, s[16:17], s[10:11]
	v_cmp_lt_u64_e64 s1, 0xffff, s[16:17]
	v_add_co_u32 v54, vcc_lo, v54, s18
	v_add_co_ci_u32_e32 v55, vcc_lo, 0, v55, vcc_lo
	v_add_co_u32 v56, vcc_lo, v56, s18
	v_add_co_ci_u32_e32 v57, vcc_lo, 0, v57, vcc_lo
	s_or_b32 s0, s0, s1
	s_add_u32 s16, s16, s12
	s_addc_u32 s17, s17, 0
	s_and_b32 vcc_lo, exec_lo, s0
	s_cbranch_vccnz .LBB43_25
.LBB43_9:                               ; =>This Inner Loop Header: Depth=1
	s_waitcnt vmcnt(0)
	v_mov_b32_e32 v4, 0
	v_mov_b32_e32 v5, 0
	v_cmp_gt_u64_e32 vcc_lo, s[14:15], v[0:1]
	s_delay_alu instid0(VALU_DEP_2)
	v_dual_mov_b32 v13, v5 :: v_dual_mov_b32 v12, v4
	v_dual_mov_b32 v11, v5 :: v_dual_mov_b32 v10, v4
	;; [unrolled: 1-line block ×4, first 2 shown]
	s_and_saveexec_b32 s1, vcc_lo
	s_cbranch_execz .LBB43_11
; %bb.10:                               ;   in Loop: Header=BB43_9 Depth=1
	v_add_co_u32 v2, s0, v36, s8
	s_delay_alu instid0(VALU_DEP_1) | instskip(SKIP_1) | instid1(VALU_DEP_1)
	v_add_co_ci_u32_e64 v3, s0, s9, v37, s0
	v_add_co_u32 v10, s0, v34, s8
	v_add_co_ci_u32_e64 v11, s0, s9, v35, s0
	global_load_b128 v[6:9], v[2:3], off offset:-8
	global_load_b128 v[10:13], v[10:11], off offset:-8
.LBB43_11:                              ;   in Loop: Header=BB43_9 Depth=1
	s_or_b32 exec_lo, exec_lo, s1
	v_add_co_u32 v14, s0, s22, v0
	s_delay_alu instid0(VALU_DEP_1) | instskip(SKIP_2) | instid1(VALU_DEP_3)
	v_add_co_ci_u32_e64 v15, s0, 0, v1, s0
	v_dual_mov_b32 v2, v4 :: v_dual_mov_b32 v3, v5
	v_dual_mov_b32 v17, v5 :: v_dual_mov_b32 v16, v4
	v_cmp_gt_u64_e64 s0, s[14:15], v[14:15]
	v_dual_mov_b32 v15, v5 :: v_dual_mov_b32 v14, v4
	s_delay_alu instid0(VALU_DEP_2)
	s_and_saveexec_b32 s2, s0
	s_cbranch_execz .LBB43_13
; %bb.12:                               ;   in Loop: Header=BB43_9 Depth=1
	v_add_co_u32 v2, s1, v42, s8
	s_delay_alu instid0(VALU_DEP_1) | instskip(SKIP_1) | instid1(VALU_DEP_1)
	v_add_co_ci_u32_e64 v3, s1, s9, v43, s1
	v_add_co_u32 v4, s1, v46, s8
	v_add_co_ci_u32_e64 v5, s1, s9, v47, s1
	global_load_b128 v[14:17], v[2:3], off
	global_load_b128 v[2:5], v[4:5], off
.LBB43_13:                              ;   in Loop: Header=BB43_9 Depth=1
	s_or_b32 exec_lo, exec_lo, s2
	v_add_co_u32 v18, s1, s23, v0
	s_delay_alu instid0(VALU_DEP_1) | instskip(SKIP_2) | instid1(VALU_DEP_3)
	v_add_co_ci_u32_e64 v19, s1, 0, v1, s1
	v_mov_b32_e32 v20, 0
	v_mov_b32_e32 v21, 0
	v_cmp_gt_u64_e64 s1, s[14:15], v[18:19]
	s_delay_alu instid0(VALU_DEP_2)
	v_dual_mov_b32 v29, v21 :: v_dual_mov_b32 v28, v20
	v_dual_mov_b32 v27, v21 :: v_dual_mov_b32 v26, v20
	;; [unrolled: 1-line block ×4, first 2 shown]
	s_and_saveexec_b32 s3, s1
	s_cbranch_execz .LBB43_15
; %bb.14:                               ;   in Loop: Header=BB43_9 Depth=1
	v_add_co_u32 v18, s2, v56, s8
	s_delay_alu instid0(VALU_DEP_1) | instskip(SKIP_1) | instid1(VALU_DEP_1)
	v_add_co_ci_u32_e64 v19, s2, s9, v57, s2
	v_add_co_u32 v26, s2, v54, s8
	v_add_co_ci_u32_e64 v27, s2, s9, v55, s2
	global_load_b128 v[22:25], v[18:19], off offset:-8
	global_load_b128 v[26:29], v[26:27], off offset:-8
.LBB43_15:                              ;   in Loop: Header=BB43_9 Depth=1
	s_or_b32 exec_lo, exec_lo, s3
	v_add_co_u32 v30, s2, s24, v0
	s_delay_alu instid0(VALU_DEP_1) | instskip(SKIP_2) | instid1(VALU_DEP_3)
	v_add_co_ci_u32_e64 v31, s2, 0, v1, s2
	v_dual_mov_b32 v18, v20 :: v_dual_mov_b32 v19, v21
	v_dual_mov_b32 v33, v21 :: v_dual_mov_b32 v32, v20
	v_cmp_gt_u64_e64 s2, s[14:15], v[30:31]
	v_dual_mov_b32 v31, v21 :: v_dual_mov_b32 v30, v20
	s_delay_alu instid0(VALU_DEP_2)
	s_and_saveexec_b32 s13, s2
	s_cbranch_execnz .LBB43_20
; %bb.16:                               ;   in Loop: Header=BB43_9 Depth=1
	s_or_b32 exec_lo, exec_lo, s13
	s_and_saveexec_b32 s3, vcc_lo
	s_cbranch_execnz .LBB43_21
.LBB43_17:                              ;   in Loop: Header=BB43_9 Depth=1
	s_or_b32 exec_lo, exec_lo, s3
	s_and_saveexec_b32 s3, s0
	s_cbranch_execnz .LBB43_22
.LBB43_18:                              ;   in Loop: Header=BB43_9 Depth=1
	s_or_b32 exec_lo, exec_lo, s3
	s_and_saveexec_b32 s0, s1
	s_cbranch_execnz .LBB43_23
.LBB43_19:                              ;   in Loop: Header=BB43_9 Depth=1
	s_or_b32 exec_lo, exec_lo, s0
	s_and_saveexec_b32 s0, s2
	s_cbranch_execz .LBB43_8
	s_branch .LBB43_24
.LBB43_20:                              ;   in Loop: Header=BB43_9 Depth=1
	v_add_co_u32 v18, s3, v48, s8
	s_delay_alu instid0(VALU_DEP_1) | instskip(SKIP_1) | instid1(VALU_DEP_1)
	v_add_co_ci_u32_e64 v19, s3, s9, v49, s3
	v_add_co_u32 v20, s3, v44, s8
	v_add_co_ci_u32_e64 v21, s3, s9, v45, s3
	global_load_b128 v[30:33], v[18:19], off offset:-8
	global_load_b128 v[18:21], v[20:21], off offset:-8
	s_or_b32 exec_lo, exec_lo, s13
	s_and_saveexec_b32 s3, vcc_lo
	s_cbranch_execz .LBB43_17
.LBB43_21:                              ;   in Loop: Header=BB43_9 Depth=1
	s_waitcnt vmcnt(0)
	v_mul_f64 v[58:59], s[6:7], v[10:11]
	v_mul_f64 v[60:61], s[6:7], v[12:13]
	s_delay_alu instid0(VALU_DEP_2) | instskip(NEXT) | instid1(VALU_DEP_2)
	v_fma_f64 v[12:13], s[4:5], v[12:13], v[58:59]
	v_fma_f64 v[10:11], s[4:5], v[10:11], -v[60:61]
	s_delay_alu instid0(VALU_DEP_2) | instskip(NEXT) | instid1(VALU_DEP_2)
	v_add_f64 v[8:9], v[8:9], -v[12:13]
	v_add_f64 v[6:7], v[6:7], -v[10:11]
	v_add_co_u32 v10, vcc_lo, v40, s8
	v_add_co_ci_u32_e32 v11, vcc_lo, s9, v41, vcc_lo
	global_store_b128 v[10:11], v[6:9], off offset:-8
	s_or_b32 exec_lo, exec_lo, s3
	s_and_saveexec_b32 s3, s0
	s_cbranch_execz .LBB43_18
.LBB43_22:                              ;   in Loop: Header=BB43_9 Depth=1
	s_waitcnt vmcnt(0)
	v_mul_f64 v[6:7], s[6:7], v[4:5]
	v_mul_f64 v[8:9], s[6:7], v[2:3]
	s_delay_alu instid0(VALU_DEP_2) | instskip(NEXT) | instid1(VALU_DEP_2)
	v_fma_f64 v[2:3], s[4:5], v[2:3], -v[6:7]
	v_fma_f64 v[4:5], s[4:5], v[4:5], v[8:9]
	v_add_co_u32 v6, vcc_lo, v38, s8
	v_add_co_ci_u32_e32 v7, vcc_lo, s9, v39, vcc_lo
	s_delay_alu instid0(VALU_DEP_4) | instskip(NEXT) | instid1(VALU_DEP_4)
	v_add_f64 v[2:3], v[14:15], -v[2:3]
	v_add_f64 v[4:5], v[16:17], -v[4:5]
	global_store_b128 v[6:7], v[2:5], off
	s_or_b32 exec_lo, exec_lo, s3
	s_and_saveexec_b32 s0, s1
	s_cbranch_execz .LBB43_19
.LBB43_23:                              ;   in Loop: Header=BB43_9 Depth=1
	s_waitcnt vmcnt(0)
	v_mul_f64 v[2:3], s[6:7], v[28:29]
	v_mul_f64 v[4:5], s[6:7], v[26:27]
	v_add_co_u32 v6, vcc_lo, v52, s8
	v_add_co_ci_u32_e32 v7, vcc_lo, s9, v53, vcc_lo
	s_delay_alu instid0(VALU_DEP_4) | instskip(NEXT) | instid1(VALU_DEP_4)
	v_fma_f64 v[2:3], s[4:5], v[26:27], -v[2:3]
	v_fma_f64 v[4:5], s[4:5], v[28:29], v[4:5]
	s_delay_alu instid0(VALU_DEP_2) | instskip(NEXT) | instid1(VALU_DEP_2)
	v_add_f64 v[2:3], v[22:23], -v[2:3]
	v_add_f64 v[4:5], v[24:25], -v[4:5]
	global_store_b128 v[6:7], v[2:5], off
	s_or_b32 exec_lo, exec_lo, s0
	s_and_saveexec_b32 s0, s2
	s_cbranch_execz .LBB43_8
.LBB43_24:                              ;   in Loop: Header=BB43_9 Depth=1
	s_waitcnt vmcnt(0)
	v_mul_f64 v[2:3], s[6:7], v[20:21]
	v_mul_f64 v[4:5], s[6:7], v[18:19]
	v_add_co_u32 v6, vcc_lo, v50, s8
	v_add_co_ci_u32_e32 v7, vcc_lo, s9, v51, vcc_lo
	s_delay_alu instid0(VALU_DEP_4) | instskip(NEXT) | instid1(VALU_DEP_4)
	v_fma_f64 v[2:3], s[4:5], v[18:19], -v[2:3]
	v_fma_f64 v[4:5], s[4:5], v[20:21], v[4:5]
	s_delay_alu instid0(VALU_DEP_2) | instskip(NEXT) | instid1(VALU_DEP_2)
	v_add_f64 v[2:3], v[30:31], -v[2:3]
	v_add_f64 v[4:5], v[32:33], -v[4:5]
	global_store_b128 v[6:7], v[2:5], off offset:-8
	s_branch .LBB43_8
.LBB43_25:
	s_nop 0
	s_sendmsg sendmsg(MSG_DEALLOC_VGPRS)
	s_endpgm
	.section	.rodata,"a",@progbits
	.p2align	6, 0x0
	.amdhsa_kernel _ZN2at6native12_GLOBAL__N_125multi_tensor_apply_kernelINS1_18TensorListMetadataILi3EEENS1_24BinaryOpListAlphaFunctorIN3c107complexIdEELi3ELi2ELi2EEEJSt5minusIS8_ES8_EEEvT_T0_DpT1_
		.amdhsa_group_segment_fixed_size 0
		.amdhsa_private_segment_fixed_size 0
		.amdhsa_kernarg_size 3424
		.amdhsa_user_sgpr_count 15
		.amdhsa_user_sgpr_dispatch_ptr 0
		.amdhsa_user_sgpr_queue_ptr 0
		.amdhsa_user_sgpr_kernarg_segment_ptr 1
		.amdhsa_user_sgpr_dispatch_id 0
		.amdhsa_user_sgpr_private_segment_size 0
		.amdhsa_wavefront_size32 1
		.amdhsa_uses_dynamic_stack 0
		.amdhsa_enable_private_segment 0
		.amdhsa_system_sgpr_workgroup_id_x 1
		.amdhsa_system_sgpr_workgroup_id_y 0
		.amdhsa_system_sgpr_workgroup_id_z 0
		.amdhsa_system_sgpr_workgroup_info 0
		.amdhsa_system_vgpr_workitem_id 0
		.amdhsa_next_free_vgpr 62
		.amdhsa_next_free_sgpr 29
		.amdhsa_reserve_vcc 1
		.amdhsa_float_round_mode_32 0
		.amdhsa_float_round_mode_16_64 0
		.amdhsa_float_denorm_mode_32 3
		.amdhsa_float_denorm_mode_16_64 3
		.amdhsa_dx10_clamp 1
		.amdhsa_ieee_mode 1
		.amdhsa_fp16_overflow 0
		.amdhsa_workgroup_processor_mode 1
		.amdhsa_memory_ordered 1
		.amdhsa_forward_progress 0
		.amdhsa_shared_vgpr_count 0
		.amdhsa_exception_fp_ieee_invalid_op 0
		.amdhsa_exception_fp_denorm_src 0
		.amdhsa_exception_fp_ieee_div_zero 0
		.amdhsa_exception_fp_ieee_overflow 0
		.amdhsa_exception_fp_ieee_underflow 0
		.amdhsa_exception_fp_ieee_inexact 0
		.amdhsa_exception_int_div_zero 0
	.end_amdhsa_kernel
	.section	.text._ZN2at6native12_GLOBAL__N_125multi_tensor_apply_kernelINS1_18TensorListMetadataILi3EEENS1_24BinaryOpListAlphaFunctorIN3c107complexIdEELi3ELi2ELi2EEEJSt5minusIS8_ES8_EEEvT_T0_DpT1_,"axG",@progbits,_ZN2at6native12_GLOBAL__N_125multi_tensor_apply_kernelINS1_18TensorListMetadataILi3EEENS1_24BinaryOpListAlphaFunctorIN3c107complexIdEELi3ELi2ELi2EEEJSt5minusIS8_ES8_EEEvT_T0_DpT1_,comdat
.Lfunc_end43:
	.size	_ZN2at6native12_GLOBAL__N_125multi_tensor_apply_kernelINS1_18TensorListMetadataILi3EEENS1_24BinaryOpListAlphaFunctorIN3c107complexIdEELi3ELi2ELi2EEEJSt5minusIS8_ES8_EEEvT_T0_DpT1_, .Lfunc_end43-_ZN2at6native12_GLOBAL__N_125multi_tensor_apply_kernelINS1_18TensorListMetadataILi3EEENS1_24BinaryOpListAlphaFunctorIN3c107complexIdEELi3ELi2ELi2EEEJSt5minusIS8_ES8_EEEvT_T0_DpT1_
                                        ; -- End function
	.section	.AMDGPU.csdata,"",@progbits
; Kernel info:
; codeLenInByte = 2252
; NumSgprs: 31
; NumVgprs: 62
; ScratchSize: 0
; MemoryBound: 1
; FloatMode: 240
; IeeeMode: 1
; LDSByteSize: 0 bytes/workgroup (compile time only)
; SGPRBlocks: 3
; VGPRBlocks: 7
; NumSGPRsForWavesPerEU: 31
; NumVGPRsForWavesPerEU: 62
; Occupancy: 16
; WaveLimiterHint : 0
; COMPUTE_PGM_RSRC2:SCRATCH_EN: 0
; COMPUTE_PGM_RSRC2:USER_SGPR: 15
; COMPUTE_PGM_RSRC2:TRAP_HANDLER: 0
; COMPUTE_PGM_RSRC2:TGID_X_EN: 1
; COMPUTE_PGM_RSRC2:TGID_Y_EN: 0
; COMPUTE_PGM_RSRC2:TGID_Z_EN: 0
; COMPUTE_PGM_RSRC2:TIDIG_COMP_CNT: 0
	.section	.text._ZN2at6native12_GLOBAL__N_125multi_tensor_apply_kernelINS1_18TensorListMetadataILi3EEENS1_24BinaryOpListAlphaFunctorIN3c107complexIfEELi3ELi2ELi2EEEJSt5minusIS8_ES8_EEEvT_T0_DpT1_,"axG",@progbits,_ZN2at6native12_GLOBAL__N_125multi_tensor_apply_kernelINS1_18TensorListMetadataILi3EEENS1_24BinaryOpListAlphaFunctorIN3c107complexIfEELi3ELi2ELi2EEEJSt5minusIS8_ES8_EEEvT_T0_DpT1_,comdat
	.globl	_ZN2at6native12_GLOBAL__N_125multi_tensor_apply_kernelINS1_18TensorListMetadataILi3EEENS1_24BinaryOpListAlphaFunctorIN3c107complexIfEELi3ELi2ELi2EEEJSt5minusIS8_ES8_EEEvT_T0_DpT1_ ; -- Begin function _ZN2at6native12_GLOBAL__N_125multi_tensor_apply_kernelINS1_18TensorListMetadataILi3EEENS1_24BinaryOpListAlphaFunctorIN3c107complexIfEELi3ELi2ELi2EEEJSt5minusIS8_ES8_EEEvT_T0_DpT1_
	.p2align	8
	.type	_ZN2at6native12_GLOBAL__N_125multi_tensor_apply_kernelINS1_18TensorListMetadataILi3EEENS1_24BinaryOpListAlphaFunctorIN3c107complexIfEELi3ELi2ELi2EEEJSt5minusIS8_ES8_EEEvT_T0_DpT1_,@function
_ZN2at6native12_GLOBAL__N_125multi_tensor_apply_kernelINS1_18TensorListMetadataILi3EEENS1_24BinaryOpListAlphaFunctorIN3c107complexIfEELi3ELi2ELi2EEEJSt5minusIS8_ES8_EEEvT_T0_DpT1_: ; @_ZN2at6native12_GLOBAL__N_125multi_tensor_apply_kernelINS1_18TensorListMetadataILi3EEENS1_24BinaryOpListAlphaFunctorIN3c107complexIfEELi3ELi2ELi2EEEJSt5minusIS8_ES8_EEEvT_T0_DpT1_
; %bb.0:
	v_mov_b32_e32 v1, s15
	s_add_u32 s2, s0, s15
	s_mul_hi_u32 s3, s15, 3
	s_mul_i32 s15, s15, 3
	s_addc_u32 s4, s1, 0
	global_load_u8 v1, v1, s[0:1] offset:1536
	s_add_u32 s2, s2, s15
	s_addc_u32 s3, s4, s3
	s_mov_b32 s23, 0
	s_load_b32 s2, s[2:3], 0x740
	s_mov_b32 s25, s23
	s_waitcnt vmcnt(0)
	v_readfirstlane_b32 s3, v1
	s_delay_alu instid0(VALU_DEP_1)
	s_lshl_b32 s3, s3, 3
	s_clause 0x3
	s_load_b64 s[14:15], s[0:1], s3 offset:0x0
	s_load_b64 s[16:17], s[0:1], s3 offset:0x180
	;; [unrolled: 1-line block ×4, first 2 shown]
	s_waitcnt lgkmcnt(0)
	s_ashr_i32 s3, s2, 31
	s_delay_alu instid0(SALU_CYCLE_1) | instskip(NEXT) | instid1(SALU_CYCLE_1)
	s_lshl_b64 s[4:5], s[2:3], 19
	s_add_u32 s10, s14, s4
	s_addc_u32 s11, s15, s5
	s_add_u32 s12, s16, s4
	s_addc_u32 s13, s17, s5
	;; [unrolled: 2-line block ×3, first 2 shown]
	s_or_b32 s6, s20, s12
	s_lshl_b64 s[2:3], s[2:3], 16
	s_and_b32 s6, s6, 31
	s_and_b32 s22, s10, 31
	s_cmp_lg_u32 s6, 0
	s_cselect_b32 s26, -1, 0
	s_sub_u32 s6, s8, s2
	s_subb_u32 s7, s9, s3
	s_and_b32 s24, s8, 3
	s_load_b64 s[8:9], s[0:1], 0xc50
	s_or_b64 s[2:3], s[22:23], s[24:25]
	s_delay_alu instid0(SALU_CYCLE_1) | instskip(SKIP_1) | instid1(SALU_CYCLE_1)
	s_cmp_lg_u64 s[2:3], 0
	s_cselect_b32 s2, -1, 0
	s_or_b32 s2, s26, s2
	s_delay_alu instid0(SALU_CYCLE_1)
	s_and_not1_b32 vcc_lo, exec_lo, s2
	s_mov_b32 s2, -1
	s_cbranch_vccz .LBB44_5
; %bb.1:
	v_dual_mov_b32 v2, 0 :: v_dual_lshlrev_b32 v1, 2, v0
	s_mov_b32 s22, exec_lo
	s_delay_alu instid0(VALU_DEP_1)
	v_cmpx_gt_i64_e64 s[6:7], v[1:2]
	s_cbranch_execz .LBB44_4
; %bb.2:
	s_load_b32 s2, s[0:1], 0xc64
	v_lshlrev_b32_e32 v3, 5, v0
	s_waitcnt lgkmcnt(0)
	s_and_b32 s2, s2, 0xffff
	s_delay_alu instid0(SALU_CYCLE_1)
	v_add_lshl_u32 v1, v0, s2, 2
	s_lshl_b32 s24, s2, 2
	s_lshl_b32 s25, s2, 5
.LBB44_3:                               ; =>This Inner Loop Header: Depth=1
	v_add_co_u32 v8, s2, s12, v3
	s_delay_alu instid0(VALU_DEP_1) | instskip(SKIP_1) | instid1(VALU_DEP_1)
	v_add_co_ci_u32_e64 v9, null, s13, 0, s2
	v_add_co_u32 v16, s2, s10, v3
	v_add_co_ci_u32_e64 v17, null, s11, 0, s2
	s_clause 0x1
	global_load_b128 v[4:7], v[8:9], off
	global_load_b128 v[8:11], v[8:9], off offset:16
	s_clause 0x1
	global_load_b128 v[12:15], v[16:17], off
	global_load_b128 v[16:19], v[16:17], off offset:16
	v_cmp_le_i64_e32 vcc_lo, s[6:7], v[1:2]
	v_cmp_lt_u64_e64 s2, 0xffff, v[1:2]
	v_add_co_u32 v20, s3, s20, v3
	s_delay_alu instid0(VALU_DEP_1) | instskip(SKIP_1) | instid1(VALU_DEP_4)
	v_add_co_ci_u32_e64 v21, null, s21, 0, s3
	v_add_co_u32 v1, s3, v1, s24
	s_or_b32 s2, vcc_lo, s2
	s_add_u32 s10, s10, s25
	s_addc_u32 s11, s11, 0
	s_add_u32 s20, s20, s25
	s_addc_u32 s21, s21, 0
	s_add_u32 s12, s12, s25
	v_add_co_ci_u32_e64 v2, s3, 0, v2, s3
	s_addc_u32 s13, s13, 0
	s_and_b32 s2, exec_lo, s2
	s_delay_alu instid0(SALU_CYCLE_1) | instskip(SKIP_4) | instid1(VALU_DEP_2)
	s_or_b32 s23, s2, s23
	s_waitcnt vmcnt(3)
	v_dual_mul_f32 v22, s9, v5 :: v_dual_mul_f32 v23, s9, v7
	s_waitcnt vmcnt(2)
	v_dual_mul_f32 v7, s8, v7 :: v_dual_mul_f32 v24, s9, v9
	v_fma_f32 v22, v4, s8, -v22
	s_delay_alu instid0(VALU_DEP_3) | instskip(SKIP_1) | instid1(VALU_DEP_4)
	v_fma_f32 v23, v6, s8, -v23
	v_mul_f32_e32 v9, s8, v9
	v_fma_f32 v24, v8, s8, -v24
	v_mul_f32_e32 v25, s9, v11
	v_mul_f32_e32 v5, s8, v5
	s_waitcnt vmcnt(1)
	v_dual_fmac_f32 v7, s9, v6 :: v_dual_sub_f32 v6, v14, v23
	v_fmac_f32_e32 v9, s9, v8
	s_waitcnt vmcnt(0)
	v_sub_f32_e32 v8, v16, v24
	v_fma_f32 v25, v10, s8, -v25
	v_mul_f32_e32 v11, s8, v11
	v_dual_fmac_f32 v5, s9, v4 :: v_dual_sub_f32 v4, v12, v22
	v_sub_f32_e32 v7, v15, v7
	v_sub_f32_e32 v9, v17, v9
	s_delay_alu instid0(VALU_DEP_4) | instskip(NEXT) | instid1(VALU_DEP_4)
	v_dual_fmac_f32 v11, s9, v10 :: v_dual_sub_f32 v10, v18, v25
	v_sub_f32_e32 v5, v13, v5
	s_delay_alu instid0(VALU_DEP_2)
	v_sub_f32_e32 v11, v19, v11
	s_clause 0x1
	global_store_b128 v[20:21], v[4:7], off
	global_store_b128 v[20:21], v[8:11], off offset:16
	s_and_not1_b32 exec_lo, exec_lo, s23
	s_cbranch_execnz .LBB44_3
.LBB44_4:
	s_or_b32 exec_lo, exec_lo, s22
	s_mov_b32 s2, 0
.LBB44_5:
	s_delay_alu instid0(SALU_CYCLE_1)
	s_and_not1_b32 vcc_lo, exec_lo, s2
	s_cbranch_vccnz .LBB44_25
; %bb.6:
	v_cmp_lt_i64_e64 s2, s[6:7], 1
	s_delay_alu instid0(VALU_DEP_1)
	s_and_b32 vcc_lo, exec_lo, s2
	s_cbranch_vccnz .LBB44_25
; %bb.7:
	s_load_b32 s0, s[0:1], 0xc64
	v_dual_mov_b32 v1, 0 :: v_dual_lshlrev_b32 v6, 3, v0
	v_cmp_gt_u64_e64 s1, 0x10000, s[6:7]
	s_mov_b32 s11, 0
	s_delay_alu instid0(VALU_DEP_2) | instskip(NEXT) | instid1(VALU_DEP_3)
	v_or_b32_e32 v2, 4, v6
	v_mov_b32_e32 v3, v1
	s_delay_alu instid0(VALU_DEP_2) | instskip(NEXT) | instid1(VALU_DEP_1)
	v_add_co_u32 v18, s2, s16, v2
	v_add_co_ci_u32_e64 v19, null, s17, 0, s2
	v_add_co_u32 v20, s2, s14, v2
	s_delay_alu instid0(VALU_DEP_1)
	v_add_co_ci_u32_e64 v21, null, s15, 0, s2
	s_waitcnt lgkmcnt(0)
	s_and_b32 s20, s0, 0xffff
	s_and_b32 s0, s1, exec_lo
	v_add_lshl_u32 v7, v0, s20, 3
	v_mad_u64_u32 v[4:5], null, s20, 24, v[2:3]
	s_cselect_b32 s13, s7, 0
	s_cselect_b32 s12, s6, 0x10000
	s_delay_alu instid0(VALU_DEP_2) | instskip(NEXT) | instid1(VALU_DEP_1)
	v_add_co_u32 v22, s0, s18, v7
	v_add_co_ci_u32_e64 v23, null, s19, 0, s0
	v_add_co_u32 v24, s0, s18, v2
	s_delay_alu instid0(VALU_DEP_1) | instskip(SKIP_1) | instid1(VALU_DEP_1)
	v_add_co_ci_u32_e64 v25, null, s19, 0, s0
	v_add_co_u32 v26, s0, s14, v7
	v_add_co_ci_u32_e64 v27, null, s15, 0, s0
	v_add_co_u32 v30, s0, s16, v7
	v_add_co_u32 v28, vcc_lo, s16, v4
	v_add_co_ci_u32_e64 v31, null, s17, 0, s0
	s_lshl_b32 s0, s20, 4
	v_add_co_ci_u32_e32 v29, vcc_lo, s17, v5, vcc_lo
	v_add_co_u32 v2, s0, s0, v6
	v_add_co_u32 v32, vcc_lo, s14, v4
	v_add_co_ci_u32_e32 v33, vcc_lo, s15, v5, vcc_lo
	v_add_co_u32 v34, vcc_lo, s18, v4
	v_add_co_ci_u32_e64 v3, null, 0, 0, s0
	v_or_b32_e32 v4, 4, v2
	v_add_co_ci_u32_e32 v35, vcc_lo, s19, v5, vcc_lo
	v_add_co_u32 v36, vcc_lo, s18, v2
	s_delay_alu instid0(VALU_DEP_4) | instskip(NEXT) | instid1(VALU_DEP_4)
	v_add_co_ci_u32_e32 v37, vcc_lo, s19, v3, vcc_lo
	v_add_co_u32 v38, vcc_lo, s16, v4
	v_add_co_ci_u32_e32 v39, vcc_lo, s17, v3, vcc_lo
	v_add_co_u32 v40, vcc_lo, s14, v4
	v_add_co_ci_u32_e32 v41, vcc_lo, s15, v3, vcc_lo
	s_lshl_b32 s10, s20, 2
	s_lshl_b32 s21, s20, 1
	s_mul_i32 s22, s20, 3
	s_lshl_b32 s16, s20, 5
	s_mov_b64 s[14:15], s[10:11]
	s_branch .LBB44_9
.LBB44_8:                               ;   in Loop: Header=BB44_9 Depth=1
	s_or_b32 exec_lo, exec_lo, s0
	v_add_co_u32 v0, vcc_lo, v0, s10
	v_add_co_ci_u32_e32 v1, vcc_lo, 0, v1, vcc_lo
	v_add_co_u32 v18, vcc_lo, v18, s16
	v_add_co_ci_u32_e32 v19, vcc_lo, 0, v19, vcc_lo
	;; [unrolled: 2-line block ×11, first 2 shown]
	v_cmp_ge_i64_e64 s0, s[14:15], s[6:7]
	v_cmp_lt_u64_e64 s1, 0xffff, s[14:15]
	v_add_co_u32 v38, vcc_lo, v38, s16
	v_add_co_ci_u32_e32 v39, vcc_lo, 0, v39, vcc_lo
	v_add_co_u32 v40, vcc_lo, v40, s16
	v_add_co_ci_u32_e32 v41, vcc_lo, 0, v41, vcc_lo
	s_or_b32 s0, s0, s1
	s_add_u32 s14, s14, s10
	s_addc_u32 s15, s15, 0
	s_and_b32 vcc_lo, exec_lo, s0
	s_cbranch_vccnz .LBB44_25
.LBB44_9:                               ; =>This Inner Loop Header: Depth=1
	v_cmp_gt_u64_e32 vcc_lo, s[12:13], v[0:1]
	s_waitcnt vmcnt(1)
	v_dual_mov_b32 v5, 0 :: v_dual_mov_b32 v4, 0
	s_waitcnt vmcnt(0)
	v_dual_mov_b32 v7, 0 :: v_dual_mov_b32 v6, 0
	s_and_saveexec_b32 s1, vcc_lo
	s_cbranch_execz .LBB44_11
; %bb.10:                               ;   in Loop: Header=BB44_9 Depth=1
	v_add_co_u32 v2, s0, v20, s4
	s_delay_alu instid0(VALU_DEP_1) | instskip(SKIP_1) | instid1(VALU_DEP_1)
	v_add_co_ci_u32_e64 v3, s0, s5, v21, s0
	v_add_co_u32 v6, s0, v18, s4
	v_add_co_ci_u32_e64 v7, s0, s5, v19, s0
	global_load_b64 v[4:5], v[2:3], off offset:-4
	global_load_b64 v[6:7], v[6:7], off offset:-4
.LBB44_11:                              ;   in Loop: Header=BB44_9 Depth=1
	s_or_b32 exec_lo, exec_lo, s1
	v_add_co_u32 v8, s0, s20, v0
	s_delay_alu instid0(VALU_DEP_1) | instskip(SKIP_2) | instid1(VALU_DEP_3)
	v_add_co_ci_u32_e64 v9, s0, 0, v1, s0
	v_mov_b32_e32 v3, 0
	v_dual_mov_b32 v11, 0 :: v_dual_mov_b32 v10, 0
	v_cmp_gt_u64_e64 s0, s[12:13], v[8:9]
	v_dual_mov_b32 v8, 0 :: v_dual_mov_b32 v9, 0
	s_delay_alu instid0(VALU_DEP_2)
	s_and_saveexec_b32 s2, s0
	s_cbranch_execz .LBB44_13
; %bb.12:                               ;   in Loop: Header=BB44_9 Depth=1
	v_add_co_u32 v8, s1, v26, s4
	s_delay_alu instid0(VALU_DEP_1) | instskip(SKIP_1) | instid1(VALU_DEP_1)
	v_add_co_ci_u32_e64 v9, s1, s5, v27, s1
	v_add_co_u32 v10, s1, v30, s4
	v_add_co_ci_u32_e64 v11, s1, s5, v31, s1
	global_load_b64 v[8:9], v[8:9], off
	global_load_b64 v[10:11], v[10:11], off
.LBB44_13:                              ;   in Loop: Header=BB44_9 Depth=1
	s_or_b32 exec_lo, exec_lo, s2
	v_add_co_u32 v12, s1, s21, v0
	s_delay_alu instid0(VALU_DEP_1) | instskip(SKIP_1) | instid1(VALU_DEP_2)
	v_add_co_ci_u32_e64 v13, s1, 0, v1, s1
	v_mov_b32_e32 v2, 0
	v_cmp_gt_u64_e64 s1, s[12:13], v[12:13]
	v_dual_mov_b32 v13, 0 :: v_dual_mov_b32 v12, 0
	s_delay_alu instid0(VALU_DEP_2)
	s_and_saveexec_b32 s3, s1
	s_cbranch_execz .LBB44_15
; %bb.14:                               ;   in Loop: Header=BB44_9 Depth=1
	v_add_co_u32 v2, s2, v40, s4
	s_delay_alu instid0(VALU_DEP_1) | instskip(SKIP_1) | instid1(VALU_DEP_1)
	v_add_co_ci_u32_e64 v3, s2, s5, v41, s2
	v_add_co_u32 v12, s2, v38, s4
	v_add_co_ci_u32_e64 v13, s2, s5, v39, s2
	global_load_b64 v[2:3], v[2:3], off offset:-4
	global_load_b64 v[12:13], v[12:13], off offset:-4
.LBB44_15:                              ;   in Loop: Header=BB44_9 Depth=1
	s_or_b32 exec_lo, exec_lo, s3
	v_add_co_u32 v16, s2, s22, v0
	s_delay_alu instid0(VALU_DEP_1) | instskip(SKIP_1) | instid1(VALU_DEP_2)
	v_add_co_ci_u32_e64 v17, s2, 0, v1, s2
	v_dual_mov_b32 v15, 0 :: v_dual_mov_b32 v14, 0
	v_cmp_gt_u64_e64 s2, s[12:13], v[16:17]
	v_dual_mov_b32 v17, 0 :: v_dual_mov_b32 v16, 0
	s_delay_alu instid0(VALU_DEP_2)
	s_and_saveexec_b32 s11, s2
	s_cbranch_execnz .LBB44_20
; %bb.16:                               ;   in Loop: Header=BB44_9 Depth=1
	s_or_b32 exec_lo, exec_lo, s11
	s_and_saveexec_b32 s3, vcc_lo
	s_cbranch_execnz .LBB44_21
.LBB44_17:                              ;   in Loop: Header=BB44_9 Depth=1
	s_or_b32 exec_lo, exec_lo, s3
	s_and_saveexec_b32 s3, s0
	s_cbranch_execnz .LBB44_22
.LBB44_18:                              ;   in Loop: Header=BB44_9 Depth=1
	s_or_b32 exec_lo, exec_lo, s3
	s_and_saveexec_b32 s0, s1
	s_cbranch_execnz .LBB44_23
.LBB44_19:                              ;   in Loop: Header=BB44_9 Depth=1
	s_or_b32 exec_lo, exec_lo, s0
	s_and_saveexec_b32 s0, s2
	s_cbranch_execz .LBB44_8
	s_branch .LBB44_24
.LBB44_20:                              ;   in Loop: Header=BB44_9 Depth=1
	v_add_co_u32 v14, s3, v32, s4
	s_delay_alu instid0(VALU_DEP_1) | instskip(SKIP_1) | instid1(VALU_DEP_1)
	v_add_co_ci_u32_e64 v15, s3, s5, v33, s3
	v_add_co_u32 v16, s3, v28, s4
	v_add_co_ci_u32_e64 v17, s3, s5, v29, s3
	global_load_b64 v[14:15], v[14:15], off offset:-4
	global_load_b64 v[16:17], v[16:17], off offset:-4
	s_or_b32 exec_lo, exec_lo, s11
	s_and_saveexec_b32 s3, vcc_lo
	s_cbranch_execz .LBB44_17
.LBB44_21:                              ;   in Loop: Header=BB44_9 Depth=1
	s_waitcnt vmcnt(0)
	v_dual_mul_f32 v42, s9, v7 :: v_dual_mul_f32 v43, s9, v6
	s_delay_alu instid0(VALU_DEP_1) | instskip(NEXT) | instid1(VALU_DEP_2)
	v_fma_f32 v42, v6, s8, -v42
	v_fmac_f32_e32 v43, s8, v7
	v_add_co_u32 v6, vcc_lo, v24, s4
	v_add_co_ci_u32_e32 v7, vcc_lo, s5, v25, vcc_lo
	s_delay_alu instid0(VALU_DEP_3)
	v_dual_sub_f32 v4, v4, v42 :: v_dual_sub_f32 v5, v5, v43
	global_store_b64 v[6:7], v[4:5], off offset:-4
	s_or_b32 exec_lo, exec_lo, s3
	s_and_saveexec_b32 s3, s0
	s_cbranch_execz .LBB44_18
.LBB44_22:                              ;   in Loop: Header=BB44_9 Depth=1
	s_waitcnt vmcnt(0)
	v_dual_mul_f32 v4, s9, v11 :: v_dual_mul_f32 v5, s9, v10
	v_add_co_u32 v6, vcc_lo, v22, s4
	v_add_co_ci_u32_e32 v7, vcc_lo, s5, v23, vcc_lo
	s_delay_alu instid0(VALU_DEP_3) | instskip(NEXT) | instid1(VALU_DEP_1)
	v_fma_f32 v4, v10, s8, -v4
	v_dual_fmac_f32 v5, s8, v11 :: v_dual_sub_f32 v4, v8, v4
	s_delay_alu instid0(VALU_DEP_1)
	v_sub_f32_e32 v5, v9, v5
	global_store_b64 v[6:7], v[4:5], off
	s_or_b32 exec_lo, exec_lo, s3
	s_and_saveexec_b32 s0, s1
	s_cbranch_execz .LBB44_19
.LBB44_23:                              ;   in Loop: Header=BB44_9 Depth=1
	s_waitcnt vmcnt(0)
	v_dual_mul_f32 v4, s9, v13 :: v_dual_mul_f32 v5, s9, v12
	s_delay_alu instid0(VALU_DEP_1) | instskip(NEXT) | instid1(VALU_DEP_1)
	v_fma_f32 v4, v12, s8, -v4
	v_dual_fmac_f32 v5, s8, v13 :: v_dual_sub_f32 v2, v2, v4
	v_add_co_u32 v4, vcc_lo, v36, s4
	s_delay_alu instid0(VALU_DEP_2)
	v_sub_f32_e32 v3, v3, v5
	v_add_co_ci_u32_e32 v5, vcc_lo, s5, v37, vcc_lo
	global_store_b64 v[4:5], v[2:3], off
	s_or_b32 exec_lo, exec_lo, s0
	s_and_saveexec_b32 s0, s2
	s_cbranch_execz .LBB44_8
.LBB44_24:                              ;   in Loop: Header=BB44_9 Depth=1
	s_waitcnt vmcnt(0)
	v_dual_mul_f32 v2, s9, v17 :: v_dual_mul_f32 v3, s9, v16
	v_add_co_u32 v4, vcc_lo, v34, s4
	v_add_co_ci_u32_e32 v5, vcc_lo, s5, v35, vcc_lo
	s_delay_alu instid0(VALU_DEP_3) | instskip(NEXT) | instid1(VALU_DEP_1)
	v_fma_f32 v2, v16, s8, -v2
	v_dual_fmac_f32 v3, s8, v17 :: v_dual_sub_f32 v2, v14, v2
	s_delay_alu instid0(VALU_DEP_1)
	v_sub_f32_e32 v3, v15, v3
	global_store_b64 v[4:5], v[2:3], off offset:-4
	s_branch .LBB44_8
.LBB44_25:
	s_nop 0
	s_sendmsg sendmsg(MSG_DEALLOC_VGPRS)
	s_endpgm
	.section	.rodata,"a",@progbits
	.p2align	6, 0x0
	.amdhsa_kernel _ZN2at6native12_GLOBAL__N_125multi_tensor_apply_kernelINS1_18TensorListMetadataILi3EEENS1_24BinaryOpListAlphaFunctorIN3c107complexIfEELi3ELi2ELi2EEEJSt5minusIS8_ES8_EEEvT_T0_DpT1_
		.amdhsa_group_segment_fixed_size 0
		.amdhsa_private_segment_fixed_size 0
		.amdhsa_kernarg_size 3416
		.amdhsa_user_sgpr_count 15
		.amdhsa_user_sgpr_dispatch_ptr 0
		.amdhsa_user_sgpr_queue_ptr 0
		.amdhsa_user_sgpr_kernarg_segment_ptr 1
		.amdhsa_user_sgpr_dispatch_id 0
		.amdhsa_user_sgpr_private_segment_size 0
		.amdhsa_wavefront_size32 1
		.amdhsa_uses_dynamic_stack 0
		.amdhsa_enable_private_segment 0
		.amdhsa_system_sgpr_workgroup_id_x 1
		.amdhsa_system_sgpr_workgroup_id_y 0
		.amdhsa_system_sgpr_workgroup_id_z 0
		.amdhsa_system_sgpr_workgroup_info 0
		.amdhsa_system_vgpr_workitem_id 0
		.amdhsa_next_free_vgpr 44
		.amdhsa_next_free_sgpr 27
		.amdhsa_reserve_vcc 1
		.amdhsa_float_round_mode_32 0
		.amdhsa_float_round_mode_16_64 0
		.amdhsa_float_denorm_mode_32 3
		.amdhsa_float_denorm_mode_16_64 3
		.amdhsa_dx10_clamp 1
		.amdhsa_ieee_mode 1
		.amdhsa_fp16_overflow 0
		.amdhsa_workgroup_processor_mode 1
		.amdhsa_memory_ordered 1
		.amdhsa_forward_progress 0
		.amdhsa_shared_vgpr_count 0
		.amdhsa_exception_fp_ieee_invalid_op 0
		.amdhsa_exception_fp_denorm_src 0
		.amdhsa_exception_fp_ieee_div_zero 0
		.amdhsa_exception_fp_ieee_overflow 0
		.amdhsa_exception_fp_ieee_underflow 0
		.amdhsa_exception_fp_ieee_inexact 0
		.amdhsa_exception_int_div_zero 0
	.end_amdhsa_kernel
	.section	.text._ZN2at6native12_GLOBAL__N_125multi_tensor_apply_kernelINS1_18TensorListMetadataILi3EEENS1_24BinaryOpListAlphaFunctorIN3c107complexIfEELi3ELi2ELi2EEEJSt5minusIS8_ES8_EEEvT_T0_DpT1_,"axG",@progbits,_ZN2at6native12_GLOBAL__N_125multi_tensor_apply_kernelINS1_18TensorListMetadataILi3EEENS1_24BinaryOpListAlphaFunctorIN3c107complexIfEELi3ELi2ELi2EEEJSt5minusIS8_ES8_EEEvT_T0_DpT1_,comdat
.Lfunc_end44:
	.size	_ZN2at6native12_GLOBAL__N_125multi_tensor_apply_kernelINS1_18TensorListMetadataILi3EEENS1_24BinaryOpListAlphaFunctorIN3c107complexIfEELi3ELi2ELi2EEEJSt5minusIS8_ES8_EEEvT_T0_DpT1_, .Lfunc_end44-_ZN2at6native12_GLOBAL__N_125multi_tensor_apply_kernelINS1_18TensorListMetadataILi3EEENS1_24BinaryOpListAlphaFunctorIN3c107complexIfEELi3ELi2ELi2EEEJSt5minusIS8_ES8_EEEvT_T0_DpT1_
                                        ; -- End function
	.section	.AMDGPU.csdata,"",@progbits
; Kernel info:
; codeLenInByte = 1976
; NumSgprs: 29
; NumVgprs: 44
; ScratchSize: 0
; MemoryBound: 0
; FloatMode: 240
; IeeeMode: 1
; LDSByteSize: 0 bytes/workgroup (compile time only)
; SGPRBlocks: 3
; VGPRBlocks: 5
; NumSGPRsForWavesPerEU: 29
; NumVGPRsForWavesPerEU: 44
; Occupancy: 16
; WaveLimiterHint : 0
; COMPUTE_PGM_RSRC2:SCRATCH_EN: 0
; COMPUTE_PGM_RSRC2:USER_SGPR: 15
; COMPUTE_PGM_RSRC2:TRAP_HANDLER: 0
; COMPUTE_PGM_RSRC2:TGID_X_EN: 1
; COMPUTE_PGM_RSRC2:TGID_Y_EN: 0
; COMPUTE_PGM_RSRC2:TGID_Z_EN: 0
; COMPUTE_PGM_RSRC2:TIDIG_COMP_CNT: 0
	.section	.text._ZN2at6native12_GLOBAL__N_125multi_tensor_apply_kernelINS1_18TensorListMetadataILi3EEENS1_24BinaryOpListAlphaFunctorIbLi3ELi2ELi2EEEJSt5minusIbEbEEEvT_T0_DpT1_,"axG",@progbits,_ZN2at6native12_GLOBAL__N_125multi_tensor_apply_kernelINS1_18TensorListMetadataILi3EEENS1_24BinaryOpListAlphaFunctorIbLi3ELi2ELi2EEEJSt5minusIbEbEEEvT_T0_DpT1_,comdat
	.globl	_ZN2at6native12_GLOBAL__N_125multi_tensor_apply_kernelINS1_18TensorListMetadataILi3EEENS1_24BinaryOpListAlphaFunctorIbLi3ELi2ELi2EEEJSt5minusIbEbEEEvT_T0_DpT1_ ; -- Begin function _ZN2at6native12_GLOBAL__N_125multi_tensor_apply_kernelINS1_18TensorListMetadataILi3EEENS1_24BinaryOpListAlphaFunctorIbLi3ELi2ELi2EEEJSt5minusIbEbEEEvT_T0_DpT1_
	.p2align	8
	.type	_ZN2at6native12_GLOBAL__N_125multi_tensor_apply_kernelINS1_18TensorListMetadataILi3EEENS1_24BinaryOpListAlphaFunctorIbLi3ELi2ELi2EEEJSt5minusIbEbEEEvT_T0_DpT1_,@function
_ZN2at6native12_GLOBAL__N_125multi_tensor_apply_kernelINS1_18TensorListMetadataILi3EEENS1_24BinaryOpListAlphaFunctorIbLi3ELi2ELi2EEEJSt5minusIbEbEEEvT_T0_DpT1_: ; @_ZN2at6native12_GLOBAL__N_125multi_tensor_apply_kernelINS1_18TensorListMetadataILi3EEENS1_24BinaryOpListAlphaFunctorIbLi3ELi2ELi2EEEJSt5minusIbEbEEEvT_T0_DpT1_
; %bb.0:
	v_mov_b32_e32 v1, s15
	s_mul_hi_u32 s3, s15, 3
	s_load_b32 s2, s[0:1], 0xc48
	global_load_u8 v1, v1, s[0:1] offset:1536
	s_waitcnt lgkmcnt(0)
	s_bitcmp1_b32 s2, 16
	s_mul_i32 s2, s15, 3
	s_cselect_b32 s18, -1, 0
	s_add_u32 s4, s0, s15
	s_addc_u32 s5, s1, 0
	s_add_u32 s2, s4, s2
	s_addc_u32 s3, s5, s3
	s_load_b32 s2, s[2:3], 0x740
	s_waitcnt vmcnt(0)
	v_readfirstlane_b32 s4, v1
	s_delay_alu instid0(VALU_DEP_1)
	s_lshl_b32 s3, s4, 3
	s_clause 0x3
	s_load_b64 s[8:9], s[0:1], s3 offset:0x0
	s_load_b64 s[10:11], s[0:1], s3 offset:0x180
	;; [unrolled: 1-line block ×4, first 2 shown]
	s_waitcnt lgkmcnt(0)
	s_ashr_i32 s3, s2, 31
	s_delay_alu instid0(SALU_CYCLE_1) | instskip(NEXT) | instid1(SALU_CYCLE_1)
	s_lshl_b64 s[14:15], s[2:3], 16
	s_add_u32 s16, s8, s14
	s_addc_u32 s17, s9, s15
	s_add_u32 s5, s10, s14
	s_addc_u32 s19, s11, s15
	;; [unrolled: 2-line block ×3, first 2 shown]
	s_or_b32 s2, s20, s5
	s_delay_alu instid0(SALU_CYCLE_1) | instskip(NEXT) | instid1(SALU_CYCLE_1)
	s_and_b32 s2, s2, 3
	s_cmp_lg_u32 s2, 0
	s_cselect_b32 s4, -1, 0
	s_sub_u32 s6, s22, s14
	s_subb_u32 s7, s23, s15
	s_or_b64 s[2:3], s[22:23], s[16:17]
	s_mov_b32 s3, 0
	s_and_b32 s2, s2, 3
	s_delay_alu instid0(SALU_CYCLE_1) | instskip(SKIP_1) | instid1(SALU_CYCLE_1)
	s_cmp_lg_u64 s[2:3], 0
	s_cselect_b32 s2, -1, 0
	s_or_b32 s2, s4, s2
	s_delay_alu instid0(SALU_CYCLE_1)
	s_and_not1_b32 vcc_lo, exec_lo, s2
	s_mov_b32 s2, -1
	s_cbranch_vccz .LBB45_5
; %bb.1:
	v_dual_mov_b32 v2, 0 :: v_dual_lshlrev_b32 v1, 2, v0
	s_mov_b32 s22, exec_lo
	s_delay_alu instid0(VALU_DEP_1)
	v_cmpx_gt_i64_e64 s[6:7], v[1:2]
	s_cbranch_execz .LBB45_4
; %bb.2:
	s_load_b32 s2, s[0:1], 0xc5c
	s_mov_b32 s24, 0
	s_waitcnt lgkmcnt(0)
	s_and_b32 s2, s2, 0xffff
	s_delay_alu instid0(SALU_CYCLE_1)
	s_lshl_b32 s23, s2, 2
.LBB45_3:                               ; =>This Inner Loop Header: Depth=1
	v_add_co_u32 v3, vcc_lo, s5, v1
	v_add_co_ci_u32_e32 v4, vcc_lo, s19, v2, vcc_lo
	v_add_co_u32 v5, vcc_lo, s16, v1
	v_add_co_ci_u32_e32 v6, vcc_lo, s17, v2, vcc_lo
	global_load_b32 v7, v[3:4], off
	global_load_b32 v5, v[5:6], off
	v_add_co_u32 v3, vcc_lo, s20, v1
	v_add_co_ci_u32_e32 v4, vcc_lo, s21, v2, vcc_lo
	v_add_co_u32 v1, vcc_lo, s23, v1
	v_add_co_ci_u32_e32 v2, vcc_lo, 0, v2, vcc_lo
	s_waitcnt vmcnt(1)
	v_and_b32_e32 v8, 0xff, v7
	v_and_b32_e32 v10, 0xff00, v7
	v_cmp_lt_u32_e32 vcc_lo, 0xffffff, v7
	s_waitcnt vmcnt(0)
	v_lshrrev_b32_e32 v9, 8, v5
	v_and_b32_e32 v12, 0xff0000, v7
	v_cmp_ne_u32_e64 s2, 0, v8
	v_cmp_ne_u32_e64 s3, 0, v10
	s_and_b32 s25, vcc_lo, s18
	v_and_b32_e32 v6, 0xff, v5
	v_lshrrev_b32_e32 v11, 16, v5
	v_lshrrev_b32_e32 v5, 24, v5
	v_and_b32_e32 v7, 0xff, v9
	v_cndmask_b32_e64 v9, 0, 1, s25
	s_and_b32 s2, s2, s18
	v_cmp_ne_u32_e64 s4, 0, v12
	v_cndmask_b32_e64 v10, 0, 1, s2
	s_and_b32 s2, s3, s18
	v_and_b32_e32 v8, 0xff, v11
	v_cndmask_b32_e64 v11, 0, 1, s2
	v_cmp_ne_u32_e32 vcc_lo, v5, v9
	s_and_b32 s2, s4, s18
	s_delay_alu instid0(SALU_CYCLE_1)
	v_cndmask_b32_e64 v12, 0, 1, s2
	v_cmp_lt_u64_e64 s2, 0xffff, v[1:2]
	v_cndmask_b32_e64 v5, 0, 1, vcc_lo
	v_cmp_ne_u16_e32 vcc_lo, v7, v11
	v_cndmask_b32_e64 v7, 0, 1, vcc_lo
	v_cmp_ne_u16_e32 vcc_lo, v8, v12
	s_delay_alu instid0(VALU_DEP_2) | instskip(SKIP_2) | instid1(VALU_DEP_2)
	v_lshlrev_b32_e32 v7, 8, v7
	v_cndmask_b32_e64 v8, 0, 1, vcc_lo
	v_cmp_ne_u16_e32 vcc_lo, v6, v10
	v_lshlrev_b32_e32 v8, 16, v8
	v_cndmask_b32_e64 v6, 0, 1, vcc_lo
	v_cmp_le_i64_e32 vcc_lo, s[6:7], v[1:2]
	s_delay_alu instid0(VALU_DEP_2) | instskip(SKIP_1) | instid1(SALU_CYCLE_1)
	v_lshl_or_b32 v5, v5, 24, v6
	s_or_b32 s2, vcc_lo, s2
	s_and_b32 s2, exec_lo, s2
	s_delay_alu instid0(VALU_DEP_1)
	v_or3_b32 v5, v5, v7, v8
	s_or_b32 s24, s2, s24
	global_store_b32 v[3:4], v5, off
	s_and_not1_b32 exec_lo, exec_lo, s24
	s_cbranch_execnz .LBB45_3
.LBB45_4:
	s_or_b32 exec_lo, exec_lo, s22
	s_mov_b32 s2, 0
.LBB45_5:
	s_delay_alu instid0(SALU_CYCLE_1)
	s_and_not1_b32 vcc_lo, exec_lo, s2
	s_cbranch_vccnz .LBB45_25
; %bb.6:
	v_cmp_lt_i64_e64 s2, s[6:7], 1
	s_delay_alu instid0(VALU_DEP_1)
	s_and_b32 vcc_lo, exec_lo, s2
	s_cbranch_vccnz .LBB45_25
; %bb.7:
	s_load_b32 s0, s[0:1], 0xc5c
	v_add_co_u32 v21, s1, s14, v0
	s_delay_alu instid0(VALU_DEP_1) | instskip(SKIP_1) | instid1(VALU_DEP_3)
	v_add_co_ci_u32_e64 v22, null, s15, 0, s1
	v_cmp_gt_u64_e64 s1, 0x10000, s[6:7]
	v_add_co_u32 v1, vcc_lo, s8, v21
	s_delay_alu instid0(VALU_DEP_3)
	v_add_co_ci_u32_e32 v2, vcc_lo, s9, v22, vcc_lo
	v_add_co_u32 v3, vcc_lo, s10, v21
	v_add_co_ci_u32_e32 v4, vcc_lo, s11, v22, vcc_lo
	v_add_co_u32 v5, vcc_lo, s12, v21
	v_add_co_ci_u32_e32 v6, vcc_lo, s13, v22, vcc_lo
	s_waitcnt lgkmcnt(0)
	s_and_b32 s0, s0, 0xffff
	s_and_b32 s1, s1, exec_lo
	s_mul_i32 s2, s0, 3
	s_cselect_b32 s5, s7, 0
	s_cselect_b32 s4, s6, 0x10000
	s_lshl_b32 s1, s0, 1
	s_lshl_b32 s16, s0, 2
	s_add_u32 s3, s14, s2
	s_addc_u32 s17, s15, 0
	v_add_co_u32 v11, s3, s3, v0
	s_delay_alu instid0(VALU_DEP_1) | instskip(SKIP_1) | instid1(VALU_DEP_2)
	v_add_co_ci_u32_e64 v12, null, s17, 0, s3
	s_add_u32 s3, s14, s1
	v_add_co_u32 v7, vcc_lo, s8, v11
	s_delay_alu instid0(VALU_DEP_2)
	v_add_co_ci_u32_e32 v8, vcc_lo, s9, v12, vcc_lo
	v_add_co_u32 v9, vcc_lo, s10, v11
	s_addc_u32 s14, s15, 0
	v_add_co_u32 v19, s3, s3, v0
	v_add_co_ci_u32_e32 v10, vcc_lo, s11, v12, vcc_lo
	v_add_co_u32 v11, vcc_lo, s12, v11
	v_add_co_ci_u32_e64 v20, null, s14, 0, s3
	v_add_co_ci_u32_e32 v12, vcc_lo, s13, v12, vcc_lo
	v_add_co_u32 v15, vcc_lo, s8, v19
	s_delay_alu instid0(VALU_DEP_3)
	v_add_co_ci_u32_e32 v16, vcc_lo, s9, v20, vcc_lo
	v_add_co_u32 v17, vcc_lo, s10, v19
	v_add_co_ci_u32_e32 v18, vcc_lo, s11, v20, vcc_lo
	v_add_co_u32 v19, vcc_lo, s12, v19
	;; [unrolled: 2-line block ×3, first 2 shown]
	v_add_co_ci_u32_e32 v28, vcc_lo, 0, v22, vcc_lo
	v_add_co_u32 v13, s2, s2, v0
	s_delay_alu instid0(VALU_DEP_3) | instskip(NEXT) | instid1(VALU_DEP_3)
	v_add_co_u32 v23, vcc_lo, s8, v27
	v_add_co_ci_u32_e32 v24, vcc_lo, s9, v28, vcc_lo
	v_add_co_u32 v25, vcc_lo, s10, v27
	v_add_co_ci_u32_e32 v26, vcc_lo, s11, v28, vcc_lo
	v_add_co_u32 v21, s1, s1, v0
	v_add_co_u32 v27, vcc_lo, s12, v27
	v_add_co_u32 v29, s0, v0, s0
	v_add_co_ci_u32_e64 v14, null, 0, 0, s2
	v_add_co_ci_u32_e64 v22, null, 0, 0, s1
	v_add_co_ci_u32_e32 v28, vcc_lo, s13, v28, vcc_lo
	v_add_co_ci_u32_e64 v30, null, 0, 0, s0
	s_mov_b64 s[8:9], 0
	s_branch .LBB45_9
.LBB45_8:                               ;   in Loop: Header=BB45_9 Depth=1
	s_or_b32 exec_lo, exec_lo, s0
	s_add_u32 s8, s8, s16
	s_addc_u32 s9, s9, 0
	s_delay_alu instid0(SALU_CYCLE_1) | instskip(SKIP_1) | instid1(VALU_DEP_1)
	v_cmp_ge_i64_e64 s0, s[8:9], s[6:7]
	v_cmp_lt_u64_e64 s1, 0xffff, s[8:9]
	s_or_b32 s0, s0, s1
	s_delay_alu instid0(SALU_CYCLE_1)
	s_and_b32 vcc_lo, exec_lo, s0
	s_cbranch_vccnz .LBB45_25
.LBB45_9:                               ; =>This Inner Loop Header: Depth=1
	s_waitcnt vmcnt(0)
	v_add_co_u32 v33, s0, v0, s8
	s_delay_alu instid0(VALU_DEP_1) | instskip(SKIP_1) | instid1(VALU_DEP_2)
	v_add_co_ci_u32_e64 v34, null, 0, s9, s0
	v_dual_mov_b32 v32, 0 :: v_dual_mov_b32 v31, 0
	v_cmp_gt_u64_e32 vcc_lo, s[4:5], v[33:34]
	v_mov_b32_e32 v34, 0
	s_and_saveexec_b32 s1, vcc_lo
	s_cbranch_execz .LBB45_11
; %bb.10:                               ;   in Loop: Header=BB45_9 Depth=1
	v_add_co_u32 v33, s0, v1, s8
	s_delay_alu instid0(VALU_DEP_1) | instskip(SKIP_1) | instid1(VALU_DEP_1)
	v_add_co_ci_u32_e64 v34, s0, s9, v2, s0
	v_add_co_u32 v35, s0, v3, s8
	v_add_co_ci_u32_e64 v36, s0, s9, v4, s0
	global_load_u8 v31, v[33:34], off
	global_load_u8 v34, v[35:36], off
.LBB45_11:                              ;   in Loop: Header=BB45_9 Depth=1
	s_or_b32 exec_lo, exec_lo, s1
	v_add_co_u32 v35, s0, v29, s8
	s_delay_alu instid0(VALU_DEP_1) | instskip(NEXT) | instid1(VALU_DEP_1)
	v_add_co_ci_u32_e64 v36, s0, s9, v30, s0
	v_cmp_gt_u64_e64 s0, s[4:5], v[35:36]
	s_delay_alu instid0(VALU_DEP_1)
	s_and_saveexec_b32 s2, s0
	s_cbranch_execz .LBB45_13
; %bb.12:                               ;   in Loop: Header=BB45_9 Depth=1
	v_add_co_u32 v32, s1, v23, s8
	s_delay_alu instid0(VALU_DEP_1) | instskip(SKIP_2) | instid1(VALU_DEP_1)
	v_add_co_ci_u32_e64 v33, s1, s9, v24, s1
	global_load_u8 v35, v[32:33], off
	v_add_co_u32 v32, s1, v25, s8
	v_add_co_ci_u32_e64 v33, s1, s9, v26, s1
	global_load_u8 v32, v[32:33], off
	s_waitcnt vmcnt(1)
	v_lshl_or_b32 v31, v35, 8, v31
.LBB45_13:                              ;   in Loop: Header=BB45_9 Depth=1
	s_or_b32 exec_lo, exec_lo, s2
	v_add_co_u32 v35, s1, v21, s8
	s_delay_alu instid0(VALU_DEP_1) | instskip(SKIP_1) | instid1(VALU_DEP_2)
	v_add_co_ci_u32_e64 v36, s1, s9, v22, s1
	v_mov_b32_e32 v33, 0
	v_cmp_gt_u64_e64 s1, s[4:5], v[35:36]
	v_mov_b32_e32 v35, 0
	s_delay_alu instid0(VALU_DEP_2)
	s_and_saveexec_b32 s3, s1
	s_cbranch_execz .LBB45_15
; %bb.14:                               ;   in Loop: Header=BB45_9 Depth=1
	v_add_co_u32 v35, s2, v15, s8
	s_delay_alu instid0(VALU_DEP_1) | instskip(SKIP_2) | instid1(VALU_DEP_1)
	v_add_co_ci_u32_e64 v36, s2, s9, v16, s2
	global_load_u8 v37, v[35:36], off
	v_add_co_u32 v35, s2, v17, s8
	v_add_co_ci_u32_e64 v36, s2, s9, v18, s2
	global_load_u8 v35, v[35:36], off
	s_waitcnt vmcnt(1)
	v_lshl_or_b32 v31, v37, 16, v31
.LBB45_15:                              ;   in Loop: Header=BB45_9 Depth=1
	s_or_b32 exec_lo, exec_lo, s3
	v_add_co_u32 v36, s2, v13, s8
	s_delay_alu instid0(VALU_DEP_1) | instskip(NEXT) | instid1(VALU_DEP_1)
	v_add_co_ci_u32_e64 v37, s2, s9, v14, s2
	v_cmp_gt_u64_e64 s2, s[4:5], v[36:37]
	s_delay_alu instid0(VALU_DEP_1)
	s_and_saveexec_b32 s10, s2
	s_cbranch_execnz .LBB45_20
; %bb.16:                               ;   in Loop: Header=BB45_9 Depth=1
	s_or_b32 exec_lo, exec_lo, s10
	s_and_saveexec_b32 s3, vcc_lo
	s_cbranch_execnz .LBB45_21
.LBB45_17:                              ;   in Loop: Header=BB45_9 Depth=1
	s_or_b32 exec_lo, exec_lo, s3
	s_and_saveexec_b32 s3, s0
	s_cbranch_execnz .LBB45_22
.LBB45_18:                              ;   in Loop: Header=BB45_9 Depth=1
	s_or_b32 exec_lo, exec_lo, s3
	s_and_saveexec_b32 s0, s1
	s_cbranch_execnz .LBB45_23
.LBB45_19:                              ;   in Loop: Header=BB45_9 Depth=1
	s_or_b32 exec_lo, exec_lo, s0
	s_and_saveexec_b32 s0, s2
	s_cbranch_execz .LBB45_8
	s_branch .LBB45_24
.LBB45_20:                              ;   in Loop: Header=BB45_9 Depth=1
	v_add_co_u32 v36, s3, v7, s8
	s_delay_alu instid0(VALU_DEP_1) | instskip(SKIP_2) | instid1(VALU_DEP_1)
	v_add_co_ci_u32_e64 v37, s3, s9, v8, s3
	global_load_u8 v38, v[36:37], off
	v_add_co_u32 v36, s3, v9, s8
	v_add_co_ci_u32_e64 v37, s3, s9, v10, s3
	global_load_u8 v33, v[36:37], off
	s_waitcnt vmcnt(1)
	v_lshl_or_b32 v31, v38, 24, v31
	s_or_b32 exec_lo, exec_lo, s10
	s_and_saveexec_b32 s3, vcc_lo
	s_cbranch_execz .LBB45_17
.LBB45_21:                              ;   in Loop: Header=BB45_9 Depth=1
	s_waitcnt vmcnt(0)
	v_and_b32_e32 v34, 0xff, v34
	s_delay_alu instid0(VALU_DEP_1) | instskip(SKIP_2) | instid1(SALU_CYCLE_1)
	v_cmp_ne_u16_e32 vcc_lo, 0, v34
	v_and_b32_e32 v34, 0xff, v31
	s_and_b32 s10, vcc_lo, s18
	v_cndmask_b32_e64 v36, 0, 1, s10
	s_delay_alu instid0(VALU_DEP_1)
	v_cmp_ne_u16_e32 vcc_lo, v34, v36
	v_cndmask_b32_e64 v34, 0, 1, vcc_lo
	v_add_co_u32 v36, vcc_lo, v5, s8
	v_add_co_ci_u32_e32 v37, vcc_lo, s9, v6, vcc_lo
	global_store_b8 v[36:37], v34, off
	s_or_b32 exec_lo, exec_lo, s3
	s_and_saveexec_b32 s3, s0
	s_cbranch_execz .LBB45_18
.LBB45_22:                              ;   in Loop: Header=BB45_9 Depth=1
	s_waitcnt vmcnt(0)
	v_and_b32_e32 v32, 0xff, v32
	v_lshrrev_b32_e32 v34, 8, v31
	s_delay_alu instid0(VALU_DEP_2) | instskip(NEXT) | instid1(VALU_DEP_2)
	v_cmp_ne_u16_e32 vcc_lo, 0, v32
	v_and_b32_e32 v32, 0xff, v34
	s_and_b32 s0, vcc_lo, s18
	s_delay_alu instid0(SALU_CYCLE_1) | instskip(NEXT) | instid1(VALU_DEP_1)
	v_cndmask_b32_e64 v34, 0, 1, s0
	v_cmp_ne_u16_e32 vcc_lo, v32, v34
	v_cndmask_b32_e64 v32, 0, 1, vcc_lo
	v_add_co_u32 v36, vcc_lo, v27, s8
	v_add_co_ci_u32_e32 v37, vcc_lo, s9, v28, vcc_lo
	global_store_b8 v[36:37], v32, off
	s_or_b32 exec_lo, exec_lo, s3
	s_and_saveexec_b32 s0, s1
	s_cbranch_execz .LBB45_19
.LBB45_23:                              ;   in Loop: Header=BB45_9 Depth=1
	s_waitcnt vmcnt(0)
	v_and_b32_e32 v32, 0xff, v35
	v_lshrrev_b32_e32 v34, 16, v31
	s_delay_alu instid0(VALU_DEP_2) | instskip(NEXT) | instid1(VALU_DEP_2)
	v_cmp_ne_u16_e32 vcc_lo, 0, v32
	v_and_b32_e32 v32, 0xff, v34
	s_and_b32 s1, vcc_lo, s18
	s_delay_alu instid0(SALU_CYCLE_1) | instskip(NEXT) | instid1(VALU_DEP_1)
	v_cndmask_b32_e64 v34, 0, 1, s1
	v_cmp_ne_u16_e32 vcc_lo, v32, v34
	v_cndmask_b32_e64 v32, 0, 1, vcc_lo
	v_add_co_u32 v34, vcc_lo, v19, s8
	v_add_co_ci_u32_e32 v35, vcc_lo, s9, v20, vcc_lo
	global_store_b8 v[34:35], v32, off
	s_or_b32 exec_lo, exec_lo, s0
	s_and_saveexec_b32 s0, s2
	s_cbranch_execz .LBB45_8
.LBB45_24:                              ;   in Loop: Header=BB45_9 Depth=1
	s_waitcnt vmcnt(0)
	v_and_b32_e32 v32, 0xff, v33
	v_lshrrev_b32_e32 v31, 24, v31
	s_delay_alu instid0(VALU_DEP_2) | instskip(SKIP_1) | instid1(SALU_CYCLE_1)
	v_cmp_ne_u16_e32 vcc_lo, 0, v32
	s_and_b32 s1, vcc_lo, s18
	v_cndmask_b32_e64 v32, 0, 1, s1
	s_delay_alu instid0(VALU_DEP_1)
	v_cmp_ne_u32_e32 vcc_lo, v31, v32
	v_cndmask_b32_e64 v33, 0, 1, vcc_lo
	v_add_co_u32 v31, vcc_lo, v11, s8
	v_add_co_ci_u32_e32 v32, vcc_lo, s9, v12, vcc_lo
	global_store_b8 v[31:32], v33, off
	s_branch .LBB45_8
.LBB45_25:
	s_nop 0
	s_sendmsg sendmsg(MSG_DEALLOC_VGPRS)
	s_endpgm
	.section	.rodata,"a",@progbits
	.p2align	6, 0x0
	.amdhsa_kernel _ZN2at6native12_GLOBAL__N_125multi_tensor_apply_kernelINS1_18TensorListMetadataILi3EEENS1_24BinaryOpListAlphaFunctorIbLi3ELi2ELi2EEEJSt5minusIbEbEEEvT_T0_DpT1_
		.amdhsa_group_segment_fixed_size 0
		.amdhsa_private_segment_fixed_size 0
		.amdhsa_kernarg_size 3408
		.amdhsa_user_sgpr_count 15
		.amdhsa_user_sgpr_dispatch_ptr 0
		.amdhsa_user_sgpr_queue_ptr 0
		.amdhsa_user_sgpr_kernarg_segment_ptr 1
		.amdhsa_user_sgpr_dispatch_id 0
		.amdhsa_user_sgpr_private_segment_size 0
		.amdhsa_wavefront_size32 1
		.amdhsa_uses_dynamic_stack 0
		.amdhsa_enable_private_segment 0
		.amdhsa_system_sgpr_workgroup_id_x 1
		.amdhsa_system_sgpr_workgroup_id_y 0
		.amdhsa_system_sgpr_workgroup_id_z 0
		.amdhsa_system_sgpr_workgroup_info 0
		.amdhsa_system_vgpr_workitem_id 0
		.amdhsa_next_free_vgpr 39
		.amdhsa_next_free_sgpr 26
		.amdhsa_reserve_vcc 1
		.amdhsa_float_round_mode_32 0
		.amdhsa_float_round_mode_16_64 0
		.amdhsa_float_denorm_mode_32 3
		.amdhsa_float_denorm_mode_16_64 3
		.amdhsa_dx10_clamp 1
		.amdhsa_ieee_mode 1
		.amdhsa_fp16_overflow 0
		.amdhsa_workgroup_processor_mode 1
		.amdhsa_memory_ordered 1
		.amdhsa_forward_progress 0
		.amdhsa_shared_vgpr_count 0
		.amdhsa_exception_fp_ieee_invalid_op 0
		.amdhsa_exception_fp_denorm_src 0
		.amdhsa_exception_fp_ieee_div_zero 0
		.amdhsa_exception_fp_ieee_overflow 0
		.amdhsa_exception_fp_ieee_underflow 0
		.amdhsa_exception_fp_ieee_inexact 0
		.amdhsa_exception_int_div_zero 0
	.end_amdhsa_kernel
	.section	.text._ZN2at6native12_GLOBAL__N_125multi_tensor_apply_kernelINS1_18TensorListMetadataILi3EEENS1_24BinaryOpListAlphaFunctorIbLi3ELi2ELi2EEEJSt5minusIbEbEEEvT_T0_DpT1_,"axG",@progbits,_ZN2at6native12_GLOBAL__N_125multi_tensor_apply_kernelINS1_18TensorListMetadataILi3EEENS1_24BinaryOpListAlphaFunctorIbLi3ELi2ELi2EEEJSt5minusIbEbEEEvT_T0_DpT1_,comdat
.Lfunc_end45:
	.size	_ZN2at6native12_GLOBAL__N_125multi_tensor_apply_kernelINS1_18TensorListMetadataILi3EEENS1_24BinaryOpListAlphaFunctorIbLi3ELi2ELi2EEEJSt5minusIbEbEEEvT_T0_DpT1_, .Lfunc_end45-_ZN2at6native12_GLOBAL__N_125multi_tensor_apply_kernelINS1_18TensorListMetadataILi3EEENS1_24BinaryOpListAlphaFunctorIbLi3ELi2ELi2EEEJSt5minusIbEbEEEvT_T0_DpT1_
                                        ; -- End function
	.section	.AMDGPU.csdata,"",@progbits
; Kernel info:
; codeLenInByte = 1940
; NumSgprs: 28
; NumVgprs: 39
; ScratchSize: 0
; MemoryBound: 0
; FloatMode: 240
; IeeeMode: 1
; LDSByteSize: 0 bytes/workgroup (compile time only)
; SGPRBlocks: 3
; VGPRBlocks: 4
; NumSGPRsForWavesPerEU: 28
; NumVGPRsForWavesPerEU: 39
; Occupancy: 16
; WaveLimiterHint : 0
; COMPUTE_PGM_RSRC2:SCRATCH_EN: 0
; COMPUTE_PGM_RSRC2:USER_SGPR: 15
; COMPUTE_PGM_RSRC2:TRAP_HANDLER: 0
; COMPUTE_PGM_RSRC2:TGID_X_EN: 1
; COMPUTE_PGM_RSRC2:TGID_Y_EN: 0
; COMPUTE_PGM_RSRC2:TGID_Z_EN: 0
; COMPUTE_PGM_RSRC2:TIDIG_COMP_CNT: 0
	.section	.text._ZN2at6native12_GLOBAL__N_125multi_tensor_apply_kernelINS1_18TensorListMetadataILi3EEENS1_24BinaryOpListAlphaFunctorIN3c108BFloat16ELi3ELi2ELi2EEEJSt5minusIfEfEEEvT_T0_DpT1_,"axG",@progbits,_ZN2at6native12_GLOBAL__N_125multi_tensor_apply_kernelINS1_18TensorListMetadataILi3EEENS1_24BinaryOpListAlphaFunctorIN3c108BFloat16ELi3ELi2ELi2EEEJSt5minusIfEfEEEvT_T0_DpT1_,comdat
	.globl	_ZN2at6native12_GLOBAL__N_125multi_tensor_apply_kernelINS1_18TensorListMetadataILi3EEENS1_24BinaryOpListAlphaFunctorIN3c108BFloat16ELi3ELi2ELi2EEEJSt5minusIfEfEEEvT_T0_DpT1_ ; -- Begin function _ZN2at6native12_GLOBAL__N_125multi_tensor_apply_kernelINS1_18TensorListMetadataILi3EEENS1_24BinaryOpListAlphaFunctorIN3c108BFloat16ELi3ELi2ELi2EEEJSt5minusIfEfEEEvT_T0_DpT1_
	.p2align	8
	.type	_ZN2at6native12_GLOBAL__N_125multi_tensor_apply_kernelINS1_18TensorListMetadataILi3EEENS1_24BinaryOpListAlphaFunctorIN3c108BFloat16ELi3ELi2ELi2EEEJSt5minusIfEfEEEvT_T0_DpT1_,@function
_ZN2at6native12_GLOBAL__N_125multi_tensor_apply_kernelINS1_18TensorListMetadataILi3EEENS1_24BinaryOpListAlphaFunctorIN3c108BFloat16ELi3ELi2ELi2EEEJSt5minusIfEfEEEvT_T0_DpT1_: ; @_ZN2at6native12_GLOBAL__N_125multi_tensor_apply_kernelINS1_18TensorListMetadataILi3EEENS1_24BinaryOpListAlphaFunctorIN3c108BFloat16ELi3ELi2ELi2EEEJSt5minusIfEfEEEvT_T0_DpT1_
; %bb.0:
	v_mov_b32_e32 v1, s15
	s_add_u32 s2, s0, s15
	s_mul_hi_u32 s3, s15, 3
	s_mul_i32 s15, s15, 3
	s_addc_u32 s4, s1, 0
	global_load_u8 v1, v1, s[0:1] offset:1536
	s_load_b32 s16, s[0:1], 0xc4c
	s_add_u32 s2, s2, s15
	s_addc_u32 s3, s4, s3
	s_mov_b32 s19, 0
	s_load_b32 s2, s[2:3], 0x740
	s_mov_b32 s21, s19
	s_waitcnt vmcnt(0)
	v_readfirstlane_b32 s3, v1
	s_delay_alu instid0(VALU_DEP_1)
	s_lshl_b32 s3, s3, 3
	s_clause 0x3
	s_load_b64 s[12:13], s[0:1], s3 offset:0x180
	s_load_b64 s[10:11], s[0:1], s3 offset:0x300
	;; [unrolled: 1-line block ×4, first 2 shown]
	s_waitcnt lgkmcnt(0)
	s_ashr_i32 s3, s2, 31
	s_delay_alu instid0(SALU_CYCLE_1) | instskip(NEXT) | instid1(SALU_CYCLE_1)
	s_lshl_b64 s[6:7], s[2:3], 17
	s_add_u32 s8, s12, s6
	s_delay_alu instid0(SALU_CYCLE_1) | instskip(SKIP_2) | instid1(SALU_CYCLE_1)
	s_or_b32 s8, s10, s8
	s_and_b32 s18, s14, 7
	s_and_b32 s8, s8, 7
	s_cmp_lg_u32 s8, 0
	s_cselect_b32 s17, -1, 0
	s_lshl_b64 s[2:3], s[2:3], 16
	s_delay_alu instid0(SALU_CYCLE_1) | instskip(SKIP_2) | instid1(SALU_CYCLE_1)
	s_sub_u32 s8, s4, s2
	s_subb_u32 s9, s5, s3
	s_and_b32 s20, s4, 3
	s_or_b64 s[2:3], s[18:19], s[20:21]
	s_delay_alu instid0(SALU_CYCLE_1) | instskip(SKIP_1) | instid1(SALU_CYCLE_1)
	s_cmp_lg_u64 s[2:3], 0
	s_cselect_b32 s2, -1, 0
	s_or_b32 s2, s17, s2
	s_delay_alu instid0(SALU_CYCLE_1)
	s_and_not1_b32 vcc_lo, exec_lo, s2
	s_mov_b32 s2, -1
	s_cbranch_vccz .LBB46_5
; %bb.1:
	v_dual_mov_b32 v2, 0 :: v_dual_lshlrev_b32 v1, 2, v0
	s_mov_b32 s17, exec_lo
	s_delay_alu instid0(VALU_DEP_1)
	v_cmpx_gt_i64_e64 s[8:9], v[1:2]
	s_cbranch_execz .LBB46_4
; %bb.2:
	s_load_b32 s2, s[0:1], 0xc5c
	v_lshlrev_b32_e32 v1, 3, v0
	s_mov_b32 s18, 0
	s_delay_alu instid0(VALU_DEP_1) | instskip(NEXT) | instid1(VALU_DEP_1)
	v_add_co_u32 v3, s3, s6, v1
	v_add_co_ci_u32_e64 v4, null, s7, 0, s3
	s_waitcnt lgkmcnt(0)
	s_and_b32 s2, s2, 0xffff
	s_delay_alu instid0(SALU_CYCLE_1)
	v_add_lshl_u32 v1, v0, s2, 2
	s_lshl_b32 s19, s2, 3
	s_lshl_b32 s20, s2, 2
.LBB46_3:                               ; =>This Inner Loop Header: Depth=1
	v_add_co_u32 v5, vcc_lo, s14, v3
	v_add_co_ci_u32_e32 v6, vcc_lo, s15, v4, vcc_lo
	v_add_co_u32 v7, vcc_lo, s12, v3
	v_add_co_ci_u32_e32 v8, vcc_lo, s13, v4, vcc_lo
	v_add_co_u32 v9, vcc_lo, s10, v3
	global_load_b64 v[5:6], v[5:6], off
	global_load_b64 v[7:8], v[7:8], off
	v_add_co_ci_u32_e32 v10, vcc_lo, s11, v4, vcc_lo
	v_cmp_le_i64_e32 vcc_lo, s[8:9], v[1:2]
	v_cmp_lt_u64_e64 s2, 0xffff, v[1:2]
	v_add_co_u32 v3, s3, v3, s19
	s_delay_alu instid0(VALU_DEP_1) | instskip(SKIP_1) | instid1(VALU_DEP_4)
	v_add_co_ci_u32_e64 v4, s3, 0, v4, s3
	v_add_co_u32 v1, s3, v1, s20
	s_or_b32 s2, vcc_lo, s2
	v_add_co_ci_u32_e64 v2, s3, 0, v2, s3
	s_and_b32 s2, exec_lo, s2
	s_delay_alu instid0(SALU_CYCLE_1)
	s_or_b32 s18, s2, s18
	s_waitcnt vmcnt(1)
	v_lshlrev_b32_e32 v11, 16, v5
	s_waitcnt vmcnt(0)
	v_lshlrev_b32_e32 v12, 16, v7
	v_and_b32_e32 v13, 0xffff0000, v5
	v_and_b32_e32 v14, 0xffff0000, v7
	v_alignbit_b32 v5, v6, v5, 16
	v_alignbit_b32 v7, v8, v7, 16
	v_and_b32_e32 v6, 0xffff0000, v6
	v_and_b32_e32 v8, 0xffff0000, v8
	v_fma_f32 v11, -v12, s16, v11
	v_fma_f32 v12, -v14, s16, v13
	v_and_b32_e32 v5, 0xffff0000, v5
	v_and_b32_e32 v7, 0xffff0000, v7
	v_fma_f32 v6, -v8, s16, v6
	v_bfe_u32 v8, v11, 16, 1
	v_bfe_u32 v13, v12, 16, 1
	v_cmp_o_f32_e64 s4, v12, v12
	v_fma_f32 v5, -v7, s16, v5
	v_bfe_u32 v7, v6, 16, 1
	v_add3_u32 v8, v11, v8, 0x7fff
	v_add3_u32 v13, v12, v13, 0x7fff
	v_cmp_o_f32_e64 s5, v11, v11
	v_bfe_u32 v14, v5, 16, 1
	v_add3_u32 v7, v6, v7, 0x7fff
	v_lshrrev_b32_e32 v8, 16, v8
	v_and_b32_e32 v13, 0xffff0000, v13
	s_delay_alu instid0(VALU_DEP_4) | instskip(NEXT) | instid1(VALU_DEP_4)
	v_add3_u32 v14, v5, v14, 0x7fff
	v_and_b32_e32 v7, 0xffff0000, v7
	s_delay_alu instid0(VALU_DEP_4) | instskip(NEXT) | instid1(VALU_DEP_4)
	v_cndmask_b32_e64 v8, 0x7fc0, v8, s5
	v_cndmask_b32_e64 v12, 0x7fc00000, v13, s4
	v_cmp_o_f32_e64 s4, v6, v6
	v_lshrrev_b32_e32 v11, 16, v14
	s_delay_alu instid0(VALU_DEP_2) | instskip(SKIP_2) | instid1(VALU_DEP_2)
	v_cndmask_b32_e64 v6, 0x7fc00000, v7, s4
	v_cmp_o_f32_e64 s4, v5, v5
	v_or_b32_e32 v7, v8, v12
	v_cndmask_b32_e64 v5, 0x7fc0, v11, s4
	s_delay_alu instid0(VALU_DEP_1) | instskip(NEXT) | instid1(VALU_DEP_3)
	v_or3_b32 v6, 0, v5, v6
	v_or3_b32 v5, v7, 0, 0
	global_store_b64 v[9:10], v[5:6], off
	s_and_not1_b32 exec_lo, exec_lo, s18
	s_cbranch_execnz .LBB46_3
.LBB46_4:
	s_or_b32 exec_lo, exec_lo, s17
	s_mov_b32 s2, 0
.LBB46_5:
	s_delay_alu instid0(SALU_CYCLE_1)
	s_and_not1_b32 vcc_lo, exec_lo, s2
	s_cbranch_vccnz .LBB46_25
; %bb.6:
	v_cmp_lt_i64_e64 s2, s[8:9], 1
	s_delay_alu instid0(VALU_DEP_1)
	s_and_b32 vcc_lo, exec_lo, s2
	s_cbranch_vccnz .LBB46_25
; %bb.7:
	s_load_b32 s0, s[0:1], 0xc5c
	v_dual_mov_b32 v2, 0 :: v_dual_lshlrev_b32 v1, 1, v0
	v_cmp_gt_u64_e64 s1, 0x10000, s[8:9]
	s_delay_alu instid0(VALU_DEP_2) | instskip(NEXT) | instid1(VALU_DEP_1)
	v_add_co_u32 v3, s2, s14, v1
	v_add_co_ci_u32_e64 v4, null, s15, 0, s2
	v_add_co_u32 v5, s2, s12, v1
	s_delay_alu instid0(VALU_DEP_1) | instskip(SKIP_1) | instid1(VALU_DEP_1)
	v_add_co_ci_u32_e64 v6, null, s13, 0, s2
	v_add_co_u32 v7, s2, s10, v1
	v_add_co_ci_u32_e64 v8, null, s11, 0, s2
	s_waitcnt lgkmcnt(0)
	s_and_b32 s0, s0, 0xffff
	s_and_b32 s1, s1, exec_lo
	v_mad_u64_u32 v[13:14], null, s0, 6, v[1:2]
	s_cselect_b32 s5, s9, 0
	s_cselect_b32 s4, s8, 0x10000
	s_lshl_b32 s17, s0, 2
	s_mul_i32 s2, s0, 3
	v_add_co_u32 v1, s3, s17, v1
	s_delay_alu instid0(VALU_DEP_2) | instskip(NEXT) | instid1(VALU_DEP_3)
	v_add_co_u32 v9, vcc_lo, s14, v13
	v_add_co_ci_u32_e32 v10, vcc_lo, s15, v14, vcc_lo
	v_add_co_u32 v11, vcc_lo, s12, v13
	v_add_co_ci_u32_e32 v12, vcc_lo, s13, v14, vcc_lo
	v_add_co_u32 v13, vcc_lo, s10, v13
	v_add_co_ci_u32_e64 v2, null, 0, 0, s3
	v_add_co_ci_u32_e32 v14, vcc_lo, s11, v14, vcc_lo
	v_add_co_u32 v15, s2, s2, v0
	v_add_co_u32 v17, vcc_lo, s14, v1
	v_add_co_ci_u32_e64 v16, null, 0, 0, s2
	v_add_co_u32 v21, s2, v0, s0
	v_add_co_ci_u32_e32 v18, vcc_lo, s15, v2, vcc_lo
	v_add_co_u32 v19, vcc_lo, s12, v1
	v_add_co_ci_u32_e32 v20, vcc_lo, s13, v2, vcc_lo
	v_add_co_u32 v22, vcc_lo, s10, v1
	v_lshlrev_b32_e32 v1, 1, v21
	s_lshl_b32 s1, s0, 1
	v_add_co_ci_u32_e32 v23, vcc_lo, s11, v2, vcc_lo
	v_add_co_u32 v25, s1, s1, v0
	s_delay_alu instid0(VALU_DEP_1) | instskip(SKIP_1) | instid1(VALU_DEP_1)
	v_add_co_ci_u32_e64 v26, null, 0, 0, s1
	v_add_co_u32 v27, s1, s14, v1
	v_add_co_ci_u32_e64 v28, null, s15, 0, s1
	v_add_co_u32 v29, s1, s12, v1
	s_delay_alu instid0(VALU_DEP_1)
	v_add_co_ci_u32_e64 v30, null, s13, 0, s1
	v_add_co_u32 v31, s1, s10, v1
	v_add_co_ci_u32_e64 v24, null, 0, 0, s2
	v_add_co_ci_u32_e64 v32, null, s11, 0, s1
	s_mov_b32 s12, 0
	s_lshl_b32 s13, s0, 3
	s_mov_b64 s[10:11], 0
	s_branch .LBB46_9
.LBB46_8:                               ;   in Loop: Header=BB46_9 Depth=1
	s_or_b32 exec_lo, exec_lo, s0
	v_add_co_u32 v3, vcc_lo, v3, s13
	v_add_co_ci_u32_e32 v4, vcc_lo, 0, v4, vcc_lo
	v_add_co_u32 v5, vcc_lo, v5, s13
	v_add_co_ci_u32_e32 v6, vcc_lo, 0, v6, vcc_lo
	;; [unrolled: 2-line block ×9, first 2 shown]
	s_add_u32 s10, s10, s17
	v_add_co_u32 v27, vcc_lo, v27, s13
	s_addc_u32 s11, s11, 0
	v_add_co_ci_u32_e32 v28, vcc_lo, 0, v28, vcc_lo
	v_cmp_ge_i64_e64 s0, s[10:11], s[8:9]
	v_cmp_lt_u64_e64 s1, 0xffff, s[10:11]
	v_add_co_u32 v29, vcc_lo, v29, s13
	v_add_co_ci_u32_e32 v30, vcc_lo, 0, v30, vcc_lo
	v_add_co_u32 v31, vcc_lo, v31, s13
	v_add_co_ci_u32_e32 v32, vcc_lo, 0, v32, vcc_lo
	s_or_b32 s0, s0, s1
	s_delay_alu instid0(SALU_CYCLE_1)
	s_and_b32 vcc_lo, exec_lo, s0
	s_cbranch_vccnz .LBB46_25
.LBB46_9:                               ; =>This Inner Loop Header: Depth=1
	v_add_co_u32 v1, s0, v0, s10
	s_delay_alu instid0(VALU_DEP_1) | instskip(SKIP_2) | instid1(VALU_DEP_2)
	v_add_co_ci_u32_e64 v2, null, 0, s11, s0
	s_waitcnt vmcnt(0)
	v_mov_b32_e32 v34, 0
	v_cmp_gt_u64_e32 vcc_lo, s[4:5], v[1:2]
	v_mov_b32_e32 v1, 0
	v_mov_b32_e32 v2, 0
	s_and_saveexec_b32 s1, vcc_lo
	s_cbranch_execz .LBB46_11
; %bb.10:                               ;   in Loop: Header=BB46_9 Depth=1
	v_add_co_u32 v1, s0, v3, s6
	s_delay_alu instid0(VALU_DEP_1) | instskip(SKIP_2) | instid1(VALU_DEP_1)
	v_add_co_ci_u32_e64 v2, s0, s7, v4, s0
	global_load_u16 v33, v[1:2], off
	v_add_co_u32 v1, s0, v5, s6
	v_add_co_ci_u32_e64 v2, s0, s7, v6, s0
	global_load_u16 v34, v[1:2], off
	s_waitcnt vmcnt(1)
	v_dual_mov_b32 v2, s12 :: v_dual_and_b32 v1, 0xffff, v33
.LBB46_11:                              ;   in Loop: Header=BB46_9 Depth=1
	s_or_b32 exec_lo, exec_lo, s1
	v_add_co_u32 v35, s0, v21, s10
	s_delay_alu instid0(VALU_DEP_1) | instskip(SKIP_1) | instid1(VALU_DEP_2)
	v_add_co_ci_u32_e64 v36, s0, s11, v24, s0
	v_mov_b32_e32 v33, 0
	v_cmp_gt_u64_e64 s0, s[4:5], v[35:36]
	v_mov_b32_e32 v35, 0
	s_delay_alu instid0(VALU_DEP_2)
	s_and_saveexec_b32 s2, s0
	s_cbranch_execz .LBB46_13
; %bb.12:                               ;   in Loop: Header=BB46_9 Depth=1
	v_add_co_u32 v35, s1, v27, s6
	s_delay_alu instid0(VALU_DEP_1) | instskip(SKIP_2) | instid1(VALU_DEP_1)
	v_add_co_ci_u32_e64 v36, s1, s7, v28, s1
	global_load_u16 v37, v[35:36], off
	v_add_co_u32 v35, s1, v29, s6
	v_add_co_ci_u32_e64 v36, s1, s7, v30, s1
	global_load_u16 v35, v[35:36], off
	s_waitcnt vmcnt(1)
	v_lshl_or_b32 v1, v37, 16, v1
.LBB46_13:                              ;   in Loop: Header=BB46_9 Depth=1
	s_or_b32 exec_lo, exec_lo, s2
	v_add_co_u32 v36, s1, v25, s10
	s_delay_alu instid0(VALU_DEP_1) | instskip(NEXT) | instid1(VALU_DEP_1)
	v_add_co_ci_u32_e64 v37, s1, s11, v26, s1
	v_cmp_gt_u64_e64 s1, s[4:5], v[36:37]
	s_delay_alu instid0(VALU_DEP_1)
	s_and_saveexec_b32 s3, s1
	s_cbranch_execz .LBB46_15
; %bb.14:                               ;   in Loop: Header=BB46_9 Depth=1
	v_add_co_u32 v36, s2, v17, s6
	s_delay_alu instid0(VALU_DEP_1) | instskip(SKIP_2) | instid1(VALU_DEP_1)
	v_add_co_ci_u32_e64 v37, s2, s7, v18, s2
	global_load_u16 v38, v[36:37], off
	v_add_co_u32 v36, s2, v19, s6
	v_add_co_ci_u32_e64 v37, s2, s7, v20, s2
	global_load_u16 v33, v[36:37], off
	s_waitcnt vmcnt(1)
	v_or_b32_e32 v2, v38, v2
.LBB46_15:                              ;   in Loop: Header=BB46_9 Depth=1
	s_or_b32 exec_lo, exec_lo, s3
	v_add_co_u32 v36, s2, v15, s10
	s_delay_alu instid0(VALU_DEP_1) | instskip(NEXT) | instid1(VALU_DEP_1)
	v_add_co_ci_u32_e64 v37, s2, s11, v16, s2
	v_cmp_gt_u64_e64 s2, s[4:5], v[36:37]
	v_mov_b32_e32 v36, 0
	s_delay_alu instid0(VALU_DEP_2)
	s_and_saveexec_b32 s14, s2
	s_cbranch_execnz .LBB46_20
; %bb.16:                               ;   in Loop: Header=BB46_9 Depth=1
	s_or_b32 exec_lo, exec_lo, s14
	s_and_saveexec_b32 s3, vcc_lo
	s_cbranch_execnz .LBB46_21
.LBB46_17:                              ;   in Loop: Header=BB46_9 Depth=1
	s_or_b32 exec_lo, exec_lo, s3
	s_and_saveexec_b32 s3, s0
	s_cbranch_execnz .LBB46_22
.LBB46_18:                              ;   in Loop: Header=BB46_9 Depth=1
	s_or_b32 exec_lo, exec_lo, s3
	s_and_saveexec_b32 s0, s1
	s_cbranch_execnz .LBB46_23
.LBB46_19:                              ;   in Loop: Header=BB46_9 Depth=1
	s_or_b32 exec_lo, exec_lo, s0
	s_and_saveexec_b32 s0, s2
	s_cbranch_execz .LBB46_8
	s_branch .LBB46_24
.LBB46_20:                              ;   in Loop: Header=BB46_9 Depth=1
	v_add_co_u32 v36, s3, v9, s6
	s_delay_alu instid0(VALU_DEP_1) | instskip(SKIP_3) | instid1(VALU_DEP_1)
	v_add_co_ci_u32_e64 v37, s3, s7, v10, s3
	v_mov_b32_e32 v38, 0
	global_load_d16_hi_b16 v38, v[36:37], off
	v_add_co_u32 v36, s3, v11, s6
	v_add_co_ci_u32_e64 v37, s3, s7, v12, s3
	global_load_u16 v36, v[36:37], off
	s_waitcnt vmcnt(1)
	v_or_b32_e32 v2, v38, v2
	s_or_b32 exec_lo, exec_lo, s14
	s_and_saveexec_b32 s3, vcc_lo
	s_cbranch_execz .LBB46_17
.LBB46_21:                              ;   in Loop: Header=BB46_9 Depth=1
	v_lshlrev_b32_e32 v37, 16, v1
	s_waitcnt vmcnt(0)
	v_lshlrev_b32_e32 v34, 16, v34
	s_delay_alu instid0(VALU_DEP_1) | instskip(NEXT) | instid1(VALU_DEP_1)
	v_fma_f32 v34, -v34, s16, v37
	v_bfe_u32 v37, v34, 16, 1
	s_delay_alu instid0(VALU_DEP_1) | instskip(NEXT) | instid1(VALU_DEP_1)
	v_add3_u32 v37, v34, v37, 0x7fff
	v_lshrrev_b32_e32 v39, 16, v37
	v_add_co_u32 v37, vcc_lo, v7, s6
	v_add_co_ci_u32_e32 v38, vcc_lo, s7, v8, vcc_lo
	v_cmp_o_f32_e32 vcc_lo, v34, v34
	s_delay_alu instid0(VALU_DEP_4)
	v_cndmask_b32_e32 v34, 0x7fc0, v39, vcc_lo
	global_store_b16 v[37:38], v34, off
	s_or_b32 exec_lo, exec_lo, s3
	s_and_saveexec_b32 s3, s0
	s_cbranch_execz .LBB46_18
.LBB46_22:                              ;   in Loop: Header=BB46_9 Depth=1
	s_waitcnt vmcnt(0)
	v_and_b32_e32 v34, 0xffff0000, v1
	v_lshlrev_b32_e32 v35, 16, v35
	s_delay_alu instid0(VALU_DEP_1) | instskip(NEXT) | instid1(VALU_DEP_1)
	v_fma_f32 v34, -v35, s16, v34
	v_bfe_u32 v35, v34, 16, 1
	v_cmp_o_f32_e32 vcc_lo, v34, v34
	s_delay_alu instid0(VALU_DEP_2) | instskip(NEXT) | instid1(VALU_DEP_1)
	v_add3_u32 v35, v34, v35, 0x7fff
	v_lshrrev_b32_e32 v35, 16, v35
	s_delay_alu instid0(VALU_DEP_1)
	v_cndmask_b32_e32 v37, 0x7fc0, v35, vcc_lo
	v_add_co_u32 v34, vcc_lo, v31, s6
	v_add_co_ci_u32_e32 v35, vcc_lo, s7, v32, vcc_lo
	global_store_b16 v[34:35], v37, off
	s_or_b32 exec_lo, exec_lo, s3
	s_and_saveexec_b32 s0, s1
	s_cbranch_execz .LBB46_19
.LBB46_23:                              ;   in Loop: Header=BB46_9 Depth=1
	v_alignbit_b32 v1, v2, v1, 16
	s_waitcnt vmcnt(0)
	v_lshlrev_b32_e32 v33, 16, v33
	s_delay_alu instid0(VALU_DEP_2) | instskip(NEXT) | instid1(VALU_DEP_1)
	v_and_b32_e32 v1, 0xffff0000, v1
	v_fma_f32 v1, -v33, s16, v1
	s_delay_alu instid0(VALU_DEP_1) | instskip(SKIP_1) | instid1(VALU_DEP_2)
	v_bfe_u32 v33, v1, 16, 1
	v_cmp_o_f32_e32 vcc_lo, v1, v1
	v_add3_u32 v33, v1, v33, 0x7fff
	s_delay_alu instid0(VALU_DEP_1) | instskip(NEXT) | instid1(VALU_DEP_1)
	v_lshrrev_b32_e32 v33, 16, v33
	v_cndmask_b32_e32 v1, 0x7fc0, v33, vcc_lo
	v_add_co_u32 v33, vcc_lo, v22, s6
	v_add_co_ci_u32_e32 v34, vcc_lo, s7, v23, vcc_lo
	global_store_b16 v[33:34], v1, off
	s_or_b32 exec_lo, exec_lo, s0
	s_and_saveexec_b32 s0, s2
	s_cbranch_execz .LBB46_8
.LBB46_24:                              ;   in Loop: Header=BB46_9 Depth=1
	v_and_b32_e32 v1, 0xffff0000, v2
	s_waitcnt vmcnt(0)
	v_lshlrev_b32_e32 v2, 16, v36
	s_delay_alu instid0(VALU_DEP_1) | instskip(NEXT) | instid1(VALU_DEP_1)
	v_fma_f32 v1, -v2, s16, v1
	v_bfe_u32 v2, v1, 16, 1
	v_cmp_o_f32_e32 vcc_lo, v1, v1
	s_delay_alu instid0(VALU_DEP_2) | instskip(NEXT) | instid1(VALU_DEP_1)
	v_add3_u32 v2, v1, v2, 0x7fff
	v_lshrrev_b32_e32 v2, 16, v2
	s_delay_alu instid0(VALU_DEP_1)
	v_cndmask_b32_e32 v33, 0x7fc0, v2, vcc_lo
	v_add_co_u32 v1, vcc_lo, v13, s6
	v_add_co_ci_u32_e32 v2, vcc_lo, s7, v14, vcc_lo
	global_store_b16 v[1:2], v33, off
	s_branch .LBB46_8
.LBB46_25:
	s_nop 0
	s_sendmsg sendmsg(MSG_DEALLOC_VGPRS)
	s_endpgm
	.section	.rodata,"a",@progbits
	.p2align	6, 0x0
	.amdhsa_kernel _ZN2at6native12_GLOBAL__N_125multi_tensor_apply_kernelINS1_18TensorListMetadataILi3EEENS1_24BinaryOpListAlphaFunctorIN3c108BFloat16ELi3ELi2ELi2EEEJSt5minusIfEfEEEvT_T0_DpT1_
		.amdhsa_group_segment_fixed_size 0
		.amdhsa_private_segment_fixed_size 0
		.amdhsa_kernarg_size 3408
		.amdhsa_user_sgpr_count 15
		.amdhsa_user_sgpr_dispatch_ptr 0
		.amdhsa_user_sgpr_queue_ptr 0
		.amdhsa_user_sgpr_kernarg_segment_ptr 1
		.amdhsa_user_sgpr_dispatch_id 0
		.amdhsa_user_sgpr_private_segment_size 0
		.amdhsa_wavefront_size32 1
		.amdhsa_uses_dynamic_stack 0
		.amdhsa_enable_private_segment 0
		.amdhsa_system_sgpr_workgroup_id_x 1
		.amdhsa_system_sgpr_workgroup_id_y 0
		.amdhsa_system_sgpr_workgroup_id_z 0
		.amdhsa_system_sgpr_workgroup_info 0
		.amdhsa_system_vgpr_workitem_id 0
		.amdhsa_next_free_vgpr 40
		.amdhsa_next_free_sgpr 22
		.amdhsa_reserve_vcc 1
		.amdhsa_float_round_mode_32 0
		.amdhsa_float_round_mode_16_64 0
		.amdhsa_float_denorm_mode_32 3
		.amdhsa_float_denorm_mode_16_64 3
		.amdhsa_dx10_clamp 1
		.amdhsa_ieee_mode 1
		.amdhsa_fp16_overflow 0
		.amdhsa_workgroup_processor_mode 1
		.amdhsa_memory_ordered 1
		.amdhsa_forward_progress 0
		.amdhsa_shared_vgpr_count 0
		.amdhsa_exception_fp_ieee_invalid_op 0
		.amdhsa_exception_fp_denorm_src 0
		.amdhsa_exception_fp_ieee_div_zero 0
		.amdhsa_exception_fp_ieee_overflow 0
		.amdhsa_exception_fp_ieee_underflow 0
		.amdhsa_exception_fp_ieee_inexact 0
		.amdhsa_exception_int_div_zero 0
	.end_amdhsa_kernel
	.section	.text._ZN2at6native12_GLOBAL__N_125multi_tensor_apply_kernelINS1_18TensorListMetadataILi3EEENS1_24BinaryOpListAlphaFunctorIN3c108BFloat16ELi3ELi2ELi2EEEJSt5minusIfEfEEEvT_T0_DpT1_,"axG",@progbits,_ZN2at6native12_GLOBAL__N_125multi_tensor_apply_kernelINS1_18TensorListMetadataILi3EEENS1_24BinaryOpListAlphaFunctorIN3c108BFloat16ELi3ELi2ELi2EEEJSt5minusIfEfEEEvT_T0_DpT1_,comdat
.Lfunc_end46:
	.size	_ZN2at6native12_GLOBAL__N_125multi_tensor_apply_kernelINS1_18TensorListMetadataILi3EEENS1_24BinaryOpListAlphaFunctorIN3c108BFloat16ELi3ELi2ELi2EEEJSt5minusIfEfEEEvT_T0_DpT1_, .Lfunc_end46-_ZN2at6native12_GLOBAL__N_125multi_tensor_apply_kernelINS1_18TensorListMetadataILi3EEENS1_24BinaryOpListAlphaFunctorIN3c108BFloat16ELi3ELi2ELi2EEEJSt5minusIfEfEEEvT_T0_DpT1_
                                        ; -- End function
	.section	.AMDGPU.csdata,"",@progbits
; Kernel info:
; codeLenInByte = 2292
; NumSgprs: 24
; NumVgprs: 40
; ScratchSize: 0
; MemoryBound: 0
; FloatMode: 240
; IeeeMode: 1
; LDSByteSize: 0 bytes/workgroup (compile time only)
; SGPRBlocks: 2
; VGPRBlocks: 4
; NumSGPRsForWavesPerEU: 24
; NumVGPRsForWavesPerEU: 40
; Occupancy: 16
; WaveLimiterHint : 0
; COMPUTE_PGM_RSRC2:SCRATCH_EN: 0
; COMPUTE_PGM_RSRC2:USER_SGPR: 15
; COMPUTE_PGM_RSRC2:TRAP_HANDLER: 0
; COMPUTE_PGM_RSRC2:TGID_X_EN: 1
; COMPUTE_PGM_RSRC2:TGID_Y_EN: 0
; COMPUTE_PGM_RSRC2:TGID_Z_EN: 0
; COMPUTE_PGM_RSRC2:TIDIG_COMP_CNT: 0
	.section	.text._ZN2at6native12_GLOBAL__N_125multi_tensor_apply_kernelINS1_18TensorListMetadataILi3EEENS1_24BinaryOpListAlphaFunctorIN3c104HalfELi3ELi2ELi2EEEJSt5minusIfEfEEEvT_T0_DpT1_,"axG",@progbits,_ZN2at6native12_GLOBAL__N_125multi_tensor_apply_kernelINS1_18TensorListMetadataILi3EEENS1_24BinaryOpListAlphaFunctorIN3c104HalfELi3ELi2ELi2EEEJSt5minusIfEfEEEvT_T0_DpT1_,comdat
	.globl	_ZN2at6native12_GLOBAL__N_125multi_tensor_apply_kernelINS1_18TensorListMetadataILi3EEENS1_24BinaryOpListAlphaFunctorIN3c104HalfELi3ELi2ELi2EEEJSt5minusIfEfEEEvT_T0_DpT1_ ; -- Begin function _ZN2at6native12_GLOBAL__N_125multi_tensor_apply_kernelINS1_18TensorListMetadataILi3EEENS1_24BinaryOpListAlphaFunctorIN3c104HalfELi3ELi2ELi2EEEJSt5minusIfEfEEEvT_T0_DpT1_
	.p2align	8
	.type	_ZN2at6native12_GLOBAL__N_125multi_tensor_apply_kernelINS1_18TensorListMetadataILi3EEENS1_24BinaryOpListAlphaFunctorIN3c104HalfELi3ELi2ELi2EEEJSt5minusIfEfEEEvT_T0_DpT1_,@function
_ZN2at6native12_GLOBAL__N_125multi_tensor_apply_kernelINS1_18TensorListMetadataILi3EEENS1_24BinaryOpListAlphaFunctorIN3c104HalfELi3ELi2ELi2EEEJSt5minusIfEfEEEvT_T0_DpT1_: ; @_ZN2at6native12_GLOBAL__N_125multi_tensor_apply_kernelINS1_18TensorListMetadataILi3EEENS1_24BinaryOpListAlphaFunctorIN3c104HalfELi3ELi2ELi2EEEJSt5minusIfEfEEEvT_T0_DpT1_
; %bb.0:
	v_mov_b32_e32 v1, s15
	s_add_u32 s2, s0, s15
	s_mul_hi_u32 s3, s15, 3
	s_mul_i32 s15, s15, 3
	s_addc_u32 s4, s1, 0
	global_load_u8 v1, v1, s[0:1] offset:1536
	s_load_b32 s16, s[0:1], 0xc4c
	s_add_u32 s2, s2, s15
	s_addc_u32 s3, s4, s3
	s_mov_b32 s25, 0
	s_load_b32 s2, s[2:3], 0x740
	s_mov_b32 s27, s25
	s_waitcnt vmcnt(0)
	v_readfirstlane_b32 s3, v1
	s_delay_alu instid0(VALU_DEP_1)
	s_lshl_b32 s3, s3, 3
	s_clause 0x3
	s_load_b64 s[10:11], s[0:1], s3 offset:0x0
	s_load_b64 s[12:13], s[0:1], s3 offset:0x180
	;; [unrolled: 1-line block ×4, first 2 shown]
	s_waitcnt lgkmcnt(0)
	s_ashr_i32 s3, s2, 31
	s_delay_alu instid0(SALU_CYCLE_1) | instskip(NEXT) | instid1(SALU_CYCLE_1)
	s_lshl_b64 s[4:5], s[2:3], 17
	s_add_u32 s8, s10, s4
	s_addc_u32 s9, s11, s5
	s_and_b32 s24, s8, 7
	s_add_u32 s17, s12, s4
	s_addc_u32 s18, s13, s5
	s_add_u32 s19, s14, s4
	s_addc_u32 s20, s15, s5
	s_or_b32 s6, s19, s17
	s_delay_alu instid0(SALU_CYCLE_1) | instskip(NEXT) | instid1(SALU_CYCLE_1)
	s_and_b32 s6, s6, 7
	s_cmp_lg_u32 s6, 0
	s_cselect_b32 s21, -1, 0
	s_lshl_b64 s[2:3], s[2:3], 16
	s_delay_alu instid0(SALU_CYCLE_1) | instskip(SKIP_2) | instid1(SALU_CYCLE_1)
	s_sub_u32 s6, s22, s2
	s_subb_u32 s7, s23, s3
	s_and_b32 s26, s22, 3
	s_or_b64 s[2:3], s[24:25], s[26:27]
	s_delay_alu instid0(SALU_CYCLE_1) | instskip(SKIP_1) | instid1(SALU_CYCLE_1)
	s_cmp_lg_u64 s[2:3], 0
	s_cselect_b32 s2, -1, 0
	s_or_b32 s2, s21, s2
	s_delay_alu instid0(SALU_CYCLE_1)
	s_and_not1_b32 vcc_lo, exec_lo, s2
	s_mov_b32 s2, -1
	s_cbranch_vccz .LBB47_5
; %bb.1:
	v_dual_mov_b32 v2, 0 :: v_dual_lshlrev_b32 v1, 2, v0
	s_mov_b32 s21, exec_lo
	s_delay_alu instid0(VALU_DEP_1)
	v_cmpx_gt_i64_e64 s[6:7], v[1:2]
	s_cbranch_execz .LBB47_4
; %bb.2:
	s_load_b32 s2, s[0:1], 0xc5c
	v_lshlrev_b32_e32 v3, 3, v0
	s_mov_b32 s22, 0
	s_waitcnt lgkmcnt(0)
	s_and_b32 s2, s2, 0xffff
	s_delay_alu instid0(SALU_CYCLE_1)
	v_add_lshl_u32 v1, v0, s2, 2
	s_lshl_b32 s23, s2, 2
	s_lshl_b32 s24, s2, 3
	s_set_inst_prefetch_distance 0x1
	.p2align	6
.LBB47_3:                               ; =>This Inner Loop Header: Depth=1
	v_add_co_u32 v4, s2, s8, v3
	s_delay_alu instid0(VALU_DEP_1) | instskip(SKIP_1) | instid1(VALU_DEP_1)
	v_add_co_ci_u32_e64 v5, null, s9, 0, s2
	v_add_co_u32 v6, s2, s17, v3
	v_add_co_ci_u32_e64 v7, null, s18, 0, s2
	global_load_b64 v[4:5], v[4:5], off
	global_load_b64 v[6:7], v[6:7], off
	v_cmp_le_i64_e32 vcc_lo, s[6:7], v[1:2]
	v_cmp_lt_u64_e64 s2, 0xffff, v[1:2]
	v_add_co_u32 v8, s3, s19, v3
	s_delay_alu instid0(VALU_DEP_1) | instskip(SKIP_1) | instid1(VALU_DEP_4)
	v_add_co_ci_u32_e64 v9, null, s20, 0, s3
	v_add_co_u32 v1, s3, v1, s23
	s_or_b32 s2, vcc_lo, s2
	s_add_u32 s8, s8, s24
	s_addc_u32 s9, s9, 0
	s_add_u32 s19, s19, s24
	s_addc_u32 s20, s20, 0
	s_add_u32 s17, s17, s24
	v_add_co_ci_u32_e64 v2, s3, 0, v2, s3
	s_addc_u32 s18, s18, 0
	s_and_b32 s2, exec_lo, s2
	s_delay_alu instid0(SALU_CYCLE_1) | instskip(SKIP_3) | instid1(VALU_DEP_2)
	s_or_b32 s22, s2, s22
	s_waitcnt vmcnt(0)
	v_fma_mixlo_f16 v11, -v7, s16, v5 op_sel_hi:[1,0,1]
	v_fma_mixlo_f16 v10, -v6, s16, v4 op_sel_hi:[1,0,1]
	v_fma_mixhi_f16 v11, -v7, s16, v5 op_sel:[1,0,1] op_sel_hi:[1,0,1]
	s_delay_alu instid0(VALU_DEP_2)
	v_fma_mixhi_f16 v10, -v6, s16, v4 op_sel:[1,0,1] op_sel_hi:[1,0,1]
	global_store_b64 v[8:9], v[10:11], off
	s_and_not1_b32 exec_lo, exec_lo, s22
	s_cbranch_execnz .LBB47_3
.LBB47_4:
	s_set_inst_prefetch_distance 0x2
	s_or_b32 exec_lo, exec_lo, s21
	s_mov_b32 s2, 0
.LBB47_5:
	s_delay_alu instid0(SALU_CYCLE_1)
	s_and_not1_b32 vcc_lo, exec_lo, s2
	s_cbranch_vccnz .LBB47_25
; %bb.6:
	v_cmp_lt_i64_e64 s2, s[6:7], 1
	s_delay_alu instid0(VALU_DEP_1)
	s_and_b32 vcc_lo, exec_lo, s2
	s_cbranch_vccnz .LBB47_25
; %bb.7:
	s_load_b32 s0, s[0:1], 0xc5c
	v_dual_mov_b32 v14, 0 :: v_dual_lshlrev_b32 v13, 1, v0
	v_cmp_gt_u64_e64 s1, 0x10000, s[6:7]
	s_delay_alu instid0(VALU_DEP_2) | instskip(NEXT) | instid1(VALU_DEP_1)
	v_add_co_u32 v1, s2, s10, v13
	v_add_co_ci_u32_e64 v2, null, s11, 0, s2
	v_add_co_u32 v3, s2, s12, v13
	s_delay_alu instid0(VALU_DEP_1) | instskip(SKIP_1) | instid1(VALU_DEP_1)
	v_add_co_ci_u32_e64 v4, null, s13, 0, s2
	v_add_co_u32 v5, s2, s14, v13
	v_add_co_ci_u32_e64 v6, null, s15, 0, s2
	s_waitcnt lgkmcnt(0)
	s_and_b32 s0, s0, 0xffff
	s_and_b32 s1, s1, exec_lo
	v_mad_u64_u32 v[11:12], null, s0, 6, v[13:14]
	s_cselect_b32 s9, s7, 0
	s_cselect_b32 s8, s6, 0x10000
	s_mul_i32 s2, s0, 3
	s_lshl_b32 s17, s0, 2
	s_lshl_b32 s1, s0, 1
	v_add_co_u32 v20, s3, s17, v13
	v_add_co_u32 v13, s2, s2, v0
	v_add_co_u32 v7, vcc_lo, s10, v11
	v_add_co_ci_u32_e64 v14, null, 0, 0, s2
	v_add_co_u32 v19, s2, v0, s0
	v_add_co_ci_u32_e32 v8, vcc_lo, s11, v12, vcc_lo
	v_add_co_u32 v9, vcc_lo, s12, v11
	v_add_co_ci_u32_e32 v10, vcc_lo, s13, v12, vcc_lo
	v_add_co_u32 v11, vcc_lo, s14, v11
	v_add_co_ci_u32_e64 v21, null, 0, 0, s3
	v_lshlrev_b32_e32 v29, 1, v19
	v_add_co_ci_u32_e32 v12, vcc_lo, s15, v12, vcc_lo
	v_add_co_u32 v15, vcc_lo, s10, v20
	v_add_co_u32 v23, s1, s1, v0
	v_add_co_ci_u32_e32 v16, vcc_lo, s11, v21, vcc_lo
	v_add_co_ci_u32_e64 v24, null, 0, 0, s1
	v_add_co_u32 v25, s1, s10, v29
	v_add_co_u32 v17, vcc_lo, s12, v20
	v_add_co_ci_u32_e64 v26, null, s11, 0, s1
	v_add_co_u32 v27, s1, s12, v29
	v_add_co_ci_u32_e32 v18, vcc_lo, s13, v21, vcc_lo
	v_add_co_u32 v20, vcc_lo, s14, v20
	v_add_co_ci_u32_e64 v28, null, s13, 0, s1
	v_add_co_u32 v29, s1, s14, v29
	v_add_co_ci_u32_e32 v21, vcc_lo, s15, v21, vcc_lo
	v_add_co_ci_u32_e64 v22, null, 0, 0, s2
	v_add_co_ci_u32_e64 v30, null, s15, 0, s1
	s_lshl_b32 s12, s0, 3
	s_mov_b64 s[10:11], 0
	s_branch .LBB47_9
.LBB47_8:                               ;   in Loop: Header=BB47_9 Depth=1
	s_or_b32 exec_lo, exec_lo, s0
	v_add_co_u32 v1, vcc_lo, v1, s12
	v_add_co_ci_u32_e32 v2, vcc_lo, 0, v2, vcc_lo
	v_add_co_u32 v3, vcc_lo, v3, s12
	v_add_co_ci_u32_e32 v4, vcc_lo, 0, v4, vcc_lo
	;; [unrolled: 2-line block ×9, first 2 shown]
	s_add_u32 s10, s10, s17
	v_add_co_u32 v25, vcc_lo, v25, s12
	s_addc_u32 s11, s11, 0
	v_add_co_ci_u32_e32 v26, vcc_lo, 0, v26, vcc_lo
	v_cmp_ge_i64_e64 s0, s[10:11], s[6:7]
	v_cmp_lt_u64_e64 s1, 0xffff, s[10:11]
	v_add_co_u32 v27, vcc_lo, v27, s12
	v_add_co_ci_u32_e32 v28, vcc_lo, 0, v28, vcc_lo
	v_add_co_u32 v29, vcc_lo, v29, s12
	v_add_co_ci_u32_e32 v30, vcc_lo, 0, v30, vcc_lo
	s_or_b32 s0, s0, s1
	s_delay_alu instid0(SALU_CYCLE_1)
	s_and_b32 vcc_lo, exec_lo, s0
	s_cbranch_vccnz .LBB47_25
.LBB47_9:                               ; =>This Inner Loop Header: Depth=1
	s_waitcnt vmcnt(1)
	v_add_co_u32 v31, s0, v0, s10
	s_waitcnt vmcnt(0)
	v_add_co_ci_u32_e64 v32, null, 0, s11, s0
	s_delay_alu instid0(VALU_DEP_1)
	v_cmp_gt_u64_e32 vcc_lo, s[8:9], v[31:32]
	v_dual_mov_b32 v31, 0 :: v_dual_mov_b32 v32, 0
	s_and_saveexec_b32 s1, vcc_lo
	s_cbranch_execz .LBB47_11
; %bb.10:                               ;   in Loop: Header=BB47_9 Depth=1
	v_add_co_u32 v31, s0, v1, s4
	s_delay_alu instid0(VALU_DEP_1) | instskip(SKIP_1) | instid1(VALU_DEP_1)
	v_add_co_ci_u32_e64 v32, s0, s5, v2, s0
	v_add_co_u32 v33, s0, v3, s4
	v_add_co_ci_u32_e64 v34, s0, s5, v4, s0
	global_load_u16 v31, v[31:32], off
	global_load_u16 v32, v[33:34], off
.LBB47_11:                              ;   in Loop: Header=BB47_9 Depth=1
	s_or_b32 exec_lo, exec_lo, s1
	v_add_co_u32 v34, s0, v19, s10
	s_delay_alu instid0(VALU_DEP_1) | instskip(SKIP_1) | instid1(VALU_DEP_2)
	v_add_co_ci_u32_e64 v35, s0, s11, v22, s0
	v_mov_b32_e32 v33, 0
	v_cmp_gt_u64_e64 s0, s[8:9], v[34:35]
	v_dual_mov_b32 v34, 0 :: v_dual_mov_b32 v35, 0
	s_delay_alu instid0(VALU_DEP_2)
	s_and_saveexec_b32 s2, s0
	s_cbranch_execz .LBB47_13
; %bb.12:                               ;   in Loop: Header=BB47_9 Depth=1
	v_add_co_u32 v34, s1, v25, s4
	s_delay_alu instid0(VALU_DEP_1) | instskip(SKIP_1) | instid1(VALU_DEP_1)
	v_add_co_ci_u32_e64 v35, s1, s5, v26, s1
	v_add_co_u32 v36, s1, v27, s4
	v_add_co_ci_u32_e64 v37, s1, s5, v28, s1
	global_load_u16 v34, v[34:35], off
	global_load_u16 v35, v[36:37], off
.LBB47_13:                              ;   in Loop: Header=BB47_9 Depth=1
	s_or_b32 exec_lo, exec_lo, s2
	v_add_co_u32 v36, s1, v23, s10
	s_delay_alu instid0(VALU_DEP_1) | instskip(NEXT) | instid1(VALU_DEP_1)
	v_add_co_ci_u32_e64 v37, s1, s11, v24, s1
	v_cmp_gt_u64_e64 s1, s[8:9], v[36:37]
	v_mov_b32_e32 v36, 0
	s_delay_alu instid0(VALU_DEP_2)
	s_and_saveexec_b32 s3, s1
	s_cbranch_execz .LBB47_15
; %bb.14:                               ;   in Loop: Header=BB47_9 Depth=1
	v_add_co_u32 v36, s2, v15, s4
	s_delay_alu instid0(VALU_DEP_1) | instskip(SKIP_1) | instid1(VALU_DEP_1)
	v_add_co_ci_u32_e64 v37, s2, s5, v16, s2
	v_add_co_u32 v38, s2, v17, s4
	v_add_co_ci_u32_e64 v39, s2, s5, v18, s2
	global_load_u16 v33, v[36:37], off
	global_load_u16 v36, v[38:39], off
.LBB47_15:                              ;   in Loop: Header=BB47_9 Depth=1
	s_or_b32 exec_lo, exec_lo, s3
	v_add_co_u32 v37, s2, v13, s10
	s_delay_alu instid0(VALU_DEP_1) | instskip(NEXT) | instid1(VALU_DEP_1)
	v_add_co_ci_u32_e64 v38, s2, s11, v14, s2
	v_cmp_gt_u64_e64 s2, s[8:9], v[37:38]
	v_dual_mov_b32 v37, 0 :: v_dual_mov_b32 v38, 0
	s_delay_alu instid0(VALU_DEP_2)
	s_and_saveexec_b32 s13, s2
	s_cbranch_execnz .LBB47_20
; %bb.16:                               ;   in Loop: Header=BB47_9 Depth=1
	s_or_b32 exec_lo, exec_lo, s13
	s_and_saveexec_b32 s3, vcc_lo
	s_cbranch_execnz .LBB47_21
.LBB47_17:                              ;   in Loop: Header=BB47_9 Depth=1
	s_or_b32 exec_lo, exec_lo, s3
	s_and_saveexec_b32 s3, s0
	s_cbranch_execnz .LBB47_22
.LBB47_18:                              ;   in Loop: Header=BB47_9 Depth=1
	s_or_b32 exec_lo, exec_lo, s3
	s_and_saveexec_b32 s0, s1
	s_cbranch_execnz .LBB47_23
.LBB47_19:                              ;   in Loop: Header=BB47_9 Depth=1
	s_or_b32 exec_lo, exec_lo, s0
	s_and_saveexec_b32 s0, s2
	s_cbranch_execz .LBB47_8
	s_branch .LBB47_24
.LBB47_20:                              ;   in Loop: Header=BB47_9 Depth=1
	v_add_co_u32 v37, s3, v7, s4
	s_delay_alu instid0(VALU_DEP_1) | instskip(SKIP_1) | instid1(VALU_DEP_1)
	v_add_co_ci_u32_e64 v38, s3, s5, v8, s3
	v_add_co_u32 v39, s3, v9, s4
	v_add_co_ci_u32_e64 v40, s3, s5, v10, s3
	global_load_u16 v37, v[37:38], off
	global_load_u16 v38, v[39:40], off
	s_or_b32 exec_lo, exec_lo, s13
	s_and_saveexec_b32 s3, vcc_lo
	s_cbranch_execz .LBB47_17
.LBB47_21:                              ;   in Loop: Header=BB47_9 Depth=1
	v_add_co_u32 v39, vcc_lo, v5, s4
	v_add_co_ci_u32_e32 v40, vcc_lo, s5, v6, vcc_lo
	s_waitcnt vmcnt(0)
	v_fma_mixlo_f16 v31, -v32, s16, v31 op_sel_hi:[1,0,1]
	global_store_b16 v[39:40], v31, off
	s_or_b32 exec_lo, exec_lo, s3
	s_and_saveexec_b32 s3, s0
	s_cbranch_execz .LBB47_18
.LBB47_22:                              ;   in Loop: Header=BB47_9 Depth=1
	s_waitcnt vmcnt(1)
	v_add_co_u32 v31, vcc_lo, v29, s4
	s_waitcnt vmcnt(0)
	v_fma_mixlo_f16 v34, -v35, s16, v34 op_sel_hi:[1,0,1]
	v_add_co_ci_u32_e32 v32, vcc_lo, s5, v30, vcc_lo
	global_store_b16 v[31:32], v34, off
	s_or_b32 exec_lo, exec_lo, s3
	s_and_saveexec_b32 s0, s1
	s_cbranch_execz .LBB47_19
.LBB47_23:                              ;   in Loop: Header=BB47_9 Depth=1
	s_waitcnt vmcnt(1)
	v_add_co_u32 v31, vcc_lo, v20, s4
	s_waitcnt vmcnt(0)
	v_fma_mixlo_f16 v33, -v36, s16, v33 op_sel_hi:[1,0,1]
	v_add_co_ci_u32_e32 v32, vcc_lo, s5, v21, vcc_lo
	global_store_b16 v[31:32], v33, off
	s_or_b32 exec_lo, exec_lo, s0
	s_and_saveexec_b32 s0, s2
	s_cbranch_execz .LBB47_8
.LBB47_24:                              ;   in Loop: Header=BB47_9 Depth=1
	s_waitcnt vmcnt(1)
	v_add_co_u32 v31, vcc_lo, v11, s4
	s_waitcnt vmcnt(0)
	v_fma_mixlo_f16 v33, -v38, s16, v37 op_sel_hi:[1,0,1]
	v_add_co_ci_u32_e32 v32, vcc_lo, s5, v12, vcc_lo
	global_store_b16 v[31:32], v33, off
	s_branch .LBB47_8
.LBB47_25:
	s_nop 0
	s_sendmsg sendmsg(MSG_DEALLOC_VGPRS)
	s_endpgm
	.section	.rodata,"a",@progbits
	.p2align	6, 0x0
	.amdhsa_kernel _ZN2at6native12_GLOBAL__N_125multi_tensor_apply_kernelINS1_18TensorListMetadataILi3EEENS1_24BinaryOpListAlphaFunctorIN3c104HalfELi3ELi2ELi2EEEJSt5minusIfEfEEEvT_T0_DpT1_
		.amdhsa_group_segment_fixed_size 0
		.amdhsa_private_segment_fixed_size 0
		.amdhsa_kernarg_size 3408
		.amdhsa_user_sgpr_count 15
		.amdhsa_user_sgpr_dispatch_ptr 0
		.amdhsa_user_sgpr_queue_ptr 0
		.amdhsa_user_sgpr_kernarg_segment_ptr 1
		.amdhsa_user_sgpr_dispatch_id 0
		.amdhsa_user_sgpr_private_segment_size 0
		.amdhsa_wavefront_size32 1
		.amdhsa_uses_dynamic_stack 0
		.amdhsa_enable_private_segment 0
		.amdhsa_system_sgpr_workgroup_id_x 1
		.amdhsa_system_sgpr_workgroup_id_y 0
		.amdhsa_system_sgpr_workgroup_id_z 0
		.amdhsa_system_sgpr_workgroup_info 0
		.amdhsa_system_vgpr_workitem_id 0
		.amdhsa_next_free_vgpr 41
		.amdhsa_next_free_sgpr 28
		.amdhsa_reserve_vcc 1
		.amdhsa_float_round_mode_32 0
		.amdhsa_float_round_mode_16_64 0
		.amdhsa_float_denorm_mode_32 3
		.amdhsa_float_denorm_mode_16_64 3
		.amdhsa_dx10_clamp 1
		.amdhsa_ieee_mode 1
		.amdhsa_fp16_overflow 0
		.amdhsa_workgroup_processor_mode 1
		.amdhsa_memory_ordered 1
		.amdhsa_forward_progress 0
		.amdhsa_shared_vgpr_count 0
		.amdhsa_exception_fp_ieee_invalid_op 0
		.amdhsa_exception_fp_denorm_src 0
		.amdhsa_exception_fp_ieee_div_zero 0
		.amdhsa_exception_fp_ieee_overflow 0
		.amdhsa_exception_fp_ieee_underflow 0
		.amdhsa_exception_fp_ieee_inexact 0
		.amdhsa_exception_int_div_zero 0
	.end_amdhsa_kernel
	.section	.text._ZN2at6native12_GLOBAL__N_125multi_tensor_apply_kernelINS1_18TensorListMetadataILi3EEENS1_24BinaryOpListAlphaFunctorIN3c104HalfELi3ELi2ELi2EEEJSt5minusIfEfEEEvT_T0_DpT1_,"axG",@progbits,_ZN2at6native12_GLOBAL__N_125multi_tensor_apply_kernelINS1_18TensorListMetadataILi3EEENS1_24BinaryOpListAlphaFunctorIN3c104HalfELi3ELi2ELi2EEEJSt5minusIfEfEEEvT_T0_DpT1_,comdat
.Lfunc_end47:
	.size	_ZN2at6native12_GLOBAL__N_125multi_tensor_apply_kernelINS1_18TensorListMetadataILi3EEENS1_24BinaryOpListAlphaFunctorIN3c104HalfELi3ELi2ELi2EEEJSt5minusIfEfEEEvT_T0_DpT1_, .Lfunc_end47-_ZN2at6native12_GLOBAL__N_125multi_tensor_apply_kernelINS1_18TensorListMetadataILi3EEENS1_24BinaryOpListAlphaFunctorIN3c104HalfELi3ELi2ELi2EEEJSt5minusIfEfEEEvT_T0_DpT1_
                                        ; -- End function
	.section	.AMDGPU.csdata,"",@progbits
; Kernel info:
; codeLenInByte = 1748
; NumSgprs: 30
; NumVgprs: 41
; ScratchSize: 0
; MemoryBound: 0
; FloatMode: 240
; IeeeMode: 1
; LDSByteSize: 0 bytes/workgroup (compile time only)
; SGPRBlocks: 3
; VGPRBlocks: 5
; NumSGPRsForWavesPerEU: 30
; NumVGPRsForWavesPerEU: 41
; Occupancy: 16
; WaveLimiterHint : 0
; COMPUTE_PGM_RSRC2:SCRATCH_EN: 0
; COMPUTE_PGM_RSRC2:USER_SGPR: 15
; COMPUTE_PGM_RSRC2:TRAP_HANDLER: 0
; COMPUTE_PGM_RSRC2:TGID_X_EN: 1
; COMPUTE_PGM_RSRC2:TGID_Y_EN: 0
; COMPUTE_PGM_RSRC2:TGID_Z_EN: 0
; COMPUTE_PGM_RSRC2:TIDIG_COMP_CNT: 0
	.section	.text._ZN2at6native12_GLOBAL__N_125multi_tensor_apply_kernelINS1_18TensorListMetadataILi2EEENS1_24BinaryOpListAlphaFunctorIhLi2ELi2ELi0EEEJSt10multipliesIhEhEEEvT_T0_DpT1_,"axG",@progbits,_ZN2at6native12_GLOBAL__N_125multi_tensor_apply_kernelINS1_18TensorListMetadataILi2EEENS1_24BinaryOpListAlphaFunctorIhLi2ELi2ELi0EEEJSt10multipliesIhEhEEEvT_T0_DpT1_,comdat
	.globl	_ZN2at6native12_GLOBAL__N_125multi_tensor_apply_kernelINS1_18TensorListMetadataILi2EEENS1_24BinaryOpListAlphaFunctorIhLi2ELi2ELi0EEEJSt10multipliesIhEhEEEvT_T0_DpT1_ ; -- Begin function _ZN2at6native12_GLOBAL__N_125multi_tensor_apply_kernelINS1_18TensorListMetadataILi2EEENS1_24BinaryOpListAlphaFunctorIhLi2ELi2ELi0EEEJSt10multipliesIhEhEEEvT_T0_DpT1_
	.p2align	8
	.type	_ZN2at6native12_GLOBAL__N_125multi_tensor_apply_kernelINS1_18TensorListMetadataILi2EEENS1_24BinaryOpListAlphaFunctorIhLi2ELi2ELi0EEEJSt10multipliesIhEhEEEvT_T0_DpT1_,@function
_ZN2at6native12_GLOBAL__N_125multi_tensor_apply_kernelINS1_18TensorListMetadataILi2EEENS1_24BinaryOpListAlphaFunctorIhLi2ELi2ELi0EEEJSt10multipliesIhEhEEEvT_T0_DpT1_: ; @_ZN2at6native12_GLOBAL__N_125multi_tensor_apply_kernelINS1_18TensorListMetadataILi2EEENS1_24BinaryOpListAlphaFunctorIhLi2ELi2ELi0EEEJSt10multipliesIhEhEEEvT_T0_DpT1_
; %bb.0:
	v_mov_b32_e32 v1, s15
	s_add_u32 s2, s0, s15
	s_mul_hi_u32 s3, s15, 3
	s_mul_i32 s15, s15, 3
	s_addc_u32 s4, s1, 0
	global_load_u8 v1, v1, s[0:1] offset:1536
	s_add_u32 s2, s2, s15
	s_addc_u32 s3, s4, s3
	s_load_b32 s4, s[2:3], 0x740
	s_waitcnt lgkmcnt(0)
	s_ashr_i32 s5, s4, 31
	s_delay_alu instid0(SALU_CYCLE_1) | instskip(SKIP_2) | instid1(VALU_DEP_1)
	s_lshl_b64 s[12:13], s[4:5], 16
	s_waitcnt vmcnt(0)
	v_readfirstlane_b32 s2, v1
	s_lshl_b32 s2, s2, 3
	s_clause 0x3
	s_load_b64 s[8:9], s[0:1], s2 offset:0x0
	s_load_b64 s[10:11], s[0:1], s2 offset:0x200
	;; [unrolled: 1-line block ×3, first 2 shown]
	s_load_b32 s3, s[0:1], 0xc48
	s_waitcnt lgkmcnt(0)
	s_add_u32 s6, s8, s12
	s_addc_u32 s7, s9, s13
	s_add_u32 s14, s10, s12
	s_addc_u32 s15, s11, s13
	s_or_b64 s[4:5], s[16:17], s[6:7]
	s_delay_alu instid0(SALU_CYCLE_1) | instskip(NEXT) | instid1(SALU_CYCLE_1)
	s_or_b32 s2, s14, s4
	s_and_b32 s2, s2, 3
	s_sub_u32 s4, s16, s12
	s_subb_u32 s5, s17, s13
	s_cmp_eq_u32 s2, 0
	s_mov_b32 s2, -1
	s_cbranch_scc0 .LBB48_5
; %bb.1:
	v_dual_mov_b32 v2, 0 :: v_dual_lshlrev_b32 v1, 2, v0
	s_mov_b32 s16, exec_lo
	s_delay_alu instid0(VALU_DEP_1)
	v_cmpx_gt_i64_e64 s[4:5], v[1:2]
	s_cbranch_execz .LBB48_4
; %bb.2:
	s_load_b32 s2, s[0:1], 0xc5c
	s_mov_b32 s17, 0
	s_lshr_b32 s19, s3, 16
	s_waitcnt lgkmcnt(0)
	s_and_b32 s2, s2, 0xffff
	s_delay_alu instid0(SALU_CYCLE_1)
	s_lshl_b32 s18, s2, 2
.LBB48_3:                               ; =>This Inner Loop Header: Depth=1
	v_add_co_u32 v3, vcc_lo, s6, v1
	v_add_co_ci_u32_e32 v4, vcc_lo, s7, v2, vcc_lo
	v_add_co_u32 v5, vcc_lo, s14, v1
	v_add_co_ci_u32_e32 v6, vcc_lo, s15, v2, vcc_lo
	v_add_co_u32 v1, vcc_lo, s18, v1
	global_load_b32 v7, v[3:4], off
	global_load_b32 v5, v[5:6], off
	v_add_co_ci_u32_e32 v2, vcc_lo, 0, v2, vcc_lo
	s_delay_alu instid0(VALU_DEP_1) | instskip(SKIP_1) | instid1(VALU_DEP_1)
	v_cmp_le_i64_e32 vcc_lo, s[4:5], v[1:2]
	v_cmp_lt_u64_e64 s2, 0xffff, v[1:2]
	s_or_b32 s2, vcc_lo, s2
	s_delay_alu instid0(SALU_CYCLE_1) | instskip(NEXT) | instid1(SALU_CYCLE_1)
	s_and_b32 s2, exec_lo, s2
	s_or_b32 s17, s2, s17
	s_waitcnt vmcnt(1)
	v_lshrrev_b32_e32 v8, 8, v7
	v_lshrrev_b32_e32 v9, 16, v7
	v_mul_lo_u16 v6, v7, s19
	s_waitcnt vmcnt(0)
	v_lshrrev_b32_e32 v10, 8, v5
	v_lshrrev_b32_e32 v11, 16, v5
	;; [unrolled: 1-line block ×3, first 2 shown]
	v_mul_lo_u16 v8, v8, s19
	v_mul_lo_u16 v9, v9, s19
	v_lshrrev_b32_e32 v12, 24, v5
	v_mul_lo_u16 v5, v6, v5
	v_mul_lo_u16 v7, v7, s19
	;; [unrolled: 1-line block ×4, first 2 shown]
	s_delay_alu instid0(VALU_DEP_3) | instskip(NEXT) | instid1(VALU_DEP_3)
	v_mul_lo_u16 v6, v7, v12
	v_and_b32_e32 v7, 0xff, v8
	s_delay_alu instid0(VALU_DEP_3) | instskip(NEXT) | instid1(VALU_DEP_3)
	v_and_b32_e32 v8, 0xff, v9
	v_lshlrev_b32_e32 v6, 24, v6
	s_delay_alu instid0(VALU_DEP_3) | instskip(NEXT) | instid1(VALU_DEP_3)
	v_perm_b32 v5, v7, v5, 0x6050400
	v_lshlrev_b32_e32 v7, 16, v8
	s_delay_alu instid0(VALU_DEP_1)
	v_or3_b32 v5, v5, v7, v6
	global_store_b32 v[3:4], v5, off
	s_and_not1_b32 exec_lo, exec_lo, s17
	s_cbranch_execnz .LBB48_3
.LBB48_4:
	s_or_b32 exec_lo, exec_lo, s16
	s_mov_b32 s2, 0
.LBB48_5:
	s_delay_alu instid0(SALU_CYCLE_1)
	s_and_not1_b32 vcc_lo, exec_lo, s2
	s_cbranch_vccnz .LBB48_25
; %bb.6:
	v_cmp_lt_i64_e64 s2, s[4:5], 1
	s_delay_alu instid0(VALU_DEP_1)
	s_and_b32 vcc_lo, exec_lo, s2
	s_cbranch_vccnz .LBB48_25
; %bb.7:
	s_load_b32 s0, s[0:1], 0xc5c
	v_add_co_u32 v15, s1, s12, v0
	s_delay_alu instid0(VALU_DEP_1) | instskip(SKIP_1) | instid1(VALU_DEP_3)
	v_add_co_ci_u32_e64 v16, null, s13, 0, s1
	v_cmp_gt_u64_e64 s1, 0x10000, s[4:5]
	v_add_co_u32 v1, vcc_lo, s8, v15
	s_delay_alu instid0(VALU_DEP_3)
	v_add_co_ci_u32_e32 v2, vcc_lo, s9, v16, vcc_lo
	v_add_co_u32 v3, vcc_lo, s10, v15
	v_add_co_ci_u32_e32 v4, vcc_lo, s11, v16, vcc_lo
	s_waitcnt lgkmcnt(0)
	s_and_b32 s0, s0, 0xffff
	s_and_b32 s1, s1, exec_lo
	s_mul_i32 s2, s0, 3
	s_cselect_b32 s7, s5, 0
	s_cselect_b32 s6, s4, 0x10000
	s_lshl_b32 s1, s0, 1
	s_lshl_b32 s14, s0, 2
	s_add_u32 s15, s12, s2
	s_addc_u32 s16, s13, 0
	v_add_co_u32 v7, s15, s15, v0
	s_delay_alu instid0(VALU_DEP_1) | instskip(SKIP_1) | instid1(VALU_DEP_2)
	v_add_co_ci_u32_e64 v8, null, s16, 0, s15
	s_add_u32 s12, s12, s1
	v_add_co_u32 v5, vcc_lo, s8, v7
	s_addc_u32 s13, s13, 0
	v_add_co_u32 v13, s12, s12, v0
	v_add_co_ci_u32_e32 v6, vcc_lo, s9, v8, vcc_lo
	v_add_co_u32 v7, vcc_lo, s10, v7
	v_add_co_ci_u32_e64 v14, null, s13, 0, s12
	v_add_co_ci_u32_e32 v8, vcc_lo, s11, v8, vcc_lo
	v_add_co_u32 v11, vcc_lo, s8, v13
	s_delay_alu instid0(VALU_DEP_3)
	v_add_co_ci_u32_e32 v12, vcc_lo, s9, v14, vcc_lo
	v_add_co_u32 v13, vcc_lo, s10, v13
	v_add_co_ci_u32_e32 v14, vcc_lo, s11, v14, vcc_lo
	v_add_co_u32 v19, vcc_lo, v15, s0
	v_add_co_ci_u32_e32 v20, vcc_lo, 0, v16, vcc_lo
	v_add_co_u32 v9, s2, s2, v0
	s_delay_alu instid0(VALU_DEP_3) | instskip(NEXT) | instid1(VALU_DEP_3)
	v_add_co_u32 v17, vcc_lo, s8, v19
	v_add_co_ci_u32_e32 v18, vcc_lo, s9, v20, vcc_lo
	v_add_co_u32 v15, s1, s1, v0
	v_add_co_u32 v19, vcc_lo, s10, v19
	v_add_co_u32 v21, s0, v0, s0
	v_add_co_ci_u32_e64 v10, null, 0, 0, s2
	v_add_co_ci_u32_e64 v16, null, 0, 0, s1
	v_add_co_ci_u32_e32 v20, vcc_lo, s11, v20, vcc_lo
	v_add_co_ci_u32_e64 v22, null, 0, 0, s0
	s_mov_b64 s[8:9], 0
	s_lshr_b32 s10, s3, 16
	s_branch .LBB48_9
.LBB48_8:                               ;   in Loop: Header=BB48_9 Depth=1
	s_or_b32 exec_lo, exec_lo, s0
	s_add_u32 s8, s8, s14
	s_addc_u32 s9, s9, 0
	s_delay_alu instid0(SALU_CYCLE_1) | instskip(SKIP_1) | instid1(VALU_DEP_1)
	v_cmp_ge_i64_e64 s0, s[8:9], s[4:5]
	v_cmp_lt_u64_e64 s1, 0xffff, s[8:9]
	s_or_b32 s0, s0, s1
	s_delay_alu instid0(SALU_CYCLE_1)
	s_and_b32 vcc_lo, exec_lo, s0
	s_cbranch_vccnz .LBB48_25
.LBB48_9:                               ; =>This Inner Loop Header: Depth=1
	s_waitcnt vmcnt(0)
	v_add_co_u32 v25, s0, v0, s8
	s_delay_alu instid0(VALU_DEP_1) | instskip(SKIP_1) | instid1(VALU_DEP_2)
	v_add_co_ci_u32_e64 v26, null, 0, s9, s0
	v_dual_mov_b32 v24, 0 :: v_dual_mov_b32 v23, 0
	v_cmp_gt_u64_e32 vcc_lo, s[6:7], v[25:26]
	v_mov_b32_e32 v25, 0
	s_and_saveexec_b32 s1, vcc_lo
	s_cbranch_execz .LBB48_11
; %bb.10:                               ;   in Loop: Header=BB48_9 Depth=1
	v_add_co_u32 v25, s0, v1, s8
	s_delay_alu instid0(VALU_DEP_1) | instskip(SKIP_1) | instid1(VALU_DEP_1)
	v_add_co_ci_u32_e64 v26, s0, s9, v2, s0
	v_add_co_u32 v27, s0, v3, s8
	v_add_co_ci_u32_e64 v28, s0, s9, v4, s0
	global_load_u8 v23, v[25:26], off
	global_load_u8 v25, v[27:28], off
.LBB48_11:                              ;   in Loop: Header=BB48_9 Depth=1
	s_or_b32 exec_lo, exec_lo, s1
	v_add_co_u32 v26, s0, v21, s8
	s_delay_alu instid0(VALU_DEP_1) | instskip(NEXT) | instid1(VALU_DEP_1)
	v_add_co_ci_u32_e64 v27, s0, s9, v22, s0
	v_cmp_gt_u64_e64 s0, s[6:7], v[26:27]
	s_delay_alu instid0(VALU_DEP_1)
	s_and_saveexec_b32 s2, s0
	s_cbranch_execz .LBB48_13
; %bb.12:                               ;   in Loop: Header=BB48_9 Depth=1
	v_add_co_u32 v26, s1, v17, s8
	s_delay_alu instid0(VALU_DEP_1) | instskip(SKIP_2) | instid1(VALU_DEP_1)
	v_add_co_ci_u32_e64 v27, s1, s9, v18, s1
	global_load_u8 v28, v[26:27], off
	v_add_co_u32 v26, s1, v19, s8
	v_add_co_ci_u32_e64 v27, s1, s9, v20, s1
	global_load_u8 v24, v[26:27], off
	s_waitcnt vmcnt(1)
	v_lshl_or_b32 v23, v28, 8, v23
.LBB48_13:                              ;   in Loop: Header=BB48_9 Depth=1
	s_or_b32 exec_lo, exec_lo, s2
	v_add_co_u32 v26, s1, v15, s8
	s_delay_alu instid0(VALU_DEP_1) | instskip(NEXT) | instid1(VALU_DEP_1)
	v_add_co_ci_u32_e64 v27, s1, s9, v16, s1
	v_cmp_gt_u64_e64 s1, s[6:7], v[26:27]
	v_dual_mov_b32 v26, 0 :: v_dual_mov_b32 v27, 0
	s_delay_alu instid0(VALU_DEP_2)
	s_and_saveexec_b32 s3, s1
	s_cbranch_execz .LBB48_15
; %bb.14:                               ;   in Loop: Header=BB48_9 Depth=1
	v_add_co_u32 v27, s2, v11, s8
	s_delay_alu instid0(VALU_DEP_1) | instskip(SKIP_2) | instid1(VALU_DEP_1)
	v_add_co_ci_u32_e64 v28, s2, s9, v12, s2
	global_load_u8 v29, v[27:28], off
	v_add_co_u32 v27, s2, v13, s8
	v_add_co_ci_u32_e64 v28, s2, s9, v14, s2
	global_load_u8 v27, v[27:28], off
	s_waitcnt vmcnt(1)
	v_lshl_or_b32 v23, v29, 16, v23
.LBB48_15:                              ;   in Loop: Header=BB48_9 Depth=1
	s_or_b32 exec_lo, exec_lo, s3
	v_add_co_u32 v28, s2, v9, s8
	s_delay_alu instid0(VALU_DEP_1) | instskip(NEXT) | instid1(VALU_DEP_1)
	v_add_co_ci_u32_e64 v29, s2, s9, v10, s2
	v_cmp_gt_u64_e64 s2, s[6:7], v[28:29]
	s_delay_alu instid0(VALU_DEP_1)
	s_and_saveexec_b32 s11, s2
	s_cbranch_execnz .LBB48_20
; %bb.16:                               ;   in Loop: Header=BB48_9 Depth=1
	s_or_b32 exec_lo, exec_lo, s11
	s_and_saveexec_b32 s3, vcc_lo
	s_cbranch_execnz .LBB48_21
.LBB48_17:                              ;   in Loop: Header=BB48_9 Depth=1
	s_or_b32 exec_lo, exec_lo, s3
	s_and_saveexec_b32 s3, s0
	s_cbranch_execnz .LBB48_22
.LBB48_18:                              ;   in Loop: Header=BB48_9 Depth=1
	s_or_b32 exec_lo, exec_lo, s3
	s_and_saveexec_b32 s0, s1
	s_cbranch_execnz .LBB48_23
.LBB48_19:                              ;   in Loop: Header=BB48_9 Depth=1
	s_or_b32 exec_lo, exec_lo, s0
	s_and_saveexec_b32 s0, s2
	s_cbranch_execz .LBB48_8
	s_branch .LBB48_24
.LBB48_20:                              ;   in Loop: Header=BB48_9 Depth=1
	v_add_co_u32 v28, s3, v5, s8
	s_delay_alu instid0(VALU_DEP_1) | instskip(SKIP_2) | instid1(VALU_DEP_1)
	v_add_co_ci_u32_e64 v29, s3, s9, v6, s3
	global_load_u8 v30, v[28:29], off
	v_add_co_u32 v28, s3, v7, s8
	v_add_co_ci_u32_e64 v29, s3, s9, v8, s3
	global_load_u8 v26, v[28:29], off
	s_waitcnt vmcnt(1)
	v_lshl_or_b32 v23, v30, 24, v23
	s_or_b32 exec_lo, exec_lo, s11
	s_and_saveexec_b32 s3, vcc_lo
	s_cbranch_execz .LBB48_17
.LBB48_21:                              ;   in Loop: Header=BB48_9 Depth=1
	s_waitcnt vmcnt(0)
	v_mul_lo_u16 v25, v25, s10
	v_add_co_u32 v28, vcc_lo, v1, s8
	v_add_co_ci_u32_e32 v29, vcc_lo, s9, v2, vcc_lo
	s_delay_alu instid0(VALU_DEP_3)
	v_mul_lo_u16 v25, v25, v23
	global_store_b8 v[28:29], v25, off
	s_or_b32 exec_lo, exec_lo, s3
	s_and_saveexec_b32 s3, s0
	s_cbranch_execz .LBB48_18
.LBB48_22:                              ;   in Loop: Header=BB48_9 Depth=1
	s_waitcnt vmcnt(0)
	v_lshrrev_b32_e32 v25, 8, v23
	v_mul_lo_u16 v24, v24, s10
	s_delay_alu instid0(VALU_DEP_1)
	v_mul_lo_u16 v28, v24, v25
	v_add_co_u32 v24, vcc_lo, v17, s8
	v_add_co_ci_u32_e32 v25, vcc_lo, s9, v18, vcc_lo
	global_store_b8 v[24:25], v28, off
	s_or_b32 exec_lo, exec_lo, s3
	s_and_saveexec_b32 s0, s1
	s_cbranch_execz .LBB48_19
.LBB48_23:                              ;   in Loop: Header=BB48_9 Depth=1
	s_waitcnt vmcnt(0)
	v_lshrrev_b32_e32 v24, 16, v23
	v_mul_lo_u16 v25, v27, s10
	s_delay_alu instid0(VALU_DEP_1)
	v_mul_lo_u16 v27, v25, v24
	v_add_co_u32 v24, vcc_lo, v11, s8
	v_add_co_ci_u32_e32 v25, vcc_lo, s9, v12, vcc_lo
	global_store_b8 v[24:25], v27, off
	s_or_b32 exec_lo, exec_lo, s0
	s_and_saveexec_b32 s0, s2
	s_cbranch_execz .LBB48_8
.LBB48_24:                              ;   in Loop: Header=BB48_9 Depth=1
	s_waitcnt vmcnt(1)
	v_lshrrev_b32_e32 v23, 24, v23
	s_waitcnt vmcnt(0)
	v_mul_lo_u16 v24, v26, s10
	s_delay_alu instid0(VALU_DEP_1)
	v_mul_lo_u16 v25, v24, v23
	v_add_co_u32 v23, vcc_lo, v5, s8
	v_add_co_ci_u32_e32 v24, vcc_lo, s9, v6, vcc_lo
	global_store_b8 v[23:24], v25, off
	s_branch .LBB48_8
.LBB48_25:
	s_nop 0
	s_sendmsg sendmsg(MSG_DEALLOC_VGPRS)
	s_endpgm
	.section	.rodata,"a",@progbits
	.p2align	6, 0x0
	.amdhsa_kernel _ZN2at6native12_GLOBAL__N_125multi_tensor_apply_kernelINS1_18TensorListMetadataILi2EEENS1_24BinaryOpListAlphaFunctorIhLi2ELi2ELi0EEEJSt10multipliesIhEhEEEvT_T0_DpT1_
		.amdhsa_group_segment_fixed_size 0
		.amdhsa_private_segment_fixed_size 0
		.amdhsa_kernarg_size 3408
		.amdhsa_user_sgpr_count 15
		.amdhsa_user_sgpr_dispatch_ptr 0
		.amdhsa_user_sgpr_queue_ptr 0
		.amdhsa_user_sgpr_kernarg_segment_ptr 1
		.amdhsa_user_sgpr_dispatch_id 0
		.amdhsa_user_sgpr_private_segment_size 0
		.amdhsa_wavefront_size32 1
		.amdhsa_uses_dynamic_stack 0
		.amdhsa_enable_private_segment 0
		.amdhsa_system_sgpr_workgroup_id_x 1
		.amdhsa_system_sgpr_workgroup_id_y 0
		.amdhsa_system_sgpr_workgroup_id_z 0
		.amdhsa_system_sgpr_workgroup_info 0
		.amdhsa_system_vgpr_workitem_id 0
		.amdhsa_next_free_vgpr 31
		.amdhsa_next_free_sgpr 20
		.amdhsa_reserve_vcc 1
		.amdhsa_float_round_mode_32 0
		.amdhsa_float_round_mode_16_64 0
		.amdhsa_float_denorm_mode_32 3
		.amdhsa_float_denorm_mode_16_64 3
		.amdhsa_dx10_clamp 1
		.amdhsa_ieee_mode 1
		.amdhsa_fp16_overflow 0
		.amdhsa_workgroup_processor_mode 1
		.amdhsa_memory_ordered 1
		.amdhsa_forward_progress 0
		.amdhsa_shared_vgpr_count 0
		.amdhsa_exception_fp_ieee_invalid_op 0
		.amdhsa_exception_fp_denorm_src 0
		.amdhsa_exception_fp_ieee_div_zero 0
		.amdhsa_exception_fp_ieee_overflow 0
		.amdhsa_exception_fp_ieee_underflow 0
		.amdhsa_exception_fp_ieee_inexact 0
		.amdhsa_exception_int_div_zero 0
	.end_amdhsa_kernel
	.section	.text._ZN2at6native12_GLOBAL__N_125multi_tensor_apply_kernelINS1_18TensorListMetadataILi2EEENS1_24BinaryOpListAlphaFunctorIhLi2ELi2ELi0EEEJSt10multipliesIhEhEEEvT_T0_DpT1_,"axG",@progbits,_ZN2at6native12_GLOBAL__N_125multi_tensor_apply_kernelINS1_18TensorListMetadataILi2EEENS1_24BinaryOpListAlphaFunctorIhLi2ELi2ELi0EEEJSt10multipliesIhEhEEEvT_T0_DpT1_,comdat
.Lfunc_end48:
	.size	_ZN2at6native12_GLOBAL__N_125multi_tensor_apply_kernelINS1_18TensorListMetadataILi2EEENS1_24BinaryOpListAlphaFunctorIhLi2ELi2ELi0EEEJSt10multipliesIhEhEEEvT_T0_DpT1_, .Lfunc_end48-_ZN2at6native12_GLOBAL__N_125multi_tensor_apply_kernelINS1_18TensorListMetadataILi2EEENS1_24BinaryOpListAlphaFunctorIhLi2ELi2ELi0EEEJSt10multipliesIhEhEEEvT_T0_DpT1_
                                        ; -- End function
	.section	.AMDGPU.csdata,"",@progbits
; Kernel info:
; codeLenInByte = 1632
; NumSgprs: 22
; NumVgprs: 31
; ScratchSize: 0
; MemoryBound: 0
; FloatMode: 240
; IeeeMode: 1
; LDSByteSize: 0 bytes/workgroup (compile time only)
; SGPRBlocks: 2
; VGPRBlocks: 3
; NumSGPRsForWavesPerEU: 22
; NumVGPRsForWavesPerEU: 31
; Occupancy: 16
; WaveLimiterHint : 0
; COMPUTE_PGM_RSRC2:SCRATCH_EN: 0
; COMPUTE_PGM_RSRC2:USER_SGPR: 15
; COMPUTE_PGM_RSRC2:TRAP_HANDLER: 0
; COMPUTE_PGM_RSRC2:TGID_X_EN: 1
; COMPUTE_PGM_RSRC2:TGID_Y_EN: 0
; COMPUTE_PGM_RSRC2:TGID_Z_EN: 0
; COMPUTE_PGM_RSRC2:TIDIG_COMP_CNT: 0
	.section	.text._ZN2at6native12_GLOBAL__N_125multi_tensor_apply_kernelINS1_18TensorListMetadataILi2EEENS1_24BinaryOpListAlphaFunctorIaLi2ELi2ELi0EEEJSt10multipliesIaEaEEEvT_T0_DpT1_,"axG",@progbits,_ZN2at6native12_GLOBAL__N_125multi_tensor_apply_kernelINS1_18TensorListMetadataILi2EEENS1_24BinaryOpListAlphaFunctorIaLi2ELi2ELi0EEEJSt10multipliesIaEaEEEvT_T0_DpT1_,comdat
	.globl	_ZN2at6native12_GLOBAL__N_125multi_tensor_apply_kernelINS1_18TensorListMetadataILi2EEENS1_24BinaryOpListAlphaFunctorIaLi2ELi2ELi0EEEJSt10multipliesIaEaEEEvT_T0_DpT1_ ; -- Begin function _ZN2at6native12_GLOBAL__N_125multi_tensor_apply_kernelINS1_18TensorListMetadataILi2EEENS1_24BinaryOpListAlphaFunctorIaLi2ELi2ELi0EEEJSt10multipliesIaEaEEEvT_T0_DpT1_
	.p2align	8
	.type	_ZN2at6native12_GLOBAL__N_125multi_tensor_apply_kernelINS1_18TensorListMetadataILi2EEENS1_24BinaryOpListAlphaFunctorIaLi2ELi2ELi0EEEJSt10multipliesIaEaEEEvT_T0_DpT1_,@function
_ZN2at6native12_GLOBAL__N_125multi_tensor_apply_kernelINS1_18TensorListMetadataILi2EEENS1_24BinaryOpListAlphaFunctorIaLi2ELi2ELi0EEEJSt10multipliesIaEaEEEvT_T0_DpT1_: ; @_ZN2at6native12_GLOBAL__N_125multi_tensor_apply_kernelINS1_18TensorListMetadataILi2EEENS1_24BinaryOpListAlphaFunctorIaLi2ELi2ELi0EEEJSt10multipliesIaEaEEEvT_T0_DpT1_
; %bb.0:
	v_mov_b32_e32 v1, s15
	s_add_u32 s2, s0, s15
	s_mul_hi_u32 s3, s15, 3
	s_mul_i32 s15, s15, 3
	s_addc_u32 s4, s1, 0
	global_load_u8 v1, v1, s[0:1] offset:1536
	s_add_u32 s2, s2, s15
	s_addc_u32 s3, s4, s3
	s_load_b32 s4, s[2:3], 0x740
	s_waitcnt lgkmcnt(0)
	s_ashr_i32 s5, s4, 31
	s_delay_alu instid0(SALU_CYCLE_1) | instskip(SKIP_2) | instid1(VALU_DEP_1)
	s_lshl_b64 s[12:13], s[4:5], 16
	s_waitcnt vmcnt(0)
	v_readfirstlane_b32 s2, v1
	s_lshl_b32 s2, s2, 3
	s_clause 0x3
	s_load_b64 s[8:9], s[0:1], s2 offset:0x0
	s_load_b64 s[10:11], s[0:1], s2 offset:0x200
	;; [unrolled: 1-line block ×3, first 2 shown]
	s_load_b32 s3, s[0:1], 0xc48
	s_waitcnt lgkmcnt(0)
	s_add_u32 s6, s8, s12
	s_addc_u32 s7, s9, s13
	s_add_u32 s14, s10, s12
	s_addc_u32 s15, s11, s13
	s_or_b64 s[4:5], s[16:17], s[6:7]
	s_delay_alu instid0(SALU_CYCLE_1) | instskip(NEXT) | instid1(SALU_CYCLE_1)
	s_or_b32 s2, s14, s4
	s_and_b32 s2, s2, 3
	s_sub_u32 s4, s16, s12
	s_subb_u32 s5, s17, s13
	s_cmp_eq_u32 s2, 0
	s_mov_b32 s2, -1
	s_cbranch_scc0 .LBB49_5
; %bb.1:
	v_dual_mov_b32 v2, 0 :: v_dual_lshlrev_b32 v1, 2, v0
	s_mov_b32 s16, exec_lo
	s_delay_alu instid0(VALU_DEP_1)
	v_cmpx_gt_i64_e64 s[4:5], v[1:2]
	s_cbranch_execz .LBB49_4
; %bb.2:
	s_load_b32 s2, s[0:1], 0xc5c
	s_mov_b32 s17, 0
	s_lshr_b32 s19, s3, 16
	s_waitcnt lgkmcnt(0)
	s_and_b32 s2, s2, 0xffff
	s_delay_alu instid0(SALU_CYCLE_1)
	s_lshl_b32 s18, s2, 2
.LBB49_3:                               ; =>This Inner Loop Header: Depth=1
	v_add_co_u32 v3, vcc_lo, s6, v1
	v_add_co_ci_u32_e32 v4, vcc_lo, s7, v2, vcc_lo
	v_add_co_u32 v5, vcc_lo, s14, v1
	v_add_co_ci_u32_e32 v6, vcc_lo, s15, v2, vcc_lo
	v_add_co_u32 v1, vcc_lo, s18, v1
	global_load_b32 v7, v[3:4], off
	global_load_b32 v5, v[5:6], off
	v_add_co_ci_u32_e32 v2, vcc_lo, 0, v2, vcc_lo
	s_delay_alu instid0(VALU_DEP_1) | instskip(SKIP_1) | instid1(VALU_DEP_1)
	v_cmp_le_i64_e32 vcc_lo, s[4:5], v[1:2]
	v_cmp_lt_u64_e64 s2, 0xffff, v[1:2]
	s_or_b32 s2, vcc_lo, s2
	s_delay_alu instid0(SALU_CYCLE_1) | instskip(NEXT) | instid1(SALU_CYCLE_1)
	s_and_b32 s2, exec_lo, s2
	s_or_b32 s17, s2, s17
	s_waitcnt vmcnt(1)
	v_lshrrev_b32_e32 v8, 8, v7
	v_lshrrev_b32_e32 v9, 16, v7
	v_mul_lo_u16 v6, v7, s19
	s_waitcnt vmcnt(0)
	v_lshrrev_b32_e32 v10, 8, v5
	v_lshrrev_b32_e32 v11, 16, v5
	;; [unrolled: 1-line block ×3, first 2 shown]
	v_mul_lo_u16 v8, v8, s19
	v_mul_lo_u16 v9, v9, s19
	v_lshrrev_b32_e32 v12, 24, v5
	v_mul_lo_u16 v5, v6, v5
	v_mul_lo_u16 v7, v7, s19
	v_mul_lo_u16 v8, v8, v10
	v_mul_lo_u16 v9, v9, v11
	s_delay_alu instid0(VALU_DEP_3) | instskip(NEXT) | instid1(VALU_DEP_3)
	v_mul_lo_u16 v6, v7, v12
	v_and_b32_e32 v7, 0xff, v8
	s_delay_alu instid0(VALU_DEP_3) | instskip(NEXT) | instid1(VALU_DEP_3)
	v_and_b32_e32 v8, 0xff, v9
	v_lshlrev_b32_e32 v6, 24, v6
	s_delay_alu instid0(VALU_DEP_3) | instskip(NEXT) | instid1(VALU_DEP_3)
	v_perm_b32 v5, v7, v5, 0x6050400
	v_lshlrev_b32_e32 v7, 16, v8
	s_delay_alu instid0(VALU_DEP_1)
	v_or3_b32 v5, v5, v7, v6
	global_store_b32 v[3:4], v5, off
	s_and_not1_b32 exec_lo, exec_lo, s17
	s_cbranch_execnz .LBB49_3
.LBB49_4:
	s_or_b32 exec_lo, exec_lo, s16
	s_mov_b32 s2, 0
.LBB49_5:
	s_delay_alu instid0(SALU_CYCLE_1)
	s_and_not1_b32 vcc_lo, exec_lo, s2
	s_cbranch_vccnz .LBB49_25
; %bb.6:
	v_cmp_lt_i64_e64 s2, s[4:5], 1
	s_delay_alu instid0(VALU_DEP_1)
	s_and_b32 vcc_lo, exec_lo, s2
	s_cbranch_vccnz .LBB49_25
; %bb.7:
	s_load_b32 s0, s[0:1], 0xc5c
	v_add_co_u32 v15, s1, s12, v0
	s_delay_alu instid0(VALU_DEP_1) | instskip(SKIP_1) | instid1(VALU_DEP_3)
	v_add_co_ci_u32_e64 v16, null, s13, 0, s1
	v_cmp_gt_u64_e64 s1, 0x10000, s[4:5]
	v_add_co_u32 v1, vcc_lo, s8, v15
	s_delay_alu instid0(VALU_DEP_3)
	v_add_co_ci_u32_e32 v2, vcc_lo, s9, v16, vcc_lo
	v_add_co_u32 v3, vcc_lo, s10, v15
	v_add_co_ci_u32_e32 v4, vcc_lo, s11, v16, vcc_lo
	s_waitcnt lgkmcnt(0)
	s_and_b32 s0, s0, 0xffff
	s_and_b32 s1, s1, exec_lo
	s_mul_i32 s2, s0, 3
	s_cselect_b32 s7, s5, 0
	s_cselect_b32 s6, s4, 0x10000
	s_lshl_b32 s1, s0, 1
	s_lshl_b32 s14, s0, 2
	s_add_u32 s15, s12, s2
	s_addc_u32 s16, s13, 0
	v_add_co_u32 v7, s15, s15, v0
	s_delay_alu instid0(VALU_DEP_1) | instskip(SKIP_1) | instid1(VALU_DEP_2)
	v_add_co_ci_u32_e64 v8, null, s16, 0, s15
	s_add_u32 s12, s12, s1
	v_add_co_u32 v5, vcc_lo, s8, v7
	s_addc_u32 s13, s13, 0
	v_add_co_u32 v13, s12, s12, v0
	v_add_co_ci_u32_e32 v6, vcc_lo, s9, v8, vcc_lo
	v_add_co_u32 v7, vcc_lo, s10, v7
	v_add_co_ci_u32_e64 v14, null, s13, 0, s12
	v_add_co_ci_u32_e32 v8, vcc_lo, s11, v8, vcc_lo
	v_add_co_u32 v11, vcc_lo, s8, v13
	s_delay_alu instid0(VALU_DEP_3)
	v_add_co_ci_u32_e32 v12, vcc_lo, s9, v14, vcc_lo
	v_add_co_u32 v13, vcc_lo, s10, v13
	v_add_co_ci_u32_e32 v14, vcc_lo, s11, v14, vcc_lo
	v_add_co_u32 v19, vcc_lo, v15, s0
	v_add_co_ci_u32_e32 v20, vcc_lo, 0, v16, vcc_lo
	v_add_co_u32 v9, s2, s2, v0
	s_delay_alu instid0(VALU_DEP_3) | instskip(NEXT) | instid1(VALU_DEP_3)
	v_add_co_u32 v17, vcc_lo, s8, v19
	v_add_co_ci_u32_e32 v18, vcc_lo, s9, v20, vcc_lo
	v_add_co_u32 v15, s1, s1, v0
	v_add_co_u32 v19, vcc_lo, s10, v19
	v_add_co_u32 v21, s0, v0, s0
	v_add_co_ci_u32_e64 v10, null, 0, 0, s2
	v_add_co_ci_u32_e64 v16, null, 0, 0, s1
	v_add_co_ci_u32_e32 v20, vcc_lo, s11, v20, vcc_lo
	v_add_co_ci_u32_e64 v22, null, 0, 0, s0
	s_mov_b64 s[8:9], 0
	s_lshr_b32 s10, s3, 16
	s_branch .LBB49_9
.LBB49_8:                               ;   in Loop: Header=BB49_9 Depth=1
	s_or_b32 exec_lo, exec_lo, s0
	s_add_u32 s8, s8, s14
	s_addc_u32 s9, s9, 0
	s_delay_alu instid0(SALU_CYCLE_1) | instskip(SKIP_1) | instid1(VALU_DEP_1)
	v_cmp_ge_i64_e64 s0, s[8:9], s[4:5]
	v_cmp_lt_u64_e64 s1, 0xffff, s[8:9]
	s_or_b32 s0, s0, s1
	s_delay_alu instid0(SALU_CYCLE_1)
	s_and_b32 vcc_lo, exec_lo, s0
	s_cbranch_vccnz .LBB49_25
.LBB49_9:                               ; =>This Inner Loop Header: Depth=1
	s_waitcnt vmcnt(0)
	v_add_co_u32 v25, s0, v0, s8
	s_delay_alu instid0(VALU_DEP_1) | instskip(SKIP_1) | instid1(VALU_DEP_2)
	v_add_co_ci_u32_e64 v26, null, 0, s9, s0
	v_dual_mov_b32 v24, 0 :: v_dual_mov_b32 v23, 0
	v_cmp_gt_u64_e32 vcc_lo, s[6:7], v[25:26]
	v_mov_b32_e32 v25, 0
	s_and_saveexec_b32 s1, vcc_lo
	s_cbranch_execz .LBB49_11
; %bb.10:                               ;   in Loop: Header=BB49_9 Depth=1
	v_add_co_u32 v25, s0, v1, s8
	s_delay_alu instid0(VALU_DEP_1) | instskip(SKIP_1) | instid1(VALU_DEP_1)
	v_add_co_ci_u32_e64 v26, s0, s9, v2, s0
	v_add_co_u32 v27, s0, v3, s8
	v_add_co_ci_u32_e64 v28, s0, s9, v4, s0
	global_load_u8 v23, v[25:26], off
	global_load_u8 v25, v[27:28], off
.LBB49_11:                              ;   in Loop: Header=BB49_9 Depth=1
	s_or_b32 exec_lo, exec_lo, s1
	v_add_co_u32 v26, s0, v21, s8
	s_delay_alu instid0(VALU_DEP_1) | instskip(NEXT) | instid1(VALU_DEP_1)
	v_add_co_ci_u32_e64 v27, s0, s9, v22, s0
	v_cmp_gt_u64_e64 s0, s[6:7], v[26:27]
	s_delay_alu instid0(VALU_DEP_1)
	s_and_saveexec_b32 s2, s0
	s_cbranch_execz .LBB49_13
; %bb.12:                               ;   in Loop: Header=BB49_9 Depth=1
	v_add_co_u32 v26, s1, v17, s8
	s_delay_alu instid0(VALU_DEP_1) | instskip(SKIP_2) | instid1(VALU_DEP_1)
	v_add_co_ci_u32_e64 v27, s1, s9, v18, s1
	global_load_u8 v28, v[26:27], off
	v_add_co_u32 v26, s1, v19, s8
	v_add_co_ci_u32_e64 v27, s1, s9, v20, s1
	global_load_u8 v24, v[26:27], off
	s_waitcnt vmcnt(1)
	v_lshl_or_b32 v23, v28, 8, v23
.LBB49_13:                              ;   in Loop: Header=BB49_9 Depth=1
	s_or_b32 exec_lo, exec_lo, s2
	v_add_co_u32 v26, s1, v15, s8
	s_delay_alu instid0(VALU_DEP_1) | instskip(NEXT) | instid1(VALU_DEP_1)
	v_add_co_ci_u32_e64 v27, s1, s9, v16, s1
	v_cmp_gt_u64_e64 s1, s[6:7], v[26:27]
	v_dual_mov_b32 v26, 0 :: v_dual_mov_b32 v27, 0
	s_delay_alu instid0(VALU_DEP_2)
	s_and_saveexec_b32 s3, s1
	s_cbranch_execz .LBB49_15
; %bb.14:                               ;   in Loop: Header=BB49_9 Depth=1
	v_add_co_u32 v27, s2, v11, s8
	s_delay_alu instid0(VALU_DEP_1) | instskip(SKIP_2) | instid1(VALU_DEP_1)
	v_add_co_ci_u32_e64 v28, s2, s9, v12, s2
	global_load_u8 v29, v[27:28], off
	v_add_co_u32 v27, s2, v13, s8
	v_add_co_ci_u32_e64 v28, s2, s9, v14, s2
	global_load_u8 v27, v[27:28], off
	s_waitcnt vmcnt(1)
	v_lshl_or_b32 v23, v29, 16, v23
.LBB49_15:                              ;   in Loop: Header=BB49_9 Depth=1
	s_or_b32 exec_lo, exec_lo, s3
	v_add_co_u32 v28, s2, v9, s8
	s_delay_alu instid0(VALU_DEP_1) | instskip(NEXT) | instid1(VALU_DEP_1)
	v_add_co_ci_u32_e64 v29, s2, s9, v10, s2
	v_cmp_gt_u64_e64 s2, s[6:7], v[28:29]
	s_delay_alu instid0(VALU_DEP_1)
	s_and_saveexec_b32 s11, s2
	s_cbranch_execnz .LBB49_20
; %bb.16:                               ;   in Loop: Header=BB49_9 Depth=1
	s_or_b32 exec_lo, exec_lo, s11
	s_and_saveexec_b32 s3, vcc_lo
	s_cbranch_execnz .LBB49_21
.LBB49_17:                              ;   in Loop: Header=BB49_9 Depth=1
	s_or_b32 exec_lo, exec_lo, s3
	s_and_saveexec_b32 s3, s0
	s_cbranch_execnz .LBB49_22
.LBB49_18:                              ;   in Loop: Header=BB49_9 Depth=1
	s_or_b32 exec_lo, exec_lo, s3
	s_and_saveexec_b32 s0, s1
	s_cbranch_execnz .LBB49_23
.LBB49_19:                              ;   in Loop: Header=BB49_9 Depth=1
	s_or_b32 exec_lo, exec_lo, s0
	s_and_saveexec_b32 s0, s2
	s_cbranch_execz .LBB49_8
	s_branch .LBB49_24
.LBB49_20:                              ;   in Loop: Header=BB49_9 Depth=1
	v_add_co_u32 v28, s3, v5, s8
	s_delay_alu instid0(VALU_DEP_1) | instskip(SKIP_2) | instid1(VALU_DEP_1)
	v_add_co_ci_u32_e64 v29, s3, s9, v6, s3
	global_load_u8 v30, v[28:29], off
	v_add_co_u32 v28, s3, v7, s8
	v_add_co_ci_u32_e64 v29, s3, s9, v8, s3
	global_load_u8 v26, v[28:29], off
	s_waitcnt vmcnt(1)
	v_lshl_or_b32 v23, v30, 24, v23
	s_or_b32 exec_lo, exec_lo, s11
	s_and_saveexec_b32 s3, vcc_lo
	s_cbranch_execz .LBB49_17
.LBB49_21:                              ;   in Loop: Header=BB49_9 Depth=1
	s_waitcnt vmcnt(0)
	v_mul_lo_u16 v25, v25, s10
	v_add_co_u32 v28, vcc_lo, v1, s8
	v_add_co_ci_u32_e32 v29, vcc_lo, s9, v2, vcc_lo
	s_delay_alu instid0(VALU_DEP_3)
	v_mul_lo_u16 v25, v25, v23
	global_store_b8 v[28:29], v25, off
	s_or_b32 exec_lo, exec_lo, s3
	s_and_saveexec_b32 s3, s0
	s_cbranch_execz .LBB49_18
.LBB49_22:                              ;   in Loop: Header=BB49_9 Depth=1
	s_waitcnt vmcnt(0)
	v_lshrrev_b32_e32 v25, 8, v23
	v_mul_lo_u16 v24, v24, s10
	s_delay_alu instid0(VALU_DEP_1)
	v_mul_lo_u16 v28, v24, v25
	v_add_co_u32 v24, vcc_lo, v17, s8
	v_add_co_ci_u32_e32 v25, vcc_lo, s9, v18, vcc_lo
	global_store_b8 v[24:25], v28, off
	s_or_b32 exec_lo, exec_lo, s3
	s_and_saveexec_b32 s0, s1
	s_cbranch_execz .LBB49_19
.LBB49_23:                              ;   in Loop: Header=BB49_9 Depth=1
	s_waitcnt vmcnt(0)
	v_lshrrev_b32_e32 v24, 16, v23
	v_mul_lo_u16 v25, v27, s10
	s_delay_alu instid0(VALU_DEP_1)
	v_mul_lo_u16 v27, v25, v24
	v_add_co_u32 v24, vcc_lo, v11, s8
	v_add_co_ci_u32_e32 v25, vcc_lo, s9, v12, vcc_lo
	global_store_b8 v[24:25], v27, off
	s_or_b32 exec_lo, exec_lo, s0
	s_and_saveexec_b32 s0, s2
	s_cbranch_execz .LBB49_8
.LBB49_24:                              ;   in Loop: Header=BB49_9 Depth=1
	s_waitcnt vmcnt(1)
	v_lshrrev_b32_e32 v23, 24, v23
	s_waitcnt vmcnt(0)
	v_mul_lo_u16 v24, v26, s10
	s_delay_alu instid0(VALU_DEP_1)
	v_mul_lo_u16 v25, v24, v23
	v_add_co_u32 v23, vcc_lo, v5, s8
	v_add_co_ci_u32_e32 v24, vcc_lo, s9, v6, vcc_lo
	global_store_b8 v[23:24], v25, off
	s_branch .LBB49_8
.LBB49_25:
	s_nop 0
	s_sendmsg sendmsg(MSG_DEALLOC_VGPRS)
	s_endpgm
	.section	.rodata,"a",@progbits
	.p2align	6, 0x0
	.amdhsa_kernel _ZN2at6native12_GLOBAL__N_125multi_tensor_apply_kernelINS1_18TensorListMetadataILi2EEENS1_24BinaryOpListAlphaFunctorIaLi2ELi2ELi0EEEJSt10multipliesIaEaEEEvT_T0_DpT1_
		.amdhsa_group_segment_fixed_size 0
		.amdhsa_private_segment_fixed_size 0
		.amdhsa_kernarg_size 3408
		.amdhsa_user_sgpr_count 15
		.amdhsa_user_sgpr_dispatch_ptr 0
		.amdhsa_user_sgpr_queue_ptr 0
		.amdhsa_user_sgpr_kernarg_segment_ptr 1
		.amdhsa_user_sgpr_dispatch_id 0
		.amdhsa_user_sgpr_private_segment_size 0
		.amdhsa_wavefront_size32 1
		.amdhsa_uses_dynamic_stack 0
		.amdhsa_enable_private_segment 0
		.amdhsa_system_sgpr_workgroup_id_x 1
		.amdhsa_system_sgpr_workgroup_id_y 0
		.amdhsa_system_sgpr_workgroup_id_z 0
		.amdhsa_system_sgpr_workgroup_info 0
		.amdhsa_system_vgpr_workitem_id 0
		.amdhsa_next_free_vgpr 31
		.amdhsa_next_free_sgpr 20
		.amdhsa_reserve_vcc 1
		.amdhsa_float_round_mode_32 0
		.amdhsa_float_round_mode_16_64 0
		.amdhsa_float_denorm_mode_32 3
		.amdhsa_float_denorm_mode_16_64 3
		.amdhsa_dx10_clamp 1
		.amdhsa_ieee_mode 1
		.amdhsa_fp16_overflow 0
		.amdhsa_workgroup_processor_mode 1
		.amdhsa_memory_ordered 1
		.amdhsa_forward_progress 0
		.amdhsa_shared_vgpr_count 0
		.amdhsa_exception_fp_ieee_invalid_op 0
		.amdhsa_exception_fp_denorm_src 0
		.amdhsa_exception_fp_ieee_div_zero 0
		.amdhsa_exception_fp_ieee_overflow 0
		.amdhsa_exception_fp_ieee_underflow 0
		.amdhsa_exception_fp_ieee_inexact 0
		.amdhsa_exception_int_div_zero 0
	.end_amdhsa_kernel
	.section	.text._ZN2at6native12_GLOBAL__N_125multi_tensor_apply_kernelINS1_18TensorListMetadataILi2EEENS1_24BinaryOpListAlphaFunctorIaLi2ELi2ELi0EEEJSt10multipliesIaEaEEEvT_T0_DpT1_,"axG",@progbits,_ZN2at6native12_GLOBAL__N_125multi_tensor_apply_kernelINS1_18TensorListMetadataILi2EEENS1_24BinaryOpListAlphaFunctorIaLi2ELi2ELi0EEEJSt10multipliesIaEaEEEvT_T0_DpT1_,comdat
.Lfunc_end49:
	.size	_ZN2at6native12_GLOBAL__N_125multi_tensor_apply_kernelINS1_18TensorListMetadataILi2EEENS1_24BinaryOpListAlphaFunctorIaLi2ELi2ELi0EEEJSt10multipliesIaEaEEEvT_T0_DpT1_, .Lfunc_end49-_ZN2at6native12_GLOBAL__N_125multi_tensor_apply_kernelINS1_18TensorListMetadataILi2EEENS1_24BinaryOpListAlphaFunctorIaLi2ELi2ELi0EEEJSt10multipliesIaEaEEEvT_T0_DpT1_
                                        ; -- End function
	.section	.AMDGPU.csdata,"",@progbits
; Kernel info:
; codeLenInByte = 1632
; NumSgprs: 22
; NumVgprs: 31
; ScratchSize: 0
; MemoryBound: 0
; FloatMode: 240
; IeeeMode: 1
; LDSByteSize: 0 bytes/workgroup (compile time only)
; SGPRBlocks: 2
; VGPRBlocks: 3
; NumSGPRsForWavesPerEU: 22
; NumVGPRsForWavesPerEU: 31
; Occupancy: 16
; WaveLimiterHint : 0
; COMPUTE_PGM_RSRC2:SCRATCH_EN: 0
; COMPUTE_PGM_RSRC2:USER_SGPR: 15
; COMPUTE_PGM_RSRC2:TRAP_HANDLER: 0
; COMPUTE_PGM_RSRC2:TGID_X_EN: 1
; COMPUTE_PGM_RSRC2:TGID_Y_EN: 0
; COMPUTE_PGM_RSRC2:TGID_Z_EN: 0
; COMPUTE_PGM_RSRC2:TIDIG_COMP_CNT: 0
	.section	.text._ZN2at6native12_GLOBAL__N_125multi_tensor_apply_kernelINS1_18TensorListMetadataILi2EEENS1_24BinaryOpListAlphaFunctorIiLi2ELi2ELi0EEEJSt10multipliesIiEiEEEvT_T0_DpT1_,"axG",@progbits,_ZN2at6native12_GLOBAL__N_125multi_tensor_apply_kernelINS1_18TensorListMetadataILi2EEENS1_24BinaryOpListAlphaFunctorIiLi2ELi2ELi0EEEJSt10multipliesIiEiEEEvT_T0_DpT1_,comdat
	.globl	_ZN2at6native12_GLOBAL__N_125multi_tensor_apply_kernelINS1_18TensorListMetadataILi2EEENS1_24BinaryOpListAlphaFunctorIiLi2ELi2ELi0EEEJSt10multipliesIiEiEEEvT_T0_DpT1_ ; -- Begin function _ZN2at6native12_GLOBAL__N_125multi_tensor_apply_kernelINS1_18TensorListMetadataILi2EEENS1_24BinaryOpListAlphaFunctorIiLi2ELi2ELi0EEEJSt10multipliesIiEiEEEvT_T0_DpT1_
	.p2align	8
	.type	_ZN2at6native12_GLOBAL__N_125multi_tensor_apply_kernelINS1_18TensorListMetadataILi2EEENS1_24BinaryOpListAlphaFunctorIiLi2ELi2ELi0EEEJSt10multipliesIiEiEEEvT_T0_DpT1_,@function
_ZN2at6native12_GLOBAL__N_125multi_tensor_apply_kernelINS1_18TensorListMetadataILi2EEENS1_24BinaryOpListAlphaFunctorIiLi2ELi2ELi0EEEJSt10multipliesIiEiEEEvT_T0_DpT1_: ; @_ZN2at6native12_GLOBAL__N_125multi_tensor_apply_kernelINS1_18TensorListMetadataILi2EEENS1_24BinaryOpListAlphaFunctorIiLi2ELi2ELi0EEEJSt10multipliesIiEiEEEvT_T0_DpT1_
; %bb.0:
	v_mov_b32_e32 v1, s15
	s_add_u32 s2, s0, s15
	s_mul_hi_u32 s3, s15, 3
	s_mul_i32 s15, s15, 3
	s_addc_u32 s4, s1, 0
	global_load_u8 v1, v1, s[0:1] offset:1536
	s_add_u32 s2, s2, s15
	s_addc_u32 s3, s4, s3
	s_mov_b32 s19, 0
	s_load_b32 s2, s[2:3], 0x740
	s_mov_b32 s21, s19
	s_mov_b32 s23, s19
	s_waitcnt vmcnt(0)
	v_readfirstlane_b32 s3, v1
	s_delay_alu instid0(VALU_DEP_1)
	s_lshl_b32 s3, s3, 3
	s_clause 0x3
	s_load_b64 s[10:11], s[0:1], s3 offset:0x0
	s_load_b64 s[12:13], s[0:1], s3 offset:0x200
	;; [unrolled: 1-line block ×3, first 2 shown]
	s_load_b32 s14, s[0:1], 0xc4c
	s_waitcnt lgkmcnt(0)
	s_ashr_i32 s3, s2, 31
	s_delay_alu instid0(SALU_CYCLE_1) | instskip(NEXT) | instid1(SALU_CYCLE_1)
	s_lshl_b64 s[4:5], s[2:3], 18
	s_add_u32 s8, s10, s4
	s_addc_u32 s9, s11, s5
	s_and_b32 s18, s8, 15
	s_add_u32 s15, s12, s4
	s_addc_u32 s16, s13, s5
	s_and_b32 s20, s6, 3
	s_and_b32 s22, s15, 15
	s_or_b64 s[18:19], s[18:19], s[20:21]
	s_lshl_b64 s[2:3], s[2:3], 16
	s_or_b64 s[18:19], s[22:23], s[18:19]
	s_sub_u32 s6, s6, s2
	s_subb_u32 s7, s7, s3
	s_cmp_eq_u64 s[18:19], 0
	s_mov_b32 s2, -1
	s_cbranch_scc0 .LBB50_5
; %bb.1:
	v_dual_mov_b32 v2, 0 :: v_dual_lshlrev_b32 v1, 2, v0
	s_mov_b32 s17, exec_lo
	s_delay_alu instid0(VALU_DEP_1)
	v_cmpx_gt_i64_e64 s[6:7], v[1:2]
	s_cbranch_execz .LBB50_4
; %bb.2:
	s_load_b32 s2, s[0:1], 0xc5c
	v_lshlrev_b32_e32 v3, 4, v0
	s_mov_b32 s18, 0
	s_waitcnt lgkmcnt(0)
	s_and_b32 s2, s2, 0xffff
	s_delay_alu instid0(SALU_CYCLE_1)
	v_add_lshl_u32 v1, v0, s2, 2
	s_lshl_b32 s19, s2, 2
	s_lshl_b32 s20, s2, 4
	s_set_inst_prefetch_distance 0x1
	.p2align	6
.LBB50_3:                               ; =>This Inner Loop Header: Depth=1
	v_add_co_u32 v12, s2, s8, v3
	s_delay_alu instid0(VALU_DEP_1) | instskip(SKIP_1) | instid1(VALU_DEP_1)
	v_add_co_ci_u32_e64 v13, null, s9, 0, s2
	v_add_co_u32 v8, s2, s15, v3
	v_add_co_ci_u32_e64 v9, null, s16, 0, s2
	global_load_b128 v[4:7], v[12:13], off
	v_cmp_le_i64_e32 vcc_lo, s[6:7], v[1:2]
	v_cmp_lt_u64_e64 s2, 0xffff, v[1:2]
	global_load_b128 v[8:11], v[8:9], off
	v_add_co_u32 v1, s3, v1, s19
	s_delay_alu instid0(VALU_DEP_1)
	v_add_co_ci_u32_e64 v2, s3, 0, v2, s3
	s_or_b32 s2, vcc_lo, s2
	s_add_u32 s8, s8, s20
	s_addc_u32 s9, s9, 0
	s_add_u32 s15, s15, s20
	s_addc_u32 s16, s16, 0
	s_and_b32 s2, exec_lo, s2
	s_delay_alu instid0(SALU_CYCLE_1)
	s_or_b32 s18, s2, s18
	s_waitcnt vmcnt(1)
	v_mul_lo_u32 v4, v4, s14
	v_mul_lo_u32 v5, v5, s14
	;; [unrolled: 1-line block ×4, first 2 shown]
	s_waitcnt vmcnt(0)
	s_delay_alu instid0(VALU_DEP_4) | instskip(NEXT) | instid1(VALU_DEP_4)
	v_mul_lo_u32 v4, v4, v8
	v_mul_lo_u32 v5, v5, v9
	s_delay_alu instid0(VALU_DEP_4) | instskip(NEXT) | instid1(VALU_DEP_4)
	v_mul_lo_u32 v6, v6, v10
	v_mul_lo_u32 v7, v7, v11
	global_store_b128 v[12:13], v[4:7], off
	s_and_not1_b32 exec_lo, exec_lo, s18
	s_cbranch_execnz .LBB50_3
.LBB50_4:
	s_set_inst_prefetch_distance 0x2
	s_or_b32 exec_lo, exec_lo, s17
	s_mov_b32 s2, 0
.LBB50_5:
	s_delay_alu instid0(SALU_CYCLE_1)
	s_and_not1_b32 vcc_lo, exec_lo, s2
	s_cbranch_vccnz .LBB50_25
; %bb.6:
	v_cmp_lt_i64_e64 s2, s[6:7], 1
	s_delay_alu instid0(VALU_DEP_1)
	s_and_b32 vcc_lo, exec_lo, s2
	s_cbranch_vccnz .LBB50_25
; %bb.7:
	s_load_b32 s0, s[0:1], 0xc5c
	v_dual_mov_b32 v10, 0 :: v_dual_lshlrev_b32 v9, 2, v0
	v_cmp_gt_u64_e64 s1, 0x10000, s[6:7]
	s_delay_alu instid0(VALU_DEP_2) | instskip(NEXT) | instid1(VALU_DEP_1)
	v_add_co_u32 v1, s2, s10, v9
	v_add_co_ci_u32_e64 v2, null, s11, 0, s2
	v_add_co_u32 v3, s2, s12, v9
	s_delay_alu instid0(VALU_DEP_1)
	v_add_co_ci_u32_e64 v4, null, s13, 0, s2
	s_waitcnt lgkmcnt(0)
	s_and_b32 s0, s0, 0xffff
	s_and_b32 s1, s1, exec_lo
	v_mad_u64_u32 v[7:8], null, s0, 12, v[9:10]
	s_cselect_b32 s9, s7, 0
	s_cselect_b32 s8, s6, 0x10000
	s_mul_i32 s2, s0, 3
	s_lshl_b32 s3, s0, 3
	s_lshl_b32 s1, s0, 1
	v_add_co_u32 v14, s3, s3, v9
	v_add_co_u32 v9, s2, s2, v0
	s_delay_alu instid0(VALU_DEP_1) | instskip(SKIP_3) | instid1(VALU_DEP_3)
	v_add_co_ci_u32_e64 v10, null, 0, 0, s2
	v_add_co_u32 v13, s2, v0, s0
	v_add_co_u32 v5, vcc_lo, s10, v7
	v_add_co_ci_u32_e32 v6, vcc_lo, s11, v8, vcc_lo
	v_lshlrev_b32_e32 v21, 2, v13
	v_add_co_u32 v7, vcc_lo, s12, v7
	v_add_co_ci_u32_e64 v15, null, 0, 0, s3
	v_add_co_ci_u32_e32 v8, vcc_lo, s13, v8, vcc_lo
	v_add_co_u32 v17, s1, s1, v0
	v_add_co_u32 v11, vcc_lo, s10, v14
	v_add_co_ci_u32_e64 v18, null, 0, 0, s1
	v_add_co_u32 v19, s1, s10, v21
	v_add_co_ci_u32_e32 v12, vcc_lo, s11, v15, vcc_lo
	v_add_co_u32 v14, vcc_lo, s12, v14
	v_add_co_ci_u32_e64 v20, null, s11, 0, s1
	v_add_co_u32 v21, s1, s12, v21
	v_add_co_ci_u32_e32 v15, vcc_lo, s13, v15, vcc_lo
	v_add_co_ci_u32_e64 v16, null, 0, 0, s2
	v_add_co_ci_u32_e64 v22, null, s13, 0, s1
	s_lshl_b32 s12, s0, 2
	s_lshl_b32 s13, s0, 4
	s_mov_b64 s[10:11], 0
	s_branch .LBB50_9
.LBB50_8:                               ;   in Loop: Header=BB50_9 Depth=1
	s_or_b32 exec_lo, exec_lo, s0
	v_add_co_u32 v1, vcc_lo, v1, s13
	v_add_co_ci_u32_e32 v2, vcc_lo, 0, v2, vcc_lo
	v_add_co_u32 v3, vcc_lo, v3, s13
	v_add_co_ci_u32_e32 v4, vcc_lo, 0, v4, vcc_lo
	;; [unrolled: 2-line block ×5, first 2 shown]
	s_add_u32 s10, s10, s12
	v_add_co_u32 v14, vcc_lo, v14, s13
	s_addc_u32 s11, s11, 0
	v_add_co_ci_u32_e32 v15, vcc_lo, 0, v15, vcc_lo
	v_cmp_ge_i64_e64 s0, s[10:11], s[6:7]
	v_cmp_lt_u64_e64 s1, 0xffff, s[10:11]
	v_add_co_u32 v19, vcc_lo, v19, s13
	v_add_co_ci_u32_e32 v20, vcc_lo, 0, v20, vcc_lo
	v_add_co_u32 v21, vcc_lo, v21, s13
	v_add_co_ci_u32_e32 v22, vcc_lo, 0, v22, vcc_lo
	s_or_b32 s0, s0, s1
	s_delay_alu instid0(SALU_CYCLE_1)
	s_and_b32 vcc_lo, exec_lo, s0
	s_cbranch_vccnz .LBB50_25
.LBB50_9:                               ; =>This Inner Loop Header: Depth=1
	s_waitcnt vmcnt(1)
	v_add_co_u32 v23, s0, v0, s10
	s_waitcnt vmcnt(0)
	v_add_co_ci_u32_e64 v24, null, 0, s11, s0
	s_delay_alu instid0(VALU_DEP_1)
	v_cmp_gt_u64_e32 vcc_lo, s[8:9], v[23:24]
	v_dual_mov_b32 v23, 0 :: v_dual_mov_b32 v24, 0
	s_and_saveexec_b32 s1, vcc_lo
	s_cbranch_execz .LBB50_11
; %bb.10:                               ;   in Loop: Header=BB50_9 Depth=1
	v_add_co_u32 v23, s0, v1, s4
	s_delay_alu instid0(VALU_DEP_1) | instskip(SKIP_1) | instid1(VALU_DEP_1)
	v_add_co_ci_u32_e64 v24, s0, s5, v2, s0
	v_add_co_u32 v25, s0, v3, s4
	v_add_co_ci_u32_e64 v26, s0, s5, v4, s0
	global_load_b32 v23, v[23:24], off
	global_load_b32 v24, v[25:26], off
.LBB50_11:                              ;   in Loop: Header=BB50_9 Depth=1
	s_or_b32 exec_lo, exec_lo, s1
	v_add_co_u32 v26, s0, v13, s10
	s_delay_alu instid0(VALU_DEP_1) | instskip(SKIP_1) | instid1(VALU_DEP_2)
	v_add_co_ci_u32_e64 v27, s0, s11, v16, s0
	v_mov_b32_e32 v25, 0
	v_cmp_gt_u64_e64 s0, s[8:9], v[26:27]
	v_dual_mov_b32 v26, 0 :: v_dual_mov_b32 v27, 0
	s_delay_alu instid0(VALU_DEP_2)
	s_and_saveexec_b32 s2, s0
	s_cbranch_execz .LBB50_13
; %bb.12:                               ;   in Loop: Header=BB50_9 Depth=1
	v_add_co_u32 v26, s1, v19, s4
	s_delay_alu instid0(VALU_DEP_1) | instskip(SKIP_1) | instid1(VALU_DEP_1)
	v_add_co_ci_u32_e64 v27, s1, s5, v20, s1
	v_add_co_u32 v28, s1, v21, s4
	v_add_co_ci_u32_e64 v29, s1, s5, v22, s1
	global_load_b32 v26, v[26:27], off
	global_load_b32 v27, v[28:29], off
.LBB50_13:                              ;   in Loop: Header=BB50_9 Depth=1
	s_or_b32 exec_lo, exec_lo, s2
	v_add_co_u32 v28, s1, v17, s10
	s_delay_alu instid0(VALU_DEP_1) | instskip(NEXT) | instid1(VALU_DEP_1)
	v_add_co_ci_u32_e64 v29, s1, s11, v18, s1
	v_cmp_gt_u64_e64 s1, s[8:9], v[28:29]
	v_mov_b32_e32 v28, 0
	s_delay_alu instid0(VALU_DEP_2)
	s_and_saveexec_b32 s3, s1
	s_cbranch_execz .LBB50_15
; %bb.14:                               ;   in Loop: Header=BB50_9 Depth=1
	v_add_co_u32 v28, s2, v11, s4
	s_delay_alu instid0(VALU_DEP_1) | instskip(SKIP_1) | instid1(VALU_DEP_1)
	v_add_co_ci_u32_e64 v29, s2, s5, v12, s2
	v_add_co_u32 v30, s2, v14, s4
	v_add_co_ci_u32_e64 v31, s2, s5, v15, s2
	global_load_b32 v25, v[28:29], off
	global_load_b32 v28, v[30:31], off
.LBB50_15:                              ;   in Loop: Header=BB50_9 Depth=1
	s_or_b32 exec_lo, exec_lo, s3
	v_add_co_u32 v29, s2, v9, s10
	s_delay_alu instid0(VALU_DEP_1) | instskip(NEXT) | instid1(VALU_DEP_1)
	v_add_co_ci_u32_e64 v30, s2, s11, v10, s2
	v_cmp_gt_u64_e64 s2, s[8:9], v[29:30]
	v_dual_mov_b32 v29, 0 :: v_dual_mov_b32 v30, 0
	s_delay_alu instid0(VALU_DEP_2)
	s_and_saveexec_b32 s15, s2
	s_cbranch_execnz .LBB50_20
; %bb.16:                               ;   in Loop: Header=BB50_9 Depth=1
	s_or_b32 exec_lo, exec_lo, s15
	s_and_saveexec_b32 s3, vcc_lo
	s_cbranch_execnz .LBB50_21
.LBB50_17:                              ;   in Loop: Header=BB50_9 Depth=1
	s_or_b32 exec_lo, exec_lo, s3
	s_and_saveexec_b32 s3, s0
	s_cbranch_execnz .LBB50_22
.LBB50_18:                              ;   in Loop: Header=BB50_9 Depth=1
	s_or_b32 exec_lo, exec_lo, s3
	s_and_saveexec_b32 s0, s1
	s_cbranch_execnz .LBB50_23
.LBB50_19:                              ;   in Loop: Header=BB50_9 Depth=1
	s_or_b32 exec_lo, exec_lo, s0
	s_and_saveexec_b32 s0, s2
	s_cbranch_execz .LBB50_8
	s_branch .LBB50_24
.LBB50_20:                              ;   in Loop: Header=BB50_9 Depth=1
	v_add_co_u32 v29, s3, v5, s4
	s_delay_alu instid0(VALU_DEP_1) | instskip(SKIP_1) | instid1(VALU_DEP_1)
	v_add_co_ci_u32_e64 v30, s3, s5, v6, s3
	v_add_co_u32 v31, s3, v7, s4
	v_add_co_ci_u32_e64 v32, s3, s5, v8, s3
	global_load_b32 v29, v[29:30], off
	global_load_b32 v30, v[31:32], off
	s_or_b32 exec_lo, exec_lo, s15
	s_and_saveexec_b32 s3, vcc_lo
	s_cbranch_execz .LBB50_17
.LBB50_21:                              ;   in Loop: Header=BB50_9 Depth=1
	s_waitcnt vmcnt(1)
	v_mul_lo_u32 v23, v23, s14
	s_waitcnt vmcnt(0)
	s_delay_alu instid0(VALU_DEP_1)
	v_mul_lo_u32 v31, v23, v24
	v_add_co_u32 v23, vcc_lo, v1, s4
	v_add_co_ci_u32_e32 v24, vcc_lo, s5, v2, vcc_lo
	global_store_b32 v[23:24], v31, off
	s_or_b32 exec_lo, exec_lo, s3
	s_and_saveexec_b32 s3, s0
	s_cbranch_execz .LBB50_18
.LBB50_22:                              ;   in Loop: Header=BB50_9 Depth=1
	s_waitcnt vmcnt(1)
	v_mul_lo_u32 v23, v26, s14
	s_waitcnt vmcnt(0)
	s_delay_alu instid0(VALU_DEP_1)
	v_mul_lo_u32 v26, v23, v27
	v_add_co_u32 v23, vcc_lo, v19, s4
	v_add_co_ci_u32_e32 v24, vcc_lo, s5, v20, vcc_lo
	global_store_b32 v[23:24], v26, off
	s_or_b32 exec_lo, exec_lo, s3
	s_and_saveexec_b32 s0, s1
	s_cbranch_execz .LBB50_19
.LBB50_23:                              ;   in Loop: Header=BB50_9 Depth=1
	s_waitcnt vmcnt(1)
	v_mul_lo_u32 v23, v25, s14
	s_waitcnt vmcnt(0)
	s_delay_alu instid0(VALU_DEP_1)
	v_mul_lo_u32 v25, v23, v28
	v_add_co_u32 v23, vcc_lo, v11, s4
	v_add_co_ci_u32_e32 v24, vcc_lo, s5, v12, vcc_lo
	global_store_b32 v[23:24], v25, off
	s_or_b32 exec_lo, exec_lo, s0
	s_and_saveexec_b32 s0, s2
	s_cbranch_execz .LBB50_8
.LBB50_24:                              ;   in Loop: Header=BB50_9 Depth=1
	s_waitcnt vmcnt(1)
	v_mul_lo_u32 v23, v29, s14
	s_waitcnt vmcnt(0)
	s_delay_alu instid0(VALU_DEP_1)
	v_mul_lo_u32 v25, v23, v30
	v_add_co_u32 v23, vcc_lo, v5, s4
	v_add_co_ci_u32_e32 v24, vcc_lo, s5, v6, vcc_lo
	global_store_b32 v[23:24], v25, off
	s_branch .LBB50_8
.LBB50_25:
	s_nop 0
	s_sendmsg sendmsg(MSG_DEALLOC_VGPRS)
	s_endpgm
	.section	.rodata,"a",@progbits
	.p2align	6, 0x0
	.amdhsa_kernel _ZN2at6native12_GLOBAL__N_125multi_tensor_apply_kernelINS1_18TensorListMetadataILi2EEENS1_24BinaryOpListAlphaFunctorIiLi2ELi2ELi0EEEJSt10multipliesIiEiEEEvT_T0_DpT1_
		.amdhsa_group_segment_fixed_size 0
		.amdhsa_private_segment_fixed_size 0
		.amdhsa_kernarg_size 3408
		.amdhsa_user_sgpr_count 15
		.amdhsa_user_sgpr_dispatch_ptr 0
		.amdhsa_user_sgpr_queue_ptr 0
		.amdhsa_user_sgpr_kernarg_segment_ptr 1
		.amdhsa_user_sgpr_dispatch_id 0
		.amdhsa_user_sgpr_private_segment_size 0
		.amdhsa_wavefront_size32 1
		.amdhsa_uses_dynamic_stack 0
		.amdhsa_enable_private_segment 0
		.amdhsa_system_sgpr_workgroup_id_x 1
		.amdhsa_system_sgpr_workgroup_id_y 0
		.amdhsa_system_sgpr_workgroup_id_z 0
		.amdhsa_system_sgpr_workgroup_info 0
		.amdhsa_system_vgpr_workitem_id 0
		.amdhsa_next_free_vgpr 33
		.amdhsa_next_free_sgpr 24
		.amdhsa_reserve_vcc 1
		.amdhsa_float_round_mode_32 0
		.amdhsa_float_round_mode_16_64 0
		.amdhsa_float_denorm_mode_32 3
		.amdhsa_float_denorm_mode_16_64 3
		.amdhsa_dx10_clamp 1
		.amdhsa_ieee_mode 1
		.amdhsa_fp16_overflow 0
		.amdhsa_workgroup_processor_mode 1
		.amdhsa_memory_ordered 1
		.amdhsa_forward_progress 0
		.amdhsa_shared_vgpr_count 0
		.amdhsa_exception_fp_ieee_invalid_op 0
		.amdhsa_exception_fp_denorm_src 0
		.amdhsa_exception_fp_ieee_div_zero 0
		.amdhsa_exception_fp_ieee_overflow 0
		.amdhsa_exception_fp_ieee_underflow 0
		.amdhsa_exception_fp_ieee_inexact 0
		.amdhsa_exception_int_div_zero 0
	.end_amdhsa_kernel
	.section	.text._ZN2at6native12_GLOBAL__N_125multi_tensor_apply_kernelINS1_18TensorListMetadataILi2EEENS1_24BinaryOpListAlphaFunctorIiLi2ELi2ELi0EEEJSt10multipliesIiEiEEEvT_T0_DpT1_,"axG",@progbits,_ZN2at6native12_GLOBAL__N_125multi_tensor_apply_kernelINS1_18TensorListMetadataILi2EEENS1_24BinaryOpListAlphaFunctorIiLi2ELi2ELi0EEEJSt10multipliesIiEiEEEvT_T0_DpT1_,comdat
.Lfunc_end50:
	.size	_ZN2at6native12_GLOBAL__N_125multi_tensor_apply_kernelINS1_18TensorListMetadataILi2EEENS1_24BinaryOpListAlphaFunctorIiLi2ELi2ELi0EEEJSt10multipliesIiEiEEEvT_T0_DpT1_, .Lfunc_end50-_ZN2at6native12_GLOBAL__N_125multi_tensor_apply_kernelINS1_18TensorListMetadataILi2EEENS1_24BinaryOpListAlphaFunctorIiLi2ELi2ELi0EEEJSt10multipliesIiEiEEEvT_T0_DpT1_
                                        ; -- End function
	.section	.AMDGPU.csdata,"",@progbits
; Kernel info:
; codeLenInByte = 1672
; NumSgprs: 26
; NumVgprs: 33
; ScratchSize: 0
; MemoryBound: 0
; FloatMode: 240
; IeeeMode: 1
; LDSByteSize: 0 bytes/workgroup (compile time only)
; SGPRBlocks: 3
; VGPRBlocks: 4
; NumSGPRsForWavesPerEU: 26
; NumVGPRsForWavesPerEU: 33
; Occupancy: 16
; WaveLimiterHint : 0
; COMPUTE_PGM_RSRC2:SCRATCH_EN: 0
; COMPUTE_PGM_RSRC2:USER_SGPR: 15
; COMPUTE_PGM_RSRC2:TRAP_HANDLER: 0
; COMPUTE_PGM_RSRC2:TGID_X_EN: 1
; COMPUTE_PGM_RSRC2:TGID_Y_EN: 0
; COMPUTE_PGM_RSRC2:TGID_Z_EN: 0
; COMPUTE_PGM_RSRC2:TIDIG_COMP_CNT: 0
	.section	.text._ZN2at6native12_GLOBAL__N_125multi_tensor_apply_kernelINS1_18TensorListMetadataILi2EEENS1_24BinaryOpListAlphaFunctorIlLi2ELi2ELi0EEEJSt10multipliesIlElEEEvT_T0_DpT1_,"axG",@progbits,_ZN2at6native12_GLOBAL__N_125multi_tensor_apply_kernelINS1_18TensorListMetadataILi2EEENS1_24BinaryOpListAlphaFunctorIlLi2ELi2ELi0EEEJSt10multipliesIlElEEEvT_T0_DpT1_,comdat
	.globl	_ZN2at6native12_GLOBAL__N_125multi_tensor_apply_kernelINS1_18TensorListMetadataILi2EEENS1_24BinaryOpListAlphaFunctorIlLi2ELi2ELi0EEEJSt10multipliesIlElEEEvT_T0_DpT1_ ; -- Begin function _ZN2at6native12_GLOBAL__N_125multi_tensor_apply_kernelINS1_18TensorListMetadataILi2EEENS1_24BinaryOpListAlphaFunctorIlLi2ELi2ELi0EEEJSt10multipliesIlElEEEvT_T0_DpT1_
	.p2align	8
	.type	_ZN2at6native12_GLOBAL__N_125multi_tensor_apply_kernelINS1_18TensorListMetadataILi2EEENS1_24BinaryOpListAlphaFunctorIlLi2ELi2ELi0EEEJSt10multipliesIlElEEEvT_T0_DpT1_,@function
_ZN2at6native12_GLOBAL__N_125multi_tensor_apply_kernelINS1_18TensorListMetadataILi2EEENS1_24BinaryOpListAlphaFunctorIlLi2ELi2ELi0EEEJSt10multipliesIlElEEEvT_T0_DpT1_: ; @_ZN2at6native12_GLOBAL__N_125multi_tensor_apply_kernelINS1_18TensorListMetadataILi2EEENS1_24BinaryOpListAlphaFunctorIlLi2ELi2ELi0EEEJSt10multipliesIlElEEEvT_T0_DpT1_
; %bb.0:
	v_mov_b32_e32 v1, s15
	s_add_u32 s2, s0, s15
	s_mul_hi_u32 s3, s15, 3
	s_mul_i32 s15, s15, 3
	s_addc_u32 s4, s1, 0
	global_load_u8 v1, v1, s[0:1] offset:1536
	s_add_u32 s2, s2, s15
	s_addc_u32 s3, s4, s3
	s_mov_b32 s19, 0
	s_load_b32 s2, s[2:3], 0x740
	s_mov_b32 s21, s19
	s_mov_b32 s23, s19
	s_waitcnt vmcnt(0)
	v_readfirstlane_b32 s3, v1
	s_delay_alu instid0(VALU_DEP_1)
	s_lshl_b32 s3, s3, 3
	s_clause 0x3
	s_load_b64 s[12:13], s[0:1], s3 offset:0x0
	s_load_b64 s[14:15], s[0:1], s3 offset:0x200
	;; [unrolled: 1-line block ×3, first 2 shown]
	s_load_b64 s[4:5], s[0:1], 0xc50
	s_waitcnt lgkmcnt(0)
	s_ashr_i32 s3, s2, 31
	s_delay_alu instid0(SALU_CYCLE_1) | instskip(NEXT) | instid1(SALU_CYCLE_1)
	s_lshl_b64 s[6:7], s[2:3], 19
	s_add_u32 s10, s12, s6
	s_addc_u32 s11, s13, s7
	s_and_b32 s18, s10, 31
	s_add_u32 s16, s14, s6
	s_addc_u32 s17, s15, s7
	s_and_b32 s20, s8, 3
	s_and_b32 s22, s16, 31
	s_or_b64 s[18:19], s[18:19], s[20:21]
	s_lshl_b64 s[2:3], s[2:3], 16
	s_or_b64 s[18:19], s[22:23], s[18:19]
	s_sub_u32 s8, s8, s2
	s_subb_u32 s9, s9, s3
	s_cmp_eq_u64 s[18:19], 0
	s_mov_b32 s2, -1
	s_cbranch_scc0 .LBB51_5
; %bb.1:
	v_dual_mov_b32 v2, 0 :: v_dual_lshlrev_b32 v1, 2, v0
	s_mov_b32 s18, exec_lo
	s_delay_alu instid0(VALU_DEP_1)
	v_cmpx_gt_i64_e64 s[8:9], v[1:2]
	s_cbranch_execz .LBB51_4
; %bb.2:
	s_load_b32 s2, s[0:1], 0xc64
	v_lshlrev_b32_e32 v3, 5, v0
	s_mov_b32 s19, 0
	s_waitcnt lgkmcnt(0)
	s_and_b32 s2, s2, 0xffff
	s_delay_alu instid0(SALU_CYCLE_1)
	v_add_lshl_u32 v1, v0, s2, 2
	s_lshl_b32 s20, s2, 2
	s_lshl_b32 s21, s2, 5
.LBB51_3:                               ; =>This Inner Loop Header: Depth=1
	v_add_co_u32 v20, s2, s10, v3
	s_delay_alu instid0(VALU_DEP_1) | instskip(SKIP_1) | instid1(VALU_DEP_1)
	v_add_co_ci_u32_e64 v21, null, s11, 0, s2
	v_add_co_u32 v16, s2, s16, v3
	v_add_co_ci_u32_e64 v17, null, s17, 0, s2
	s_clause 0x1
	global_load_b128 v[4:7], v[20:21], off
	global_load_b128 v[8:11], v[20:21], off offset:16
	s_clause 0x1
	global_load_b128 v[12:15], v[16:17], off
	global_load_b128 v[16:19], v[16:17], off offset:16
	v_cmp_le_i64_e32 vcc_lo, s[8:9], v[1:2]
	v_cmp_lt_u64_e64 s2, 0xffff, v[1:2]
	v_add_co_u32 v1, s3, v1, s20
	s_delay_alu instid0(VALU_DEP_1) | instskip(NEXT) | instid1(VALU_DEP_3)
	v_add_co_ci_u32_e64 v2, s3, 0, v2, s3
	s_or_b32 s2, vcc_lo, s2
	s_add_u32 s10, s10, s21
	s_addc_u32 s11, s11, 0
	s_add_u32 s16, s16, s21
	s_addc_u32 s17, s17, 0
	s_and_b32 s2, exec_lo, s2
	s_delay_alu instid0(SALU_CYCLE_1)
	s_or_b32 s19, s2, s19
	s_waitcnt vmcnt(3)
	v_mul_lo_u32 v5, v5, s4
	v_mul_lo_u32 v30, v4, s5
	v_mad_u64_u32 v[22:23], null, v4, s4, 0
	v_mul_lo_u32 v7, v7, s4
	v_mul_lo_u32 v31, v6, s5
	v_mad_u64_u32 v[24:25], null, v6, s4, 0
	s_waitcnt vmcnt(2)
	v_mul_lo_u32 v9, v9, s4
	v_mul_lo_u32 v32, v8, s5
	v_mad_u64_u32 v[26:27], null, v8, s4, 0
	v_mul_lo_u32 v11, v11, s4
	v_mul_lo_u32 v33, v10, s5
	v_mad_u64_u32 v[28:29], null, v10, s4, 0
	v_add3_u32 v23, v23, v30, v5
	s_waitcnt vmcnt(1)
	v_mul_lo_u32 v13, v22, v13
	v_mad_u64_u32 v[4:5], null, v22, v12, 0
	v_add3_u32 v22, v25, v31, v7
	v_mul_lo_u32 v15, v24, v15
	v_mad_u64_u32 v[6:7], null, v24, v14, 0
	v_add3_u32 v24, v27, v32, v9
	v_add3_u32 v25, v29, v33, v11
	v_mul_lo_u32 v12, v23, v12
	v_mul_lo_u32 v14, v22, v14
	s_waitcnt vmcnt(0)
	v_mul_lo_u32 v17, v26, v17
	v_mad_u64_u32 v[8:9], null, v26, v16, 0
	v_mul_lo_u32 v19, v28, v19
	v_mad_u64_u32 v[10:11], null, v28, v18, 0
	v_mul_lo_u32 v16, v24, v16
	v_mul_lo_u32 v18, v25, v18
	v_add3_u32 v5, v5, v13, v12
	v_add3_u32 v7, v7, v15, v14
	s_delay_alu instid0(VALU_DEP_4) | instskip(NEXT) | instid1(VALU_DEP_4)
	v_add3_u32 v9, v9, v17, v16
	v_add3_u32 v11, v11, v19, v18
	s_clause 0x1
	global_store_b128 v[20:21], v[4:7], off
	global_store_b128 v[20:21], v[8:11], off offset:16
	s_and_not1_b32 exec_lo, exec_lo, s19
	s_cbranch_execnz .LBB51_3
.LBB51_4:
	s_or_b32 exec_lo, exec_lo, s18
	s_mov_b32 s2, 0
.LBB51_5:
	s_delay_alu instid0(SALU_CYCLE_1)
	s_and_not1_b32 vcc_lo, exec_lo, s2
	s_cbranch_vccnz .LBB51_25
; %bb.6:
	v_cmp_lt_i64_e64 s2, s[8:9], 1
	s_delay_alu instid0(VALU_DEP_1)
	s_and_b32 vcc_lo, exec_lo, s2
	s_cbranch_vccnz .LBB51_25
; %bb.7:
	s_load_b32 s0, s[0:1], 0xc64
	v_dual_mov_b32 v2, 0 :: v_dual_lshlrev_b32 v1, 3, v0
	v_cmp_gt_u64_e64 s1, 0x10000, s[8:9]
	s_delay_alu instid0(VALU_DEP_2) | instskip(NEXT) | instid1(VALU_DEP_1)
	v_add_co_u32 v17, s2, s12, v1
	v_add_co_ci_u32_e64 v18, null, s13, 0, s2
	v_add_co_u32 v19, s2, s14, v1
	s_delay_alu instid0(VALU_DEP_1)
	v_add_co_ci_u32_e64 v20, null, s15, 0, s2
	s_waitcnt lgkmcnt(0)
	s_and_b32 s0, s0, 0xffff
	s_and_b32 s1, s1, exec_lo
	v_mad_u64_u32 v[3:4], null, s0, 24, v[1:2]
	s_cselect_b32 s11, s9, 0
	s_cselect_b32 s10, s8, 0x10000
	s_lshl_b32 s3, s0, 4
	s_mul_i32 s2, s0, 3
	v_add_co_u32 v1, s3, s3, v1
	s_delay_alu instid0(VALU_DEP_2) | instskip(NEXT) | instid1(VALU_DEP_3)
	v_add_co_u32 v21, vcc_lo, s12, v3
	v_add_co_ci_u32_e32 v22, vcc_lo, s13, v4, vcc_lo
	v_add_co_u32 v25, s2, s2, v0
	v_add_co_u32 v23, vcc_lo, s14, v3
	v_add_co_ci_u32_e64 v2, null, 0, 0, s3
	v_add_co_ci_u32_e64 v26, null, 0, 0, s2
	v_add_co_u32 v29, s2, v0, s0
	v_add_co_ci_u32_e32 v24, vcc_lo, s15, v4, vcc_lo
	v_add_co_u32 v27, vcc_lo, s12, v1
	v_add_co_ci_u32_e32 v28, vcc_lo, s13, v2, vcc_lo
	v_add_co_u32 v30, vcc_lo, s14, v1
	v_lshlrev_b32_e32 v1, 3, v29
	s_lshl_b32 s1, s0, 1
	v_add_co_ci_u32_e32 v31, vcc_lo, s15, v2, vcc_lo
	v_add_co_u32 v33, s1, s1, v0
	s_delay_alu instid0(VALU_DEP_1) | instskip(SKIP_1) | instid1(VALU_DEP_1)
	v_add_co_ci_u32_e64 v34, null, 0, 0, s1
	v_add_co_u32 v35, s1, s12, v1
	v_add_co_ci_u32_e64 v36, null, s13, 0, s1
	v_add_co_u32 v37, s1, s14, v1
	v_add_co_ci_u32_e64 v32, null, 0, 0, s2
	v_add_co_ci_u32_e64 v38, null, s15, 0, s1
	s_lshl_b32 s14, s0, 2
	s_lshl_b32 s15, s0, 5
	s_mov_b64 s[12:13], 0
	s_branch .LBB51_9
.LBB51_8:                               ;   in Loop: Header=BB51_9 Depth=1
	s_or_b32 exec_lo, exec_lo, s0
	v_add_co_u32 v17, vcc_lo, v17, s15
	v_add_co_ci_u32_e32 v18, vcc_lo, 0, v18, vcc_lo
	v_add_co_u32 v19, vcc_lo, v19, s15
	v_add_co_ci_u32_e32 v20, vcc_lo, 0, v20, vcc_lo
	;; [unrolled: 2-line block ×5, first 2 shown]
	s_add_u32 s12, s12, s14
	v_add_co_u32 v30, vcc_lo, v30, s15
	s_addc_u32 s13, s13, 0
	v_add_co_ci_u32_e32 v31, vcc_lo, 0, v31, vcc_lo
	v_cmp_ge_i64_e64 s0, s[12:13], s[8:9]
	v_cmp_lt_u64_e64 s1, 0xffff, s[12:13]
	v_add_co_u32 v35, vcc_lo, v35, s15
	v_add_co_ci_u32_e32 v36, vcc_lo, 0, v36, vcc_lo
	v_add_co_u32 v37, vcc_lo, v37, s15
	v_add_co_ci_u32_e32 v38, vcc_lo, 0, v38, vcc_lo
	s_or_b32 s0, s0, s1
	s_delay_alu instid0(SALU_CYCLE_1)
	s_and_b32 vcc_lo, exec_lo, s0
	s_cbranch_vccnz .LBB51_25
.LBB51_9:                               ; =>This Inner Loop Header: Depth=1
	s_waitcnt vmcnt(1)
	v_add_co_u32 v3, s0, v0, s12
	s_delay_alu instid0(VALU_DEP_1) | instskip(SKIP_2) | instid1(VALU_DEP_3)
	v_add_co_ci_u32_e64 v4, null, 0, s13, s0
	v_mov_b32_e32 v1, 0
	v_mov_b32_e32 v2, 0
	v_cmp_gt_u64_e32 vcc_lo, s[10:11], v[3:4]
	s_delay_alu instid0(VALU_DEP_2)
	v_dual_mov_b32 v8, v2 :: v_dual_mov_b32 v7, v1
	s_waitcnt vmcnt(0)
	v_dual_mov_b32 v6, v2 :: v_dual_mov_b32 v5, v1
	s_and_saveexec_b32 s1, vcc_lo
	s_cbranch_execz .LBB51_11
; %bb.10:                               ;   in Loop: Header=BB51_9 Depth=1
	v_add_co_u32 v3, s0, v17, s6
	s_delay_alu instid0(VALU_DEP_1) | instskip(SKIP_1) | instid1(VALU_DEP_1)
	v_add_co_ci_u32_e64 v4, s0, s7, v18, s0
	v_add_co_u32 v5, s0, v19, s6
	v_add_co_ci_u32_e64 v6, s0, s7, v20, s0
	global_load_b64 v[7:8], v[3:4], off
	global_load_b64 v[5:6], v[5:6], off
.LBB51_11:                              ;   in Loop: Header=BB51_9 Depth=1
	s_or_b32 exec_lo, exec_lo, s1
	v_add_co_u32 v3, s0, v29, s12
	s_delay_alu instid0(VALU_DEP_1) | instskip(SKIP_1) | instid1(VALU_DEP_2)
	v_add_co_ci_u32_e64 v4, s0, s13, v32, s0
	v_dual_mov_b32 v10, v2 :: v_dual_mov_b32 v9, v1
	v_cmp_gt_u64_e64 s0, s[10:11], v[3:4]
	s_delay_alu instid0(VALU_DEP_1)
	s_and_saveexec_b32 s2, s0
	s_cbranch_execz .LBB51_13
; %bb.12:                               ;   in Loop: Header=BB51_9 Depth=1
	v_add_co_u32 v1, s1, v35, s6
	s_delay_alu instid0(VALU_DEP_1) | instskip(SKIP_1) | instid1(VALU_DEP_1)
	v_add_co_ci_u32_e64 v2, s1, s7, v36, s1
	v_add_co_u32 v3, s1, v37, s6
	v_add_co_ci_u32_e64 v4, s1, s7, v38, s1
	global_load_b64 v[1:2], v[1:2], off
	global_load_b64 v[9:10], v[3:4], off
.LBB51_13:                              ;   in Loop: Header=BB51_9 Depth=1
	s_or_b32 exec_lo, exec_lo, s2
	v_add_co_u32 v11, s1, v33, s12
	s_delay_alu instid0(VALU_DEP_1) | instskip(SKIP_2) | instid1(VALU_DEP_3)
	v_add_co_ci_u32_e64 v12, s1, s13, v34, s1
	v_mov_b32_e32 v3, 0
	v_mov_b32_e32 v4, 0
	v_cmp_gt_u64_e64 s1, s[10:11], v[11:12]
	s_delay_alu instid0(VALU_DEP_2) | instskip(SKIP_1) | instid1(VALU_DEP_3)
	v_dual_mov_b32 v14, v4 :: v_dual_mov_b32 v13, v3
	v_dual_mov_b32 v12, v4 :: v_dual_mov_b32 v11, v3
	s_and_saveexec_b32 s3, s1
	s_cbranch_execz .LBB51_15
; %bb.14:                               ;   in Loop: Header=BB51_9 Depth=1
	v_add_co_u32 v11, s2, v27, s6
	s_delay_alu instid0(VALU_DEP_1) | instskip(SKIP_1) | instid1(VALU_DEP_1)
	v_add_co_ci_u32_e64 v12, s2, s7, v28, s2
	v_add_co_u32 v15, s2, v30, s6
	v_add_co_ci_u32_e64 v16, s2, s7, v31, s2
	global_load_b64 v[13:14], v[11:12], off
	global_load_b64 v[11:12], v[15:16], off
.LBB51_15:                              ;   in Loop: Header=BB51_9 Depth=1
	s_or_b32 exec_lo, exec_lo, s3
	v_add_co_u32 v15, s2, v25, s12
	s_delay_alu instid0(VALU_DEP_1) | instskip(NEXT) | instid1(VALU_DEP_1)
	v_add_co_ci_u32_e64 v16, s2, s13, v26, s2
	v_cmp_gt_u64_e64 s2, s[10:11], v[15:16]
	v_dual_mov_b32 v16, v4 :: v_dual_mov_b32 v15, v3
	s_delay_alu instid0(VALU_DEP_2)
	s_and_saveexec_b32 s16, s2
	s_cbranch_execnz .LBB51_20
; %bb.16:                               ;   in Loop: Header=BB51_9 Depth=1
	s_or_b32 exec_lo, exec_lo, s16
	s_and_saveexec_b32 s3, vcc_lo
	s_cbranch_execnz .LBB51_21
.LBB51_17:                              ;   in Loop: Header=BB51_9 Depth=1
	s_or_b32 exec_lo, exec_lo, s3
	s_and_saveexec_b32 s3, s0
	s_cbranch_execnz .LBB51_22
.LBB51_18:                              ;   in Loop: Header=BB51_9 Depth=1
	s_or_b32 exec_lo, exec_lo, s3
	s_and_saveexec_b32 s0, s1
	s_cbranch_execnz .LBB51_23
.LBB51_19:                              ;   in Loop: Header=BB51_9 Depth=1
	s_or_b32 exec_lo, exec_lo, s0
	s_and_saveexec_b32 s0, s2
	s_cbranch_execz .LBB51_8
	s_branch .LBB51_24
.LBB51_20:                              ;   in Loop: Header=BB51_9 Depth=1
	v_add_co_u32 v3, s3, v21, s6
	s_delay_alu instid0(VALU_DEP_1) | instskip(SKIP_1) | instid1(VALU_DEP_1)
	v_add_co_ci_u32_e64 v4, s3, s7, v22, s3
	v_add_co_u32 v15, s3, v23, s6
	v_add_co_ci_u32_e64 v16, s3, s7, v24, s3
	global_load_b64 v[3:4], v[3:4], off
	global_load_b64 v[15:16], v[15:16], off
	s_or_b32 exec_lo, exec_lo, s16
	s_and_saveexec_b32 s3, vcc_lo
	s_cbranch_execz .LBB51_17
.LBB51_21:                              ;   in Loop: Header=BB51_9 Depth=1
	s_waitcnt vmcnt(1)
	v_mul_lo_u32 v8, v8, s4
	v_mul_lo_u32 v41, v7, s5
	v_mad_u64_u32 v[39:40], null, v7, s4, 0
	s_delay_alu instid0(VALU_DEP_1) | instskip(SKIP_1) | instid1(VALU_DEP_2)
	v_add3_u32 v8, v40, v41, v8
	s_waitcnt vmcnt(0)
	v_mul_lo_u32 v40, v39, v6
	v_mad_u64_u32 v[6:7], null, v39, v5, 0
	v_add_co_u32 v39, vcc_lo, v17, s6
	v_mul_lo_u32 v5, v8, v5
	s_delay_alu instid0(VALU_DEP_1)
	v_add3_u32 v7, v7, v40, v5
	v_add_co_ci_u32_e32 v40, vcc_lo, s7, v18, vcc_lo
	global_store_b64 v[39:40], v[6:7], off
	s_or_b32 exec_lo, exec_lo, s3
	s_and_saveexec_b32 s3, s0
	s_cbranch_execz .LBB51_18
.LBB51_22:                              ;   in Loop: Header=BB51_9 Depth=1
	s_waitcnt vmcnt(1)
	v_mul_lo_u32 v2, v2, s4
	v_mul_lo_u32 v7, v1, s5
	s_waitcnt vmcnt(0)
	v_mad_u64_u32 v[5:6], null, v1, s4, 0
	s_delay_alu instid0(VALU_DEP_1) | instskip(NEXT) | instid1(VALU_DEP_2)
	v_add3_u32 v6, v6, v7, v2
	v_mul_lo_u32 v7, v5, v10
	v_mad_u64_u32 v[1:2], null, v5, v9, 0
	s_delay_alu instid0(VALU_DEP_3) | instskip(NEXT) | instid1(VALU_DEP_1)
	v_mul_lo_u32 v5, v6, v9
	v_add3_u32 v2, v2, v7, v5
	v_add_co_u32 v5, vcc_lo, v35, s6
	v_add_co_ci_u32_e32 v6, vcc_lo, s7, v36, vcc_lo
	global_store_b64 v[5:6], v[1:2], off
	s_or_b32 exec_lo, exec_lo, s3
	s_and_saveexec_b32 s0, s1
	s_cbranch_execz .LBB51_19
.LBB51_23:                              ;   in Loop: Header=BB51_9 Depth=1
	s_waitcnt vmcnt(0)
	v_mul_lo_u32 v5, v14, s4
	v_mul_lo_u32 v6, v13, s5
	v_mad_u64_u32 v[1:2], null, v13, s4, 0
	s_delay_alu instid0(VALU_DEP_1) | instskip(NEXT) | instid1(VALU_DEP_2)
	v_add3_u32 v2, v2, v6, v5
	v_mul_lo_u32 v7, v1, v12
	v_mad_u64_u32 v[5:6], null, v1, v11, 0
	s_delay_alu instid0(VALU_DEP_3) | instskip(NEXT) | instid1(VALU_DEP_1)
	v_mul_lo_u32 v1, v2, v11
	v_add3_u32 v6, v6, v7, v1
	v_add_co_u32 v1, vcc_lo, v27, s6
	v_add_co_ci_u32_e32 v2, vcc_lo, s7, v28, vcc_lo
	global_store_b64 v[1:2], v[5:6], off
	s_or_b32 exec_lo, exec_lo, s0
	s_and_saveexec_b32 s0, s2
	s_cbranch_execz .LBB51_8
.LBB51_24:                              ;   in Loop: Header=BB51_9 Depth=1
	s_waitcnt vmcnt(1)
	v_mul_lo_u32 v4, v4, s4
	s_waitcnt vmcnt(0)
	v_mul_lo_u32 v5, v3, s5
	v_mad_u64_u32 v[1:2], null, v3, s4, 0
	s_delay_alu instid0(VALU_DEP_1) | instskip(NEXT) | instid1(VALU_DEP_2)
	v_add3_u32 v4, v2, v5, v4
	v_mul_lo_u32 v5, v1, v16
	v_mad_u64_u32 v[2:3], null, v1, v15, 0
	s_delay_alu instid0(VALU_DEP_3) | instskip(SKIP_1) | instid1(VALU_DEP_2)
	v_mul_lo_u32 v1, v4, v15
	v_add_co_u32 v4, vcc_lo, v21, s6
	v_add3_u32 v3, v3, v5, v1
	v_add_co_ci_u32_e32 v5, vcc_lo, s7, v22, vcc_lo
	global_store_b64 v[4:5], v[2:3], off
	s_branch .LBB51_8
.LBB51_25:
	s_nop 0
	s_sendmsg sendmsg(MSG_DEALLOC_VGPRS)
	s_endpgm
	.section	.rodata,"a",@progbits
	.p2align	6, 0x0
	.amdhsa_kernel _ZN2at6native12_GLOBAL__N_125multi_tensor_apply_kernelINS1_18TensorListMetadataILi2EEENS1_24BinaryOpListAlphaFunctorIlLi2ELi2ELi0EEEJSt10multipliesIlElEEEvT_T0_DpT1_
		.amdhsa_group_segment_fixed_size 0
		.amdhsa_private_segment_fixed_size 0
		.amdhsa_kernarg_size 3416
		.amdhsa_user_sgpr_count 15
		.amdhsa_user_sgpr_dispatch_ptr 0
		.amdhsa_user_sgpr_queue_ptr 0
		.amdhsa_user_sgpr_kernarg_segment_ptr 1
		.amdhsa_user_sgpr_dispatch_id 0
		.amdhsa_user_sgpr_private_segment_size 0
		.amdhsa_wavefront_size32 1
		.amdhsa_uses_dynamic_stack 0
		.amdhsa_enable_private_segment 0
		.amdhsa_system_sgpr_workgroup_id_x 1
		.amdhsa_system_sgpr_workgroup_id_y 0
		.amdhsa_system_sgpr_workgroup_id_z 0
		.amdhsa_system_sgpr_workgroup_info 0
		.amdhsa_system_vgpr_workitem_id 0
		.amdhsa_next_free_vgpr 42
		.amdhsa_next_free_sgpr 24
		.amdhsa_reserve_vcc 1
		.amdhsa_float_round_mode_32 0
		.amdhsa_float_round_mode_16_64 0
		.amdhsa_float_denorm_mode_32 3
		.amdhsa_float_denorm_mode_16_64 3
		.amdhsa_dx10_clamp 1
		.amdhsa_ieee_mode 1
		.amdhsa_fp16_overflow 0
		.amdhsa_workgroup_processor_mode 1
		.amdhsa_memory_ordered 1
		.amdhsa_forward_progress 0
		.amdhsa_shared_vgpr_count 0
		.amdhsa_exception_fp_ieee_invalid_op 0
		.amdhsa_exception_fp_denorm_src 0
		.amdhsa_exception_fp_ieee_div_zero 0
		.amdhsa_exception_fp_ieee_overflow 0
		.amdhsa_exception_fp_ieee_underflow 0
		.amdhsa_exception_fp_ieee_inexact 0
		.amdhsa_exception_int_div_zero 0
	.end_amdhsa_kernel
	.section	.text._ZN2at6native12_GLOBAL__N_125multi_tensor_apply_kernelINS1_18TensorListMetadataILi2EEENS1_24BinaryOpListAlphaFunctorIlLi2ELi2ELi0EEEJSt10multipliesIlElEEEvT_T0_DpT1_,"axG",@progbits,_ZN2at6native12_GLOBAL__N_125multi_tensor_apply_kernelINS1_18TensorListMetadataILi2EEENS1_24BinaryOpListAlphaFunctorIlLi2ELi2ELi0EEEJSt10multipliesIlElEEEvT_T0_DpT1_,comdat
.Lfunc_end51:
	.size	_ZN2at6native12_GLOBAL__N_125multi_tensor_apply_kernelINS1_18TensorListMetadataILi2EEENS1_24BinaryOpListAlphaFunctorIlLi2ELi2ELi0EEEJSt10multipliesIlElEEEvT_T0_DpT1_, .Lfunc_end51-_ZN2at6native12_GLOBAL__N_125multi_tensor_apply_kernelINS1_18TensorListMetadataILi2EEENS1_24BinaryOpListAlphaFunctorIlLi2ELi2ELi0EEEJSt10multipliesIlElEEEvT_T0_DpT1_
                                        ; -- End function
	.section	.AMDGPU.csdata,"",@progbits
; Kernel info:
; codeLenInByte = 2140
; NumSgprs: 26
; NumVgprs: 42
; ScratchSize: 0
; MemoryBound: 0
; FloatMode: 240
; IeeeMode: 1
; LDSByteSize: 0 bytes/workgroup (compile time only)
; SGPRBlocks: 3
; VGPRBlocks: 5
; NumSGPRsForWavesPerEU: 26
; NumVGPRsForWavesPerEU: 42
; Occupancy: 16
; WaveLimiterHint : 0
; COMPUTE_PGM_RSRC2:SCRATCH_EN: 0
; COMPUTE_PGM_RSRC2:USER_SGPR: 15
; COMPUTE_PGM_RSRC2:TRAP_HANDLER: 0
; COMPUTE_PGM_RSRC2:TGID_X_EN: 1
; COMPUTE_PGM_RSRC2:TGID_Y_EN: 0
; COMPUTE_PGM_RSRC2:TGID_Z_EN: 0
; COMPUTE_PGM_RSRC2:TIDIG_COMP_CNT: 0
	.section	.text._ZN2at6native12_GLOBAL__N_125multi_tensor_apply_kernelINS1_18TensorListMetadataILi2EEENS1_24BinaryOpListAlphaFunctorIsLi2ELi2ELi0EEEJSt10multipliesIsEsEEEvT_T0_DpT1_,"axG",@progbits,_ZN2at6native12_GLOBAL__N_125multi_tensor_apply_kernelINS1_18TensorListMetadataILi2EEENS1_24BinaryOpListAlphaFunctorIsLi2ELi2ELi0EEEJSt10multipliesIsEsEEEvT_T0_DpT1_,comdat
	.globl	_ZN2at6native12_GLOBAL__N_125multi_tensor_apply_kernelINS1_18TensorListMetadataILi2EEENS1_24BinaryOpListAlphaFunctorIsLi2ELi2ELi0EEEJSt10multipliesIsEsEEEvT_T0_DpT1_ ; -- Begin function _ZN2at6native12_GLOBAL__N_125multi_tensor_apply_kernelINS1_18TensorListMetadataILi2EEENS1_24BinaryOpListAlphaFunctorIsLi2ELi2ELi0EEEJSt10multipliesIsEsEEEvT_T0_DpT1_
	.p2align	8
	.type	_ZN2at6native12_GLOBAL__N_125multi_tensor_apply_kernelINS1_18TensorListMetadataILi2EEENS1_24BinaryOpListAlphaFunctorIsLi2ELi2ELi0EEEJSt10multipliesIsEsEEEvT_T0_DpT1_,@function
_ZN2at6native12_GLOBAL__N_125multi_tensor_apply_kernelINS1_18TensorListMetadataILi2EEENS1_24BinaryOpListAlphaFunctorIsLi2ELi2ELi0EEEJSt10multipliesIsEsEEEvT_T0_DpT1_: ; @_ZN2at6native12_GLOBAL__N_125multi_tensor_apply_kernelINS1_18TensorListMetadataILi2EEENS1_24BinaryOpListAlphaFunctorIsLi2ELi2ELi0EEEJSt10multipliesIsEsEEEvT_T0_DpT1_
; %bb.0:
	v_mov_b32_e32 v1, s15
	s_mul_i32 s4, s15, 3
	s_mul_hi_u32 s3, s15, 3
	s_mov_b32 s9, 0
	s_load_b32 s2, s[0:1], 0xc48
	global_load_u8 v1, v1, s[0:1] offset:1536
	s_mov_b32 s19, s9
	s_mov_b32 s17, s9
	s_waitcnt lgkmcnt(0)
	s_lshr_b32 s14, s2, 16
	s_add_u32 s2, s0, s15
	s_addc_u32 s5, s1, 0
	s_add_u32 s2, s2, s4
	s_addc_u32 s3, s5, s3
	s_load_b32 s2, s[2:3], 0x740
	s_waitcnt vmcnt(0)
	v_readfirstlane_b32 s6, v1
	s_delay_alu instid0(VALU_DEP_1)
	s_lshl_b32 s3, s6, 3
	s_clause 0x2
	s_load_b64 s[10:11], s[0:1], s3 offset:0x0
	s_load_b64 s[12:13], s[0:1], s3 offset:0x200
	;; [unrolled: 1-line block ×3, first 2 shown]
	s_waitcnt lgkmcnt(0)
	s_ashr_i32 s3, s2, 31
	s_delay_alu instid0(SALU_CYCLE_1) | instskip(SKIP_4) | instid1(SALU_CYCLE_1)
	s_lshl_b64 s[4:5], s[2:3], 17
	s_lshl_b64 s[2:3], s[2:3], 16
	s_and_b32 s8, s10, 7
	s_and_b32 s16, s12, 7
	;; [unrolled: 1-line block ×3, first 2 shown]
	s_or_b64 s[8:9], s[8:9], s[18:19]
	s_delay_alu instid0(SALU_CYCLE_1)
	s_or_b64 s[8:9], s[16:17], s[8:9]
	s_sub_u32 s6, s6, s2
	s_subb_u32 s7, s7, s3
	s_cmp_eq_u64 s[8:9], 0
	s_mov_b32 s2, -1
	s_cbranch_scc0 .LBB52_5
; %bb.1:
	v_dual_mov_b32 v2, 0 :: v_dual_lshlrev_b32 v1, 2, v0
	s_mov_b32 s8, exec_lo
	s_delay_alu instid0(VALU_DEP_1)
	v_cmpx_gt_i64_e64 s[6:7], v[1:2]
	s_cbranch_execz .LBB52_4
; %bb.2:
	s_load_b32 s2, s[0:1], 0xc5c
	v_lshlrev_b32_e32 v1, 3, v0
	s_mov_b32 s9, 0
	s_delay_alu instid0(VALU_DEP_1) | instskip(NEXT) | instid1(VALU_DEP_1)
	v_add_co_u32 v3, s3, s4, v1
	v_add_co_ci_u32_e64 v4, null, s5, 0, s3
	s_waitcnt lgkmcnt(0)
	s_and_b32 s2, s2, 0xffff
	s_delay_alu instid0(SALU_CYCLE_1)
	v_add_lshl_u32 v1, v0, s2, 2
	s_lshl_b32 s15, s2, 3
	s_lshl_b32 s16, s2, 2
.LBB52_3:                               ; =>This Inner Loop Header: Depth=1
	v_add_co_u32 v5, vcc_lo, s10, v3
	v_add_co_ci_u32_e32 v6, vcc_lo, s11, v4, vcc_lo
	v_add_co_u32 v7, vcc_lo, s12, v3
	v_add_co_ci_u32_e32 v8, vcc_lo, s13, v4, vcc_lo
	v_cmp_le_i64_e32 vcc_lo, s[6:7], v[1:2]
	global_load_b64 v[9:10], v[5:6], off
	global_load_b64 v[7:8], v[7:8], off
	v_cmp_lt_u64_e64 s2, 0xffff, v[1:2]
	v_add_co_u32 v3, s3, v3, s15
	s_delay_alu instid0(VALU_DEP_1) | instskip(SKIP_1) | instid1(VALU_DEP_4)
	v_add_co_ci_u32_e64 v4, s3, 0, v4, s3
	v_add_co_u32 v1, s3, v1, s16
	s_or_b32 s2, vcc_lo, s2
	v_add_co_ci_u32_e64 v2, s3, 0, v2, s3
	s_and_b32 s2, exec_lo, s2
	s_delay_alu instid0(SALU_CYCLE_1)
	s_or_b32 s9, s2, s9
	s_waitcnt vmcnt(1)
	v_lshrrev_b32_e32 v11, 16, v9
	v_mul_lo_u16 v9, v9, s14
	s_waitcnt vmcnt(0)
	v_lshrrev_b32_e32 v12, 16, v7
	v_mul_lo_u16 v13, v10, s14
	v_lshrrev_b32_e32 v10, 16, v10
	v_mul_lo_u16 v11, v11, s14
	;; [unrolled: 2-line block ×3, first 2 shown]
	v_mul_lo_u16 v8, v13, v8
	v_mul_lo_u16 v9, v10, s14
	;; [unrolled: 1-line block ×3, first 2 shown]
	s_delay_alu instid0(VALU_DEP_4) | instskip(NEXT) | instid1(VALU_DEP_4)
	v_and_b32_e32 v7, 0xffff, v7
	v_and_b32_e32 v8, 0xffff, v8
	s_delay_alu instid0(VALU_DEP_4) | instskip(NEXT) | instid1(VALU_DEP_4)
	v_mul_lo_u16 v9, v9, v14
	v_lshlrev_b32_e32 v10, 16, v10
	s_delay_alu instid0(VALU_DEP_2) | instskip(NEXT) | instid1(VALU_DEP_2)
	v_lshlrev_b32_e32 v9, 16, v9
	v_or_b32_e32 v7, v10, v7
	s_delay_alu instid0(VALU_DEP_2) | instskip(NEXT) | instid1(VALU_DEP_2)
	v_or3_b32 v8, 0, v8, v9
	v_or3_b32 v7, v7, 0, 0
	global_store_b64 v[5:6], v[7:8], off
	s_and_not1_b32 exec_lo, exec_lo, s9
	s_cbranch_execnz .LBB52_3
.LBB52_4:
	s_or_b32 exec_lo, exec_lo, s8
	s_mov_b32 s2, 0
.LBB52_5:
	s_delay_alu instid0(SALU_CYCLE_1)
	s_and_not1_b32 vcc_lo, exec_lo, s2
	s_cbranch_vccnz .LBB52_25
; %bb.6:
	v_cmp_lt_i64_e64 s2, s[6:7], 1
	s_delay_alu instid0(VALU_DEP_1)
	s_and_b32 vcc_lo, exec_lo, s2
	s_cbranch_vccnz .LBB52_25
; %bb.7:
	s_load_b32 s0, s[0:1], 0xc5c
	v_dual_mov_b32 v2, 0 :: v_dual_lshlrev_b32 v1, 1, v0
	v_cmp_gt_u64_e64 s1, 0x10000, s[6:7]
	s_delay_alu instid0(VALU_DEP_2) | instskip(NEXT) | instid1(VALU_DEP_1)
	v_add_co_u32 v3, s2, s10, v1
	v_add_co_ci_u32_e64 v4, null, s11, 0, s2
	v_add_co_u32 v5, s2, s12, v1
	s_delay_alu instid0(VALU_DEP_1)
	v_add_co_ci_u32_e64 v6, null, s13, 0, s2
	s_waitcnt lgkmcnt(0)
	s_and_b32 s0, s0, 0xffff
	s_and_b32 s1, s1, exec_lo
	v_mad_u64_u32 v[9:10], null, s0, 6, v[1:2]
	s_cselect_b32 s9, s7, 0
	s_cselect_b32 s8, s6, 0x10000
	s_lshl_b32 s15, s0, 2
	s_mul_i32 s2, s0, 3
	v_add_co_u32 v1, s3, s15, v1
	s_delay_alu instid0(VALU_DEP_2) | instskip(NEXT) | instid1(VALU_DEP_3)
	v_add_co_u32 v7, vcc_lo, s10, v9
	v_add_co_ci_u32_e32 v8, vcc_lo, s11, v10, vcc_lo
	v_add_co_u32 v11, s2, s2, v0
	v_add_co_u32 v9, vcc_lo, s12, v9
	v_add_co_ci_u32_e64 v2, null, 0, 0, s3
	v_add_co_ci_u32_e64 v12, null, 0, 0, s2
	v_add_co_u32 v15, s2, v0, s0
	v_add_co_ci_u32_e32 v10, vcc_lo, s13, v10, vcc_lo
	v_add_co_u32 v13, vcc_lo, s10, v1
	v_add_co_ci_u32_e32 v14, vcc_lo, s11, v2, vcc_lo
	v_add_co_u32 v16, vcc_lo, s12, v1
	v_lshlrev_b32_e32 v1, 1, v15
	s_lshl_b32 s1, s0, 1
	v_add_co_ci_u32_e32 v17, vcc_lo, s13, v2, vcc_lo
	v_add_co_u32 v19, s1, s1, v0
	s_delay_alu instid0(VALU_DEP_1) | instskip(SKIP_1) | instid1(VALU_DEP_1)
	v_add_co_ci_u32_e64 v20, null, 0, 0, s1
	v_add_co_u32 v21, s1, s10, v1
	v_add_co_ci_u32_e64 v22, null, s11, 0, s1
	v_add_co_u32 v23, s1, s12, v1
	v_add_co_ci_u32_e64 v18, null, 0, 0, s2
	v_add_co_ci_u32_e64 v24, null, s13, 0, s1
	s_mov_b32 s12, 0
	s_lshl_b32 s13, s0, 3
	s_mov_b64 s[10:11], 0
	s_branch .LBB52_9
.LBB52_8:                               ;   in Loop: Header=BB52_9 Depth=1
	s_or_b32 exec_lo, exec_lo, s0
	v_add_co_u32 v3, vcc_lo, v3, s13
	v_add_co_ci_u32_e32 v4, vcc_lo, 0, v4, vcc_lo
	v_add_co_u32 v5, vcc_lo, v5, s13
	v_add_co_ci_u32_e32 v6, vcc_lo, 0, v6, vcc_lo
	;; [unrolled: 2-line block ×5, first 2 shown]
	s_add_u32 s10, s10, s15
	v_add_co_u32 v16, vcc_lo, v16, s13
	s_addc_u32 s11, s11, 0
	v_add_co_ci_u32_e32 v17, vcc_lo, 0, v17, vcc_lo
	v_cmp_ge_i64_e64 s0, s[10:11], s[6:7]
	v_cmp_lt_u64_e64 s1, 0xffff, s[10:11]
	v_add_co_u32 v21, vcc_lo, v21, s13
	v_add_co_ci_u32_e32 v22, vcc_lo, 0, v22, vcc_lo
	v_add_co_u32 v23, vcc_lo, v23, s13
	v_add_co_ci_u32_e32 v24, vcc_lo, 0, v24, vcc_lo
	s_or_b32 s0, s0, s1
	s_delay_alu instid0(SALU_CYCLE_1)
	s_and_b32 vcc_lo, exec_lo, s0
	s_cbranch_vccnz .LBB52_25
.LBB52_9:                               ; =>This Inner Loop Header: Depth=1
	v_add_co_u32 v1, s0, v0, s10
	s_delay_alu instid0(VALU_DEP_1) | instskip(SKIP_2) | instid1(VALU_DEP_2)
	v_add_co_ci_u32_e64 v2, null, 0, s11, s0
	s_waitcnt vmcnt(0)
	v_mov_b32_e32 v25, 0
	v_cmp_gt_u64_e32 vcc_lo, s[8:9], v[1:2]
	v_mov_b32_e32 v1, 0
	v_mov_b32_e32 v2, 0
	s_and_saveexec_b32 s1, vcc_lo
	s_cbranch_execz .LBB52_11
; %bb.10:                               ;   in Loop: Header=BB52_9 Depth=1
	v_add_co_u32 v1, s0, v3, s4
	s_delay_alu instid0(VALU_DEP_1) | instskip(SKIP_2) | instid1(VALU_DEP_1)
	v_add_co_ci_u32_e64 v2, s0, s5, v4, s0
	global_load_u16 v26, v[1:2], off
	v_add_co_u32 v1, s0, v5, s4
	v_add_co_ci_u32_e64 v2, s0, s5, v6, s0
	global_load_u16 v25, v[1:2], off
	s_waitcnt vmcnt(1)
	v_dual_mov_b32 v2, s12 :: v_dual_and_b32 v1, 0xffff, v26
.LBB52_11:                              ;   in Loop: Header=BB52_9 Depth=1
	s_or_b32 exec_lo, exec_lo, s1
	v_add_co_u32 v26, s0, v15, s10
	s_delay_alu instid0(VALU_DEP_1) | instskip(NEXT) | instid1(VALU_DEP_1)
	v_add_co_ci_u32_e64 v27, s0, s11, v18, s0
	v_cmp_gt_u64_e64 s0, s[8:9], v[26:27]
	v_dual_mov_b32 v26, 0 :: v_dual_mov_b32 v27, 0
	s_delay_alu instid0(VALU_DEP_2)
	s_and_saveexec_b32 s2, s0
	s_cbranch_execz .LBB52_13
; %bb.12:                               ;   in Loop: Header=BB52_9 Depth=1
	v_add_co_u32 v27, s1, v21, s4
	s_delay_alu instid0(VALU_DEP_1) | instskip(SKIP_2) | instid1(VALU_DEP_1)
	v_add_co_ci_u32_e64 v28, s1, s5, v22, s1
	global_load_u16 v29, v[27:28], off
	v_add_co_u32 v27, s1, v23, s4
	v_add_co_ci_u32_e64 v28, s1, s5, v24, s1
	global_load_u16 v27, v[27:28], off
	s_waitcnt vmcnt(1)
	v_lshl_or_b32 v1, v29, 16, v1
.LBB52_13:                              ;   in Loop: Header=BB52_9 Depth=1
	s_or_b32 exec_lo, exec_lo, s2
	v_add_co_u32 v28, s1, v19, s10
	s_delay_alu instid0(VALU_DEP_1) | instskip(NEXT) | instid1(VALU_DEP_1)
	v_add_co_ci_u32_e64 v29, s1, s11, v20, s1
	v_cmp_gt_u64_e64 s1, s[8:9], v[28:29]
	s_delay_alu instid0(VALU_DEP_1)
	s_and_saveexec_b32 s3, s1
	s_cbranch_execz .LBB52_15
; %bb.14:                               ;   in Loop: Header=BB52_9 Depth=1
	v_add_co_u32 v28, s2, v13, s4
	s_delay_alu instid0(VALU_DEP_1) | instskip(SKIP_2) | instid1(VALU_DEP_1)
	v_add_co_ci_u32_e64 v29, s2, s5, v14, s2
	global_load_u16 v30, v[28:29], off
	v_add_co_u32 v28, s2, v16, s4
	v_add_co_ci_u32_e64 v29, s2, s5, v17, s2
	global_load_u16 v26, v[28:29], off
	s_waitcnt vmcnt(1)
	v_or_b32_e32 v2, v30, v2
.LBB52_15:                              ;   in Loop: Header=BB52_9 Depth=1
	s_or_b32 exec_lo, exec_lo, s3
	v_add_co_u32 v28, s2, v11, s10
	s_delay_alu instid0(VALU_DEP_1) | instskip(NEXT) | instid1(VALU_DEP_1)
	v_add_co_ci_u32_e64 v29, s2, s11, v12, s2
	v_cmp_gt_u64_e64 s2, s[8:9], v[28:29]
	v_mov_b32_e32 v28, 0
	s_delay_alu instid0(VALU_DEP_2)
	s_and_saveexec_b32 s16, s2
	s_cbranch_execnz .LBB52_20
; %bb.16:                               ;   in Loop: Header=BB52_9 Depth=1
	s_or_b32 exec_lo, exec_lo, s16
	s_and_saveexec_b32 s3, vcc_lo
	s_cbranch_execnz .LBB52_21
.LBB52_17:                              ;   in Loop: Header=BB52_9 Depth=1
	s_or_b32 exec_lo, exec_lo, s3
	s_and_saveexec_b32 s3, s0
	s_cbranch_execnz .LBB52_22
.LBB52_18:                              ;   in Loop: Header=BB52_9 Depth=1
	s_or_b32 exec_lo, exec_lo, s3
	s_and_saveexec_b32 s0, s1
	s_cbranch_execnz .LBB52_23
.LBB52_19:                              ;   in Loop: Header=BB52_9 Depth=1
	s_or_b32 exec_lo, exec_lo, s0
	s_and_saveexec_b32 s0, s2
	s_cbranch_execz .LBB52_8
	s_branch .LBB52_24
.LBB52_20:                              ;   in Loop: Header=BB52_9 Depth=1
	v_add_co_u32 v28, s3, v7, s4
	s_delay_alu instid0(VALU_DEP_1) | instskip(SKIP_3) | instid1(VALU_DEP_1)
	v_add_co_ci_u32_e64 v29, s3, s5, v8, s3
	v_mov_b32_e32 v30, 0
	global_load_d16_hi_b16 v30, v[28:29], off
	v_add_co_u32 v28, s3, v9, s4
	v_add_co_ci_u32_e64 v29, s3, s5, v10, s3
	global_load_u16 v28, v[28:29], off
	s_waitcnt vmcnt(1)
	v_or_b32_e32 v2, v30, v2
	s_or_b32 exec_lo, exec_lo, s16
	s_and_saveexec_b32 s3, vcc_lo
	s_cbranch_execz .LBB52_17
.LBB52_21:                              ;   in Loop: Header=BB52_9 Depth=1
	s_waitcnt vmcnt(0)
	v_mul_lo_u16 v25, v25, s14
	v_add_co_u32 v29, vcc_lo, v3, s4
	v_add_co_ci_u32_e32 v30, vcc_lo, s5, v4, vcc_lo
	s_delay_alu instid0(VALU_DEP_3)
	v_mul_lo_u16 v25, v25, v1
	global_store_b16 v[29:30], v25, off
	s_or_b32 exec_lo, exec_lo, s3
	s_and_saveexec_b32 s3, s0
	s_cbranch_execz .LBB52_18
.LBB52_22:                              ;   in Loop: Header=BB52_9 Depth=1
	v_lshrrev_b32_e32 v1, 16, v1
	s_waitcnt vmcnt(0)
	v_mul_lo_u16 v25, v27, s14
	v_add_co_u32 v29, vcc_lo, v21, s4
	v_add_co_ci_u32_e32 v30, vcc_lo, s5, v22, vcc_lo
	s_delay_alu instid0(VALU_DEP_3)
	v_mul_lo_u16 v1, v25, v1
	global_store_b16 v[29:30], v1, off
	s_or_b32 exec_lo, exec_lo, s3
	s_and_saveexec_b32 s0, s1
	s_cbranch_execz .LBB52_19
.LBB52_23:                              ;   in Loop: Header=BB52_9 Depth=1
	s_waitcnt vmcnt(0)
	v_mul_lo_u16 v1, v26, s14
	v_add_co_u32 v25, vcc_lo, v13, s4
	v_add_co_ci_u32_e32 v26, vcc_lo, s5, v14, vcc_lo
	s_delay_alu instid0(VALU_DEP_3)
	v_mul_lo_u16 v1, v1, v2
	global_store_b16 v[25:26], v1, off
	s_or_b32 exec_lo, exec_lo, s0
	s_and_saveexec_b32 s0, s2
	s_cbranch_execz .LBB52_8
.LBB52_24:                              ;   in Loop: Header=BB52_9 Depth=1
	v_lshrrev_b32_e32 v1, 16, v2
	s_waitcnt vmcnt(0)
	v_mul_lo_u16 v2, v28, s14
	s_delay_alu instid0(VALU_DEP_1)
	v_mul_lo_u16 v25, v2, v1
	v_add_co_u32 v1, vcc_lo, v7, s4
	v_add_co_ci_u32_e32 v2, vcc_lo, s5, v8, vcc_lo
	global_store_b16 v[1:2], v25, off
	s_branch .LBB52_8
.LBB52_25:
	s_nop 0
	s_sendmsg sendmsg(MSG_DEALLOC_VGPRS)
	s_endpgm
	.section	.rodata,"a",@progbits
	.p2align	6, 0x0
	.amdhsa_kernel _ZN2at6native12_GLOBAL__N_125multi_tensor_apply_kernelINS1_18TensorListMetadataILi2EEENS1_24BinaryOpListAlphaFunctorIsLi2ELi2ELi0EEEJSt10multipliesIsEsEEEvT_T0_DpT1_
		.amdhsa_group_segment_fixed_size 0
		.amdhsa_private_segment_fixed_size 0
		.amdhsa_kernarg_size 3408
		.amdhsa_user_sgpr_count 15
		.amdhsa_user_sgpr_dispatch_ptr 0
		.amdhsa_user_sgpr_queue_ptr 0
		.amdhsa_user_sgpr_kernarg_segment_ptr 1
		.amdhsa_user_sgpr_dispatch_id 0
		.amdhsa_user_sgpr_private_segment_size 0
		.amdhsa_wavefront_size32 1
		.amdhsa_uses_dynamic_stack 0
		.amdhsa_enable_private_segment 0
		.amdhsa_system_sgpr_workgroup_id_x 1
		.amdhsa_system_sgpr_workgroup_id_y 0
		.amdhsa_system_sgpr_workgroup_id_z 0
		.amdhsa_system_sgpr_workgroup_info 0
		.amdhsa_system_vgpr_workitem_id 0
		.amdhsa_next_free_vgpr 31
		.amdhsa_next_free_sgpr 20
		.amdhsa_reserve_vcc 1
		.amdhsa_float_round_mode_32 0
		.amdhsa_float_round_mode_16_64 0
		.amdhsa_float_denorm_mode_32 3
		.amdhsa_float_denorm_mode_16_64 3
		.amdhsa_dx10_clamp 1
		.amdhsa_ieee_mode 1
		.amdhsa_fp16_overflow 0
		.amdhsa_workgroup_processor_mode 1
		.amdhsa_memory_ordered 1
		.amdhsa_forward_progress 0
		.amdhsa_shared_vgpr_count 0
		.amdhsa_exception_fp_ieee_invalid_op 0
		.amdhsa_exception_fp_denorm_src 0
		.amdhsa_exception_fp_ieee_div_zero 0
		.amdhsa_exception_fp_ieee_overflow 0
		.amdhsa_exception_fp_ieee_underflow 0
		.amdhsa_exception_fp_ieee_inexact 0
		.amdhsa_exception_int_div_zero 0
	.end_amdhsa_kernel
	.section	.text._ZN2at6native12_GLOBAL__N_125multi_tensor_apply_kernelINS1_18TensorListMetadataILi2EEENS1_24BinaryOpListAlphaFunctorIsLi2ELi2ELi0EEEJSt10multipliesIsEsEEEvT_T0_DpT1_,"axG",@progbits,_ZN2at6native12_GLOBAL__N_125multi_tensor_apply_kernelINS1_18TensorListMetadataILi2EEENS1_24BinaryOpListAlphaFunctorIsLi2ELi2ELi0EEEJSt10multipliesIsEsEEEvT_T0_DpT1_,comdat
.Lfunc_end52:
	.size	_ZN2at6native12_GLOBAL__N_125multi_tensor_apply_kernelINS1_18TensorListMetadataILi2EEENS1_24BinaryOpListAlphaFunctorIsLi2ELi2ELi0EEEJSt10multipliesIsEsEEEvT_T0_DpT1_, .Lfunc_end52-_ZN2at6native12_GLOBAL__N_125multi_tensor_apply_kernelINS1_18TensorListMetadataILi2EEENS1_24BinaryOpListAlphaFunctorIsLi2ELi2ELi0EEEJSt10multipliesIsEsEEEvT_T0_DpT1_
                                        ; -- End function
	.section	.AMDGPU.csdata,"",@progbits
; Kernel info:
; codeLenInByte = 1768
; NumSgprs: 22
; NumVgprs: 31
; ScratchSize: 0
; MemoryBound: 0
; FloatMode: 240
; IeeeMode: 1
; LDSByteSize: 0 bytes/workgroup (compile time only)
; SGPRBlocks: 2
; VGPRBlocks: 3
; NumSGPRsForWavesPerEU: 22
; NumVGPRsForWavesPerEU: 31
; Occupancy: 16
; WaveLimiterHint : 0
; COMPUTE_PGM_RSRC2:SCRATCH_EN: 0
; COMPUTE_PGM_RSRC2:USER_SGPR: 15
; COMPUTE_PGM_RSRC2:TRAP_HANDLER: 0
; COMPUTE_PGM_RSRC2:TGID_X_EN: 1
; COMPUTE_PGM_RSRC2:TGID_Y_EN: 0
; COMPUTE_PGM_RSRC2:TGID_Z_EN: 0
; COMPUTE_PGM_RSRC2:TIDIG_COMP_CNT: 0
	.section	.text._ZN2at6native12_GLOBAL__N_125multi_tensor_apply_kernelINS1_18TensorListMetadataILi2EEENS1_24BinaryOpListAlphaFunctorIdLi2ELi2ELi0EEEJSt10multipliesIdEdEEEvT_T0_DpT1_,"axG",@progbits,_ZN2at6native12_GLOBAL__N_125multi_tensor_apply_kernelINS1_18TensorListMetadataILi2EEENS1_24BinaryOpListAlphaFunctorIdLi2ELi2ELi0EEEJSt10multipliesIdEdEEEvT_T0_DpT1_,comdat
	.globl	_ZN2at6native12_GLOBAL__N_125multi_tensor_apply_kernelINS1_18TensorListMetadataILi2EEENS1_24BinaryOpListAlphaFunctorIdLi2ELi2ELi0EEEJSt10multipliesIdEdEEEvT_T0_DpT1_ ; -- Begin function _ZN2at6native12_GLOBAL__N_125multi_tensor_apply_kernelINS1_18TensorListMetadataILi2EEENS1_24BinaryOpListAlphaFunctorIdLi2ELi2ELi0EEEJSt10multipliesIdEdEEEvT_T0_DpT1_
	.p2align	8
	.type	_ZN2at6native12_GLOBAL__N_125multi_tensor_apply_kernelINS1_18TensorListMetadataILi2EEENS1_24BinaryOpListAlphaFunctorIdLi2ELi2ELi0EEEJSt10multipliesIdEdEEEvT_T0_DpT1_,@function
_ZN2at6native12_GLOBAL__N_125multi_tensor_apply_kernelINS1_18TensorListMetadataILi2EEENS1_24BinaryOpListAlphaFunctorIdLi2ELi2ELi0EEEJSt10multipliesIdEdEEEvT_T0_DpT1_: ; @_ZN2at6native12_GLOBAL__N_125multi_tensor_apply_kernelINS1_18TensorListMetadataILi2EEENS1_24BinaryOpListAlphaFunctorIdLi2ELi2ELi0EEEJSt10multipliesIdEdEEEvT_T0_DpT1_
; %bb.0:
	v_mov_b32_e32 v1, s15
	s_add_u32 s2, s0, s15
	s_mul_hi_u32 s3, s15, 3
	s_mul_i32 s15, s15, 3
	s_addc_u32 s4, s1, 0
	global_load_u8 v1, v1, s[0:1] offset:1536
	s_add_u32 s2, s2, s15
	s_addc_u32 s3, s4, s3
	s_mov_b32 s19, 0
	s_load_b32 s2, s[2:3], 0x740
	s_mov_b32 s21, s19
	s_mov_b32 s23, s19
	s_waitcnt vmcnt(0)
	v_readfirstlane_b32 s3, v1
	s_delay_alu instid0(VALU_DEP_1)
	s_lshl_b32 s3, s3, 3
	s_clause 0x3
	s_load_b64 s[12:13], s[0:1], s3 offset:0x0
	s_load_b64 s[14:15], s[0:1], s3 offset:0x200
	;; [unrolled: 1-line block ×3, first 2 shown]
	s_load_b64 s[4:5], s[0:1], 0xc50
	s_waitcnt lgkmcnt(0)
	s_ashr_i32 s3, s2, 31
	s_delay_alu instid0(SALU_CYCLE_1) | instskip(NEXT) | instid1(SALU_CYCLE_1)
	s_lshl_b64 s[6:7], s[2:3], 19
	s_add_u32 s10, s12, s6
	s_addc_u32 s11, s13, s7
	s_and_b32 s18, s10, 31
	s_add_u32 s16, s14, s6
	s_addc_u32 s17, s15, s7
	s_and_b32 s20, s8, 3
	s_and_b32 s22, s16, 31
	s_or_b64 s[18:19], s[18:19], s[20:21]
	s_lshl_b64 s[2:3], s[2:3], 16
	s_or_b64 s[18:19], s[22:23], s[18:19]
	s_sub_u32 s8, s8, s2
	s_subb_u32 s9, s9, s3
	s_cmp_eq_u64 s[18:19], 0
	s_mov_b32 s2, -1
	s_cbranch_scc0 .LBB53_5
; %bb.1:
	v_dual_mov_b32 v2, 0 :: v_dual_lshlrev_b32 v1, 2, v0
	s_mov_b32 s18, exec_lo
	s_delay_alu instid0(VALU_DEP_1)
	v_cmpx_gt_i64_e64 s[8:9], v[1:2]
	s_cbranch_execz .LBB53_4
; %bb.2:
	s_load_b32 s2, s[0:1], 0xc64
	v_lshlrev_b32_e32 v3, 5, v0
	s_mov_b32 s19, 0
	s_waitcnt lgkmcnt(0)
	s_and_b32 s2, s2, 0xffff
	s_delay_alu instid0(SALU_CYCLE_1)
	v_add_lshl_u32 v1, v0, s2, 2
	s_lshl_b32 s20, s2, 2
	s_lshl_b32 s21, s2, 5
.LBB53_3:                               ; =>This Inner Loop Header: Depth=1
	v_add_co_u32 v8, s2, s16, v3
	s_delay_alu instid0(VALU_DEP_1) | instskip(SKIP_1) | instid1(VALU_DEP_1)
	v_add_co_ci_u32_e64 v9, null, s17, 0, s2
	v_add_co_u32 v20, s2, s10, v3
	v_add_co_ci_u32_e64 v21, null, s11, 0, s2
	s_clause 0x1
	global_load_b128 v[4:7], v[8:9], off
	global_load_b128 v[8:11], v[8:9], off offset:16
	s_clause 0x1
	global_load_b128 v[12:15], v[20:21], off
	global_load_b128 v[16:19], v[20:21], off offset:16
	v_cmp_le_i64_e32 vcc_lo, s[8:9], v[1:2]
	v_cmp_lt_u64_e64 s2, 0xffff, v[1:2]
	v_add_co_u32 v1, s3, v1, s20
	s_delay_alu instid0(VALU_DEP_1) | instskip(NEXT) | instid1(VALU_DEP_3)
	v_add_co_ci_u32_e64 v2, s3, 0, v2, s3
	s_or_b32 s2, vcc_lo, s2
	s_add_u32 s10, s10, s21
	s_addc_u32 s11, s11, 0
	s_add_u32 s16, s16, s21
	s_addc_u32 s17, s17, 0
	s_and_b32 s2, exec_lo, s2
	s_delay_alu instid0(SALU_CYCLE_1)
	s_or_b32 s19, s2, s19
	s_waitcnt vmcnt(3)
	v_mul_f64 v[4:5], v[4:5], s[4:5]
	v_mul_f64 v[6:7], v[6:7], s[4:5]
	s_waitcnt vmcnt(2)
	v_mul_f64 v[8:9], v[8:9], s[4:5]
	v_mul_f64 v[10:11], v[10:11], s[4:5]
	s_waitcnt vmcnt(1)
	s_delay_alu instid0(VALU_DEP_4) | instskip(NEXT) | instid1(VALU_DEP_4)
	v_mul_f64 v[4:5], v[12:13], v[4:5]
	v_mul_f64 v[6:7], v[14:15], v[6:7]
	s_waitcnt vmcnt(0)
	s_delay_alu instid0(VALU_DEP_4) | instskip(NEXT) | instid1(VALU_DEP_4)
	v_mul_f64 v[8:9], v[16:17], v[8:9]
	v_mul_f64 v[10:11], v[18:19], v[10:11]
	s_clause 0x1
	global_store_b128 v[20:21], v[4:7], off
	global_store_b128 v[20:21], v[8:11], off offset:16
	s_and_not1_b32 exec_lo, exec_lo, s19
	s_cbranch_execnz .LBB53_3
.LBB53_4:
	s_or_b32 exec_lo, exec_lo, s18
	s_mov_b32 s2, 0
.LBB53_5:
	s_delay_alu instid0(SALU_CYCLE_1)
	s_and_not1_b32 vcc_lo, exec_lo, s2
	s_cbranch_vccnz .LBB53_25
; %bb.6:
	v_cmp_lt_i64_e64 s2, s[8:9], 1
	s_delay_alu instid0(VALU_DEP_1)
	s_and_b32 vcc_lo, exec_lo, s2
	s_cbranch_vccnz .LBB53_25
; %bb.7:
	s_load_b32 s0, s[0:1], 0xc64
	v_dual_mov_b32 v2, 0 :: v_dual_lshlrev_b32 v1, 3, v0
	v_cmp_gt_u64_e64 s1, 0x10000, s[8:9]
	s_delay_alu instid0(VALU_DEP_2) | instskip(NEXT) | instid1(VALU_DEP_1)
	v_add_co_u32 v17, s2, s12, v1
	v_add_co_ci_u32_e64 v18, null, s13, 0, s2
	v_add_co_u32 v19, s2, s14, v1
	s_delay_alu instid0(VALU_DEP_1)
	v_add_co_ci_u32_e64 v20, null, s15, 0, s2
	s_waitcnt lgkmcnt(0)
	s_and_b32 s0, s0, 0xffff
	s_and_b32 s1, s1, exec_lo
	v_mad_u64_u32 v[3:4], null, s0, 24, v[1:2]
	s_cselect_b32 s11, s9, 0
	s_cselect_b32 s10, s8, 0x10000
	s_lshl_b32 s3, s0, 4
	s_mul_i32 s2, s0, 3
	v_add_co_u32 v1, s3, s3, v1
	s_delay_alu instid0(VALU_DEP_2) | instskip(NEXT) | instid1(VALU_DEP_3)
	v_add_co_u32 v21, vcc_lo, s12, v3
	v_add_co_ci_u32_e32 v22, vcc_lo, s13, v4, vcc_lo
	v_add_co_u32 v25, s2, s2, v0
	v_add_co_u32 v23, vcc_lo, s14, v3
	v_add_co_ci_u32_e64 v2, null, 0, 0, s3
	v_add_co_ci_u32_e64 v26, null, 0, 0, s2
	v_add_co_u32 v29, s2, v0, s0
	v_add_co_ci_u32_e32 v24, vcc_lo, s15, v4, vcc_lo
	v_add_co_u32 v27, vcc_lo, s12, v1
	v_add_co_ci_u32_e32 v28, vcc_lo, s13, v2, vcc_lo
	v_add_co_u32 v30, vcc_lo, s14, v1
	v_lshlrev_b32_e32 v1, 3, v29
	s_lshl_b32 s1, s0, 1
	v_add_co_ci_u32_e32 v31, vcc_lo, s15, v2, vcc_lo
	v_add_co_u32 v33, s1, s1, v0
	s_delay_alu instid0(VALU_DEP_1) | instskip(SKIP_1) | instid1(VALU_DEP_1)
	v_add_co_ci_u32_e64 v34, null, 0, 0, s1
	v_add_co_u32 v35, s1, s12, v1
	v_add_co_ci_u32_e64 v36, null, s13, 0, s1
	v_add_co_u32 v37, s1, s14, v1
	v_add_co_ci_u32_e64 v32, null, 0, 0, s2
	v_add_co_ci_u32_e64 v38, null, s15, 0, s1
	s_lshl_b32 s14, s0, 2
	s_lshl_b32 s15, s0, 5
	s_mov_b64 s[12:13], 0
	s_branch .LBB53_9
.LBB53_8:                               ;   in Loop: Header=BB53_9 Depth=1
	s_or_b32 exec_lo, exec_lo, s0
	v_add_co_u32 v17, vcc_lo, v17, s15
	v_add_co_ci_u32_e32 v18, vcc_lo, 0, v18, vcc_lo
	v_add_co_u32 v19, vcc_lo, v19, s15
	v_add_co_ci_u32_e32 v20, vcc_lo, 0, v20, vcc_lo
	;; [unrolled: 2-line block ×5, first 2 shown]
	s_add_u32 s12, s12, s14
	v_add_co_u32 v30, vcc_lo, v30, s15
	s_addc_u32 s13, s13, 0
	v_add_co_ci_u32_e32 v31, vcc_lo, 0, v31, vcc_lo
	v_cmp_ge_i64_e64 s0, s[12:13], s[8:9]
	v_cmp_lt_u64_e64 s1, 0xffff, s[12:13]
	v_add_co_u32 v35, vcc_lo, v35, s15
	v_add_co_ci_u32_e32 v36, vcc_lo, 0, v36, vcc_lo
	v_add_co_u32 v37, vcc_lo, v37, s15
	v_add_co_ci_u32_e32 v38, vcc_lo, 0, v38, vcc_lo
	s_or_b32 s0, s0, s1
	s_delay_alu instid0(SALU_CYCLE_1)
	s_and_b32 vcc_lo, exec_lo, s0
	s_cbranch_vccnz .LBB53_25
.LBB53_9:                               ; =>This Inner Loop Header: Depth=1
	s_waitcnt vmcnt(1)
	v_add_co_u32 v3, s0, v0, s12
	s_delay_alu instid0(VALU_DEP_1) | instskip(SKIP_2) | instid1(VALU_DEP_3)
	v_add_co_ci_u32_e64 v4, null, 0, s13, s0
	v_mov_b32_e32 v1, 0
	v_mov_b32_e32 v2, 0
	v_cmp_gt_u64_e32 vcc_lo, s[10:11], v[3:4]
	s_delay_alu instid0(VALU_DEP_2)
	v_dual_mov_b32 v4, v2 :: v_dual_mov_b32 v3, v1
	s_waitcnt vmcnt(0)
	v_dual_mov_b32 v6, v2 :: v_dual_mov_b32 v5, v1
	s_and_saveexec_b32 s1, vcc_lo
	s_cbranch_execz .LBB53_11
; %bb.10:                               ;   in Loop: Header=BB53_9 Depth=1
	v_add_co_u32 v3, s0, v17, s6
	s_delay_alu instid0(VALU_DEP_1) | instskip(SKIP_1) | instid1(VALU_DEP_1)
	v_add_co_ci_u32_e64 v4, s0, s7, v18, s0
	v_add_co_u32 v5, s0, v19, s6
	v_add_co_ci_u32_e64 v6, s0, s7, v20, s0
	global_load_b64 v[3:4], v[3:4], off
	global_load_b64 v[5:6], v[5:6], off
.LBB53_11:                              ;   in Loop: Header=BB53_9 Depth=1
	s_or_b32 exec_lo, exec_lo, s1
	v_add_co_u32 v7, s0, v29, s12
	s_delay_alu instid0(VALU_DEP_1) | instskip(SKIP_1) | instid1(VALU_DEP_2)
	v_add_co_ci_u32_e64 v8, s0, s13, v32, s0
	v_dual_mov_b32 v10, v2 :: v_dual_mov_b32 v9, v1
	v_cmp_gt_u64_e64 s0, s[10:11], v[7:8]
	s_delay_alu instid0(VALU_DEP_1)
	s_and_saveexec_b32 s2, s0
	s_cbranch_execz .LBB53_13
; %bb.12:                               ;   in Loop: Header=BB53_9 Depth=1
	v_add_co_u32 v1, s1, v35, s6
	s_delay_alu instid0(VALU_DEP_1) | instskip(SKIP_1) | instid1(VALU_DEP_1)
	v_add_co_ci_u32_e64 v2, s1, s7, v36, s1
	v_add_co_u32 v7, s1, v37, s6
	v_add_co_ci_u32_e64 v8, s1, s7, v38, s1
	global_load_b64 v[1:2], v[1:2], off
	global_load_b64 v[9:10], v[7:8], off
.LBB53_13:                              ;   in Loop: Header=BB53_9 Depth=1
	s_or_b32 exec_lo, exec_lo, s2
	v_add_co_u32 v11, s1, v33, s12
	s_delay_alu instid0(VALU_DEP_1) | instskip(SKIP_2) | instid1(VALU_DEP_3)
	v_add_co_ci_u32_e64 v12, s1, s13, v34, s1
	v_mov_b32_e32 v7, 0
	v_mov_b32_e32 v8, 0
	v_cmp_gt_u64_e64 s1, s[10:11], v[11:12]
	s_delay_alu instid0(VALU_DEP_2) | instskip(SKIP_1) | instid1(VALU_DEP_3)
	v_dual_mov_b32 v12, v8 :: v_dual_mov_b32 v11, v7
	v_dual_mov_b32 v14, v8 :: v_dual_mov_b32 v13, v7
	s_and_saveexec_b32 s3, s1
	s_cbranch_execz .LBB53_15
; %bb.14:                               ;   in Loop: Header=BB53_9 Depth=1
	v_add_co_u32 v11, s2, v27, s6
	s_delay_alu instid0(VALU_DEP_1) | instskip(SKIP_1) | instid1(VALU_DEP_1)
	v_add_co_ci_u32_e64 v12, s2, s7, v28, s2
	v_add_co_u32 v13, s2, v30, s6
	v_add_co_ci_u32_e64 v14, s2, s7, v31, s2
	global_load_b64 v[11:12], v[11:12], off
	global_load_b64 v[13:14], v[13:14], off
.LBB53_15:                              ;   in Loop: Header=BB53_9 Depth=1
	s_or_b32 exec_lo, exec_lo, s3
	v_add_co_u32 v15, s2, v25, s12
	s_delay_alu instid0(VALU_DEP_1) | instskip(NEXT) | instid1(VALU_DEP_1)
	v_add_co_ci_u32_e64 v16, s2, s13, v26, s2
	v_cmp_gt_u64_e64 s2, s[10:11], v[15:16]
	v_dual_mov_b32 v16, v8 :: v_dual_mov_b32 v15, v7
	s_delay_alu instid0(VALU_DEP_2)
	s_and_saveexec_b32 s16, s2
	s_cbranch_execnz .LBB53_20
; %bb.16:                               ;   in Loop: Header=BB53_9 Depth=1
	s_or_b32 exec_lo, exec_lo, s16
	s_and_saveexec_b32 s3, vcc_lo
	s_cbranch_execnz .LBB53_21
.LBB53_17:                              ;   in Loop: Header=BB53_9 Depth=1
	s_or_b32 exec_lo, exec_lo, s3
	s_and_saveexec_b32 s3, s0
	s_cbranch_execnz .LBB53_22
.LBB53_18:                              ;   in Loop: Header=BB53_9 Depth=1
	s_or_b32 exec_lo, exec_lo, s3
	s_and_saveexec_b32 s0, s1
	s_cbranch_execnz .LBB53_23
.LBB53_19:                              ;   in Loop: Header=BB53_9 Depth=1
	s_or_b32 exec_lo, exec_lo, s0
	s_and_saveexec_b32 s0, s2
	s_cbranch_execz .LBB53_8
	s_branch .LBB53_24
.LBB53_20:                              ;   in Loop: Header=BB53_9 Depth=1
	v_add_co_u32 v7, s3, v21, s6
	s_delay_alu instid0(VALU_DEP_1) | instskip(SKIP_1) | instid1(VALU_DEP_1)
	v_add_co_ci_u32_e64 v8, s3, s7, v22, s3
	v_add_co_u32 v15, s3, v23, s6
	v_add_co_ci_u32_e64 v16, s3, s7, v24, s3
	global_load_b64 v[7:8], v[7:8], off
	global_load_b64 v[15:16], v[15:16], off
	s_or_b32 exec_lo, exec_lo, s16
	s_and_saveexec_b32 s3, vcc_lo
	s_cbranch_execz .LBB53_17
.LBB53_21:                              ;   in Loop: Header=BB53_9 Depth=1
	s_waitcnt vmcnt(0)
	v_mul_f64 v[5:6], v[5:6], s[4:5]
	s_delay_alu instid0(VALU_DEP_1)
	v_mul_f64 v[3:4], v[3:4], v[5:6]
	v_add_co_u32 v5, vcc_lo, v17, s6
	v_add_co_ci_u32_e32 v6, vcc_lo, s7, v18, vcc_lo
	global_store_b64 v[5:6], v[3:4], off
	s_or_b32 exec_lo, exec_lo, s3
	s_and_saveexec_b32 s3, s0
	s_cbranch_execz .LBB53_18
.LBB53_22:                              ;   in Loop: Header=BB53_9 Depth=1
	s_waitcnt vmcnt(0)
	v_mul_f64 v[3:4], v[9:10], s[4:5]
	s_delay_alu instid0(VALU_DEP_1)
	v_mul_f64 v[1:2], v[1:2], v[3:4]
	v_add_co_u32 v3, vcc_lo, v35, s6
	v_add_co_ci_u32_e32 v4, vcc_lo, s7, v36, vcc_lo
	global_store_b64 v[3:4], v[1:2], off
	s_or_b32 exec_lo, exec_lo, s3
	s_and_saveexec_b32 s0, s1
	s_cbranch_execz .LBB53_19
.LBB53_23:                              ;   in Loop: Header=BB53_9 Depth=1
	s_waitcnt vmcnt(0)
	v_mul_f64 v[1:2], v[13:14], s[4:5]
	v_add_co_u32 v3, vcc_lo, v27, s6
	v_add_co_ci_u32_e32 v4, vcc_lo, s7, v28, vcc_lo
	s_delay_alu instid0(VALU_DEP_3)
	v_mul_f64 v[1:2], v[11:12], v[1:2]
	global_store_b64 v[3:4], v[1:2], off
	s_or_b32 exec_lo, exec_lo, s0
	s_and_saveexec_b32 s0, s2
	s_cbranch_execz .LBB53_8
.LBB53_24:                              ;   in Loop: Header=BB53_9 Depth=1
	s_waitcnt vmcnt(0)
	v_mul_f64 v[1:2], v[15:16], s[4:5]
	v_add_co_u32 v3, vcc_lo, v21, s6
	v_add_co_ci_u32_e32 v4, vcc_lo, s7, v22, vcc_lo
	s_delay_alu instid0(VALU_DEP_3)
	v_mul_f64 v[1:2], v[7:8], v[1:2]
	global_store_b64 v[3:4], v[1:2], off
	s_branch .LBB53_8
.LBB53_25:
	s_nop 0
	s_sendmsg sendmsg(MSG_DEALLOC_VGPRS)
	s_endpgm
	.section	.rodata,"a",@progbits
	.p2align	6, 0x0
	.amdhsa_kernel _ZN2at6native12_GLOBAL__N_125multi_tensor_apply_kernelINS1_18TensorListMetadataILi2EEENS1_24BinaryOpListAlphaFunctorIdLi2ELi2ELi0EEEJSt10multipliesIdEdEEEvT_T0_DpT1_
		.amdhsa_group_segment_fixed_size 0
		.amdhsa_private_segment_fixed_size 0
		.amdhsa_kernarg_size 3416
		.amdhsa_user_sgpr_count 15
		.amdhsa_user_sgpr_dispatch_ptr 0
		.amdhsa_user_sgpr_queue_ptr 0
		.amdhsa_user_sgpr_kernarg_segment_ptr 1
		.amdhsa_user_sgpr_dispatch_id 0
		.amdhsa_user_sgpr_private_segment_size 0
		.amdhsa_wavefront_size32 1
		.amdhsa_uses_dynamic_stack 0
		.amdhsa_enable_private_segment 0
		.amdhsa_system_sgpr_workgroup_id_x 1
		.amdhsa_system_sgpr_workgroup_id_y 0
		.amdhsa_system_sgpr_workgroup_id_z 0
		.amdhsa_system_sgpr_workgroup_info 0
		.amdhsa_system_vgpr_workitem_id 0
		.amdhsa_next_free_vgpr 39
		.amdhsa_next_free_sgpr 24
		.amdhsa_reserve_vcc 1
		.amdhsa_float_round_mode_32 0
		.amdhsa_float_round_mode_16_64 0
		.amdhsa_float_denorm_mode_32 3
		.amdhsa_float_denorm_mode_16_64 3
		.amdhsa_dx10_clamp 1
		.amdhsa_ieee_mode 1
		.amdhsa_fp16_overflow 0
		.amdhsa_workgroup_processor_mode 1
		.amdhsa_memory_ordered 1
		.amdhsa_forward_progress 0
		.amdhsa_shared_vgpr_count 0
		.amdhsa_exception_fp_ieee_invalid_op 0
		.amdhsa_exception_fp_denorm_src 0
		.amdhsa_exception_fp_ieee_div_zero 0
		.amdhsa_exception_fp_ieee_overflow 0
		.amdhsa_exception_fp_ieee_underflow 0
		.amdhsa_exception_fp_ieee_inexact 0
		.amdhsa_exception_int_div_zero 0
	.end_amdhsa_kernel
	.section	.text._ZN2at6native12_GLOBAL__N_125multi_tensor_apply_kernelINS1_18TensorListMetadataILi2EEENS1_24BinaryOpListAlphaFunctorIdLi2ELi2ELi0EEEJSt10multipliesIdEdEEEvT_T0_DpT1_,"axG",@progbits,_ZN2at6native12_GLOBAL__N_125multi_tensor_apply_kernelINS1_18TensorListMetadataILi2EEENS1_24BinaryOpListAlphaFunctorIdLi2ELi2ELi0EEEJSt10multipliesIdEdEEEvT_T0_DpT1_,comdat
.Lfunc_end53:
	.size	_ZN2at6native12_GLOBAL__N_125multi_tensor_apply_kernelINS1_18TensorListMetadataILi2EEENS1_24BinaryOpListAlphaFunctorIdLi2ELi2ELi0EEEJSt10multipliesIdEdEEEvT_T0_DpT1_, .Lfunc_end53-_ZN2at6native12_GLOBAL__N_125multi_tensor_apply_kernelINS1_18TensorListMetadataILi2EEENS1_24BinaryOpListAlphaFunctorIdLi2ELi2ELi0EEEJSt10multipliesIdEdEEEvT_T0_DpT1_
                                        ; -- End function
	.section	.AMDGPU.csdata,"",@progbits
; Kernel info:
; codeLenInByte = 1732
; NumSgprs: 26
; NumVgprs: 39
; ScratchSize: 0
; MemoryBound: 0
; FloatMode: 240
; IeeeMode: 1
; LDSByteSize: 0 bytes/workgroup (compile time only)
; SGPRBlocks: 3
; VGPRBlocks: 4
; NumSGPRsForWavesPerEU: 26
; NumVGPRsForWavesPerEU: 39
; Occupancy: 16
; WaveLimiterHint : 0
; COMPUTE_PGM_RSRC2:SCRATCH_EN: 0
; COMPUTE_PGM_RSRC2:USER_SGPR: 15
; COMPUTE_PGM_RSRC2:TRAP_HANDLER: 0
; COMPUTE_PGM_RSRC2:TGID_X_EN: 1
; COMPUTE_PGM_RSRC2:TGID_Y_EN: 0
; COMPUTE_PGM_RSRC2:TGID_Z_EN: 0
; COMPUTE_PGM_RSRC2:TIDIG_COMP_CNT: 0
	.section	.text._ZN2at6native12_GLOBAL__N_125multi_tensor_apply_kernelINS1_18TensorListMetadataILi2EEENS1_24BinaryOpListAlphaFunctorIfLi2ELi2ELi0EEEJSt10multipliesIfEfEEEvT_T0_DpT1_,"axG",@progbits,_ZN2at6native12_GLOBAL__N_125multi_tensor_apply_kernelINS1_18TensorListMetadataILi2EEENS1_24BinaryOpListAlphaFunctorIfLi2ELi2ELi0EEEJSt10multipliesIfEfEEEvT_T0_DpT1_,comdat
	.globl	_ZN2at6native12_GLOBAL__N_125multi_tensor_apply_kernelINS1_18TensorListMetadataILi2EEENS1_24BinaryOpListAlphaFunctorIfLi2ELi2ELi0EEEJSt10multipliesIfEfEEEvT_T0_DpT1_ ; -- Begin function _ZN2at6native12_GLOBAL__N_125multi_tensor_apply_kernelINS1_18TensorListMetadataILi2EEENS1_24BinaryOpListAlphaFunctorIfLi2ELi2ELi0EEEJSt10multipliesIfEfEEEvT_T0_DpT1_
	.p2align	8
	.type	_ZN2at6native12_GLOBAL__N_125multi_tensor_apply_kernelINS1_18TensorListMetadataILi2EEENS1_24BinaryOpListAlphaFunctorIfLi2ELi2ELi0EEEJSt10multipliesIfEfEEEvT_T0_DpT1_,@function
_ZN2at6native12_GLOBAL__N_125multi_tensor_apply_kernelINS1_18TensorListMetadataILi2EEENS1_24BinaryOpListAlphaFunctorIfLi2ELi2ELi0EEEJSt10multipliesIfEfEEEvT_T0_DpT1_: ; @_ZN2at6native12_GLOBAL__N_125multi_tensor_apply_kernelINS1_18TensorListMetadataILi2EEENS1_24BinaryOpListAlphaFunctorIfLi2ELi2ELi0EEEJSt10multipliesIfEfEEEvT_T0_DpT1_
; %bb.0:
	v_mov_b32_e32 v1, s15
	s_add_u32 s2, s0, s15
	s_mul_hi_u32 s3, s15, 3
	s_mul_i32 s15, s15, 3
	s_addc_u32 s4, s1, 0
	global_load_u8 v1, v1, s[0:1] offset:1536
	s_add_u32 s2, s2, s15
	s_addc_u32 s3, s4, s3
	s_mov_b32 s19, 0
	s_load_b32 s2, s[2:3], 0x740
	s_mov_b32 s21, s19
	s_mov_b32 s23, s19
	s_waitcnt vmcnt(0)
	v_readfirstlane_b32 s3, v1
	s_delay_alu instid0(VALU_DEP_1)
	s_lshl_b32 s3, s3, 3
	s_clause 0x3
	s_load_b64 s[10:11], s[0:1], s3 offset:0x0
	s_load_b64 s[12:13], s[0:1], s3 offset:0x200
	;; [unrolled: 1-line block ×3, first 2 shown]
	s_load_b32 s14, s[0:1], 0xc4c
	s_waitcnt lgkmcnt(0)
	s_ashr_i32 s3, s2, 31
	s_delay_alu instid0(SALU_CYCLE_1) | instskip(NEXT) | instid1(SALU_CYCLE_1)
	s_lshl_b64 s[4:5], s[2:3], 18
	s_add_u32 s8, s10, s4
	s_addc_u32 s9, s11, s5
	s_and_b32 s18, s8, 15
	s_add_u32 s15, s12, s4
	s_addc_u32 s16, s13, s5
	s_and_b32 s20, s6, 3
	s_and_b32 s22, s15, 15
	s_or_b64 s[18:19], s[18:19], s[20:21]
	s_lshl_b64 s[2:3], s[2:3], 16
	s_or_b64 s[18:19], s[22:23], s[18:19]
	s_sub_u32 s6, s6, s2
	s_subb_u32 s7, s7, s3
	s_cmp_eq_u64 s[18:19], 0
	s_mov_b32 s2, -1
	s_cbranch_scc0 .LBB54_5
; %bb.1:
	v_dual_mov_b32 v2, 0 :: v_dual_lshlrev_b32 v1, 2, v0
	s_mov_b32 s17, exec_lo
	s_delay_alu instid0(VALU_DEP_1)
	v_cmpx_gt_i64_e64 s[6:7], v[1:2]
	s_cbranch_execz .LBB54_4
; %bb.2:
	s_load_b32 s2, s[0:1], 0xc5c
	v_lshlrev_b32_e32 v3, 4, v0
	s_mov_b32 s18, 0
	s_waitcnt lgkmcnt(0)
	s_and_b32 s2, s2, 0xffff
	s_delay_alu instid0(SALU_CYCLE_1)
	v_add_lshl_u32 v1, v0, s2, 2
	s_lshl_b32 s19, s2, 2
	s_lshl_b32 s20, s2, 4
	s_set_inst_prefetch_distance 0x1
	.p2align	6
.LBB54_3:                               ; =>This Inner Loop Header: Depth=1
	v_add_co_u32 v4, s2, s15, v3
	s_delay_alu instid0(VALU_DEP_1) | instskip(SKIP_1) | instid1(VALU_DEP_1)
	v_add_co_ci_u32_e64 v5, null, s16, 0, s2
	v_add_co_u32 v12, s2, s8, v3
	v_add_co_ci_u32_e64 v13, null, s9, 0, s2
	global_load_b128 v[4:7], v[4:5], off
	global_load_b128 v[8:11], v[12:13], off
	v_cmp_le_i64_e32 vcc_lo, s[6:7], v[1:2]
	v_cmp_lt_u64_e64 s2, 0xffff, v[1:2]
	v_add_co_u32 v1, s3, v1, s19
	s_delay_alu instid0(VALU_DEP_1) | instskip(NEXT) | instid1(VALU_DEP_3)
	v_add_co_ci_u32_e64 v2, s3, 0, v2, s3
	s_or_b32 s2, vcc_lo, s2
	s_add_u32 s8, s8, s20
	s_addc_u32 s9, s9, 0
	s_add_u32 s15, s15, s20
	s_addc_u32 s16, s16, 0
	s_and_b32 s2, exec_lo, s2
	s_delay_alu instid0(SALU_CYCLE_1) | instskip(SKIP_4) | instid1(VALU_DEP_2)
	s_or_b32 s18, s2, s18
	s_waitcnt vmcnt(1)
	v_dual_mul_f32 v4, s14, v4 :: v_dual_mul_f32 v5, s14, v5
	v_dual_mul_f32 v6, s14, v6 :: v_dual_mul_f32 v7, s14, v7
	s_waitcnt vmcnt(0)
	v_dual_mul_f32 v4, v8, v4 :: v_dual_mul_f32 v5, v9, v5
	s_delay_alu instid0(VALU_DEP_2)
	v_dual_mul_f32 v6, v10, v6 :: v_dual_mul_f32 v7, v11, v7
	global_store_b128 v[12:13], v[4:7], off
	s_and_not1_b32 exec_lo, exec_lo, s18
	s_cbranch_execnz .LBB54_3
.LBB54_4:
	s_set_inst_prefetch_distance 0x2
	s_or_b32 exec_lo, exec_lo, s17
	s_mov_b32 s2, 0
.LBB54_5:
	s_delay_alu instid0(SALU_CYCLE_1)
	s_and_not1_b32 vcc_lo, exec_lo, s2
	s_cbranch_vccnz .LBB54_25
; %bb.6:
	v_cmp_lt_i64_e64 s2, s[6:7], 1
	s_delay_alu instid0(VALU_DEP_1)
	s_and_b32 vcc_lo, exec_lo, s2
	s_cbranch_vccnz .LBB54_25
; %bb.7:
	s_load_b32 s0, s[0:1], 0xc5c
	v_dual_mov_b32 v10, 0 :: v_dual_lshlrev_b32 v9, 2, v0
	v_cmp_gt_u64_e64 s1, 0x10000, s[6:7]
	s_delay_alu instid0(VALU_DEP_2) | instskip(NEXT) | instid1(VALU_DEP_1)
	v_add_co_u32 v1, s2, s10, v9
	v_add_co_ci_u32_e64 v2, null, s11, 0, s2
	v_add_co_u32 v3, s2, s12, v9
	s_delay_alu instid0(VALU_DEP_1)
	v_add_co_ci_u32_e64 v4, null, s13, 0, s2
	s_waitcnt lgkmcnt(0)
	s_and_b32 s0, s0, 0xffff
	s_and_b32 s1, s1, exec_lo
	v_mad_u64_u32 v[7:8], null, s0, 12, v[9:10]
	s_cselect_b32 s9, s7, 0
	s_cselect_b32 s8, s6, 0x10000
	s_mul_i32 s2, s0, 3
	s_lshl_b32 s3, s0, 3
	s_lshl_b32 s1, s0, 1
	v_add_co_u32 v14, s3, s3, v9
	v_add_co_u32 v9, s2, s2, v0
	s_delay_alu instid0(VALU_DEP_1) | instskip(SKIP_3) | instid1(VALU_DEP_3)
	v_add_co_ci_u32_e64 v10, null, 0, 0, s2
	v_add_co_u32 v13, s2, v0, s0
	v_add_co_u32 v5, vcc_lo, s10, v7
	v_add_co_ci_u32_e32 v6, vcc_lo, s11, v8, vcc_lo
	v_lshlrev_b32_e32 v21, 2, v13
	v_add_co_u32 v7, vcc_lo, s12, v7
	v_add_co_ci_u32_e64 v15, null, 0, 0, s3
	v_add_co_ci_u32_e32 v8, vcc_lo, s13, v8, vcc_lo
	v_add_co_u32 v17, s1, s1, v0
	v_add_co_u32 v11, vcc_lo, s10, v14
	v_add_co_ci_u32_e64 v18, null, 0, 0, s1
	v_add_co_u32 v19, s1, s10, v21
	v_add_co_ci_u32_e32 v12, vcc_lo, s11, v15, vcc_lo
	v_add_co_u32 v14, vcc_lo, s12, v14
	v_add_co_ci_u32_e64 v20, null, s11, 0, s1
	v_add_co_u32 v21, s1, s12, v21
	v_add_co_ci_u32_e32 v15, vcc_lo, s13, v15, vcc_lo
	v_add_co_ci_u32_e64 v16, null, 0, 0, s2
	v_add_co_ci_u32_e64 v22, null, s13, 0, s1
	s_lshl_b32 s12, s0, 2
	s_lshl_b32 s13, s0, 4
	s_mov_b64 s[10:11], 0
	s_branch .LBB54_9
.LBB54_8:                               ;   in Loop: Header=BB54_9 Depth=1
	s_or_b32 exec_lo, exec_lo, s0
	v_add_co_u32 v1, vcc_lo, v1, s13
	v_add_co_ci_u32_e32 v2, vcc_lo, 0, v2, vcc_lo
	v_add_co_u32 v3, vcc_lo, v3, s13
	v_add_co_ci_u32_e32 v4, vcc_lo, 0, v4, vcc_lo
	;; [unrolled: 2-line block ×5, first 2 shown]
	s_add_u32 s10, s10, s12
	v_add_co_u32 v14, vcc_lo, v14, s13
	s_addc_u32 s11, s11, 0
	v_add_co_ci_u32_e32 v15, vcc_lo, 0, v15, vcc_lo
	v_cmp_ge_i64_e64 s0, s[10:11], s[6:7]
	v_cmp_lt_u64_e64 s1, 0xffff, s[10:11]
	v_add_co_u32 v19, vcc_lo, v19, s13
	v_add_co_ci_u32_e32 v20, vcc_lo, 0, v20, vcc_lo
	v_add_co_u32 v21, vcc_lo, v21, s13
	v_add_co_ci_u32_e32 v22, vcc_lo, 0, v22, vcc_lo
	s_or_b32 s0, s0, s1
	s_delay_alu instid0(SALU_CYCLE_1)
	s_and_b32 vcc_lo, exec_lo, s0
	s_cbranch_vccnz .LBB54_25
.LBB54_9:                               ; =>This Inner Loop Header: Depth=1
	s_waitcnt vmcnt(1)
	v_add_co_u32 v23, s0, v0, s10
	s_waitcnt vmcnt(0)
	v_add_co_ci_u32_e64 v24, null, 0, s11, s0
	s_delay_alu instid0(VALU_DEP_1)
	v_cmp_gt_u64_e32 vcc_lo, s[8:9], v[23:24]
	v_dual_mov_b32 v23, 0 :: v_dual_mov_b32 v24, 0
	s_and_saveexec_b32 s1, vcc_lo
	s_cbranch_execz .LBB54_11
; %bb.10:                               ;   in Loop: Header=BB54_9 Depth=1
	v_add_co_u32 v23, s0, v1, s4
	s_delay_alu instid0(VALU_DEP_1) | instskip(SKIP_1) | instid1(VALU_DEP_1)
	v_add_co_ci_u32_e64 v24, s0, s5, v2, s0
	v_add_co_u32 v25, s0, v3, s4
	v_add_co_ci_u32_e64 v26, s0, s5, v4, s0
	global_load_b32 v23, v[23:24], off
	global_load_b32 v24, v[25:26], off
.LBB54_11:                              ;   in Loop: Header=BB54_9 Depth=1
	s_or_b32 exec_lo, exec_lo, s1
	v_add_co_u32 v26, s0, v13, s10
	s_delay_alu instid0(VALU_DEP_1) | instskip(SKIP_1) | instid1(VALU_DEP_2)
	v_add_co_ci_u32_e64 v27, s0, s11, v16, s0
	v_mov_b32_e32 v25, 0
	v_cmp_gt_u64_e64 s0, s[8:9], v[26:27]
	v_dual_mov_b32 v26, 0 :: v_dual_mov_b32 v27, 0
	s_delay_alu instid0(VALU_DEP_2)
	s_and_saveexec_b32 s2, s0
	s_cbranch_execz .LBB54_13
; %bb.12:                               ;   in Loop: Header=BB54_9 Depth=1
	v_add_co_u32 v26, s1, v19, s4
	s_delay_alu instid0(VALU_DEP_1) | instskip(SKIP_1) | instid1(VALU_DEP_1)
	v_add_co_ci_u32_e64 v27, s1, s5, v20, s1
	v_add_co_u32 v28, s1, v21, s4
	v_add_co_ci_u32_e64 v29, s1, s5, v22, s1
	global_load_b32 v26, v[26:27], off
	global_load_b32 v27, v[28:29], off
.LBB54_13:                              ;   in Loop: Header=BB54_9 Depth=1
	s_or_b32 exec_lo, exec_lo, s2
	v_add_co_u32 v28, s1, v17, s10
	s_delay_alu instid0(VALU_DEP_1) | instskip(NEXT) | instid1(VALU_DEP_1)
	v_add_co_ci_u32_e64 v29, s1, s11, v18, s1
	v_cmp_gt_u64_e64 s1, s[8:9], v[28:29]
	v_mov_b32_e32 v28, 0
	s_delay_alu instid0(VALU_DEP_2)
	s_and_saveexec_b32 s3, s1
	s_cbranch_execz .LBB54_15
; %bb.14:                               ;   in Loop: Header=BB54_9 Depth=1
	v_add_co_u32 v28, s2, v11, s4
	s_delay_alu instid0(VALU_DEP_1) | instskip(SKIP_1) | instid1(VALU_DEP_1)
	v_add_co_ci_u32_e64 v29, s2, s5, v12, s2
	v_add_co_u32 v30, s2, v14, s4
	v_add_co_ci_u32_e64 v31, s2, s5, v15, s2
	global_load_b32 v25, v[28:29], off
	global_load_b32 v28, v[30:31], off
.LBB54_15:                              ;   in Loop: Header=BB54_9 Depth=1
	s_or_b32 exec_lo, exec_lo, s3
	v_add_co_u32 v29, s2, v9, s10
	s_delay_alu instid0(VALU_DEP_1) | instskip(NEXT) | instid1(VALU_DEP_1)
	v_add_co_ci_u32_e64 v30, s2, s11, v10, s2
	v_cmp_gt_u64_e64 s2, s[8:9], v[29:30]
	v_dual_mov_b32 v29, 0 :: v_dual_mov_b32 v30, 0
	s_delay_alu instid0(VALU_DEP_2)
	s_and_saveexec_b32 s15, s2
	s_cbranch_execnz .LBB54_20
; %bb.16:                               ;   in Loop: Header=BB54_9 Depth=1
	s_or_b32 exec_lo, exec_lo, s15
	s_and_saveexec_b32 s3, vcc_lo
	s_cbranch_execnz .LBB54_21
.LBB54_17:                              ;   in Loop: Header=BB54_9 Depth=1
	s_or_b32 exec_lo, exec_lo, s3
	s_and_saveexec_b32 s3, s0
	s_cbranch_execnz .LBB54_22
.LBB54_18:                              ;   in Loop: Header=BB54_9 Depth=1
	s_or_b32 exec_lo, exec_lo, s3
	s_and_saveexec_b32 s0, s1
	s_cbranch_execnz .LBB54_23
.LBB54_19:                              ;   in Loop: Header=BB54_9 Depth=1
	s_or_b32 exec_lo, exec_lo, s0
	s_and_saveexec_b32 s0, s2
	s_cbranch_execz .LBB54_8
	s_branch .LBB54_24
.LBB54_20:                              ;   in Loop: Header=BB54_9 Depth=1
	v_add_co_u32 v29, s3, v5, s4
	s_delay_alu instid0(VALU_DEP_1) | instskip(SKIP_1) | instid1(VALU_DEP_1)
	v_add_co_ci_u32_e64 v30, s3, s5, v6, s3
	v_add_co_u32 v31, s3, v7, s4
	v_add_co_ci_u32_e64 v32, s3, s5, v8, s3
	global_load_b32 v29, v[29:30], off
	global_load_b32 v30, v[31:32], off
	s_or_b32 exec_lo, exec_lo, s15
	s_and_saveexec_b32 s3, vcc_lo
	s_cbranch_execz .LBB54_17
.LBB54_21:                              ;   in Loop: Header=BB54_9 Depth=1
	s_waitcnt vmcnt(0)
	v_mul_f32_e32 v24, s14, v24
	v_add_co_u32 v31, vcc_lo, v1, s4
	v_add_co_ci_u32_e32 v32, vcc_lo, s5, v2, vcc_lo
	s_delay_alu instid0(VALU_DEP_3)
	v_mul_f32_e32 v23, v23, v24
	global_store_b32 v[31:32], v23, off
	s_or_b32 exec_lo, exec_lo, s3
	s_and_saveexec_b32 s3, s0
	s_cbranch_execz .LBB54_18
.LBB54_22:                              ;   in Loop: Header=BB54_9 Depth=1
	s_waitcnt vmcnt(0)
	v_mul_f32_e32 v23, s14, v27
	s_delay_alu instid0(VALU_DEP_1)
	v_mul_f32_e32 v26, v26, v23
	v_add_co_u32 v23, vcc_lo, v19, s4
	v_add_co_ci_u32_e32 v24, vcc_lo, s5, v20, vcc_lo
	global_store_b32 v[23:24], v26, off
	s_or_b32 exec_lo, exec_lo, s3
	s_and_saveexec_b32 s0, s1
	s_cbranch_execz .LBB54_19
.LBB54_23:                              ;   in Loop: Header=BB54_9 Depth=1
	s_waitcnt vmcnt(0)
	v_mul_f32_e32 v23, s14, v28
	s_delay_alu instid0(VALU_DEP_1)
	v_mul_f32_e32 v25, v25, v23
	v_add_co_u32 v23, vcc_lo, v11, s4
	v_add_co_ci_u32_e32 v24, vcc_lo, s5, v12, vcc_lo
	global_store_b32 v[23:24], v25, off
	s_or_b32 exec_lo, exec_lo, s0
	s_and_saveexec_b32 s0, s2
	s_cbranch_execz .LBB54_8
.LBB54_24:                              ;   in Loop: Header=BB54_9 Depth=1
	s_waitcnt vmcnt(0)
	v_mul_f32_e32 v23, s14, v30
	s_delay_alu instid0(VALU_DEP_1)
	v_mul_f32_e32 v25, v29, v23
	v_add_co_u32 v23, vcc_lo, v5, s4
	v_add_co_ci_u32_e32 v24, vcc_lo, s5, v6, vcc_lo
	global_store_b32 v[23:24], v25, off
	s_branch .LBB54_8
.LBB54_25:
	s_nop 0
	s_sendmsg sendmsg(MSG_DEALLOC_VGPRS)
	s_endpgm
	.section	.rodata,"a",@progbits
	.p2align	6, 0x0
	.amdhsa_kernel _ZN2at6native12_GLOBAL__N_125multi_tensor_apply_kernelINS1_18TensorListMetadataILi2EEENS1_24BinaryOpListAlphaFunctorIfLi2ELi2ELi0EEEJSt10multipliesIfEfEEEvT_T0_DpT1_
		.amdhsa_group_segment_fixed_size 0
		.amdhsa_private_segment_fixed_size 0
		.amdhsa_kernarg_size 3408
		.amdhsa_user_sgpr_count 15
		.amdhsa_user_sgpr_dispatch_ptr 0
		.amdhsa_user_sgpr_queue_ptr 0
		.amdhsa_user_sgpr_kernarg_segment_ptr 1
		.amdhsa_user_sgpr_dispatch_id 0
		.amdhsa_user_sgpr_private_segment_size 0
		.amdhsa_wavefront_size32 1
		.amdhsa_uses_dynamic_stack 0
		.amdhsa_enable_private_segment 0
		.amdhsa_system_sgpr_workgroup_id_x 1
		.amdhsa_system_sgpr_workgroup_id_y 0
		.amdhsa_system_sgpr_workgroup_id_z 0
		.amdhsa_system_sgpr_workgroup_info 0
		.amdhsa_system_vgpr_workitem_id 0
		.amdhsa_next_free_vgpr 33
		.amdhsa_next_free_sgpr 24
		.amdhsa_reserve_vcc 1
		.amdhsa_float_round_mode_32 0
		.amdhsa_float_round_mode_16_64 0
		.amdhsa_float_denorm_mode_32 3
		.amdhsa_float_denorm_mode_16_64 3
		.amdhsa_dx10_clamp 1
		.amdhsa_ieee_mode 1
		.amdhsa_fp16_overflow 0
		.amdhsa_workgroup_processor_mode 1
		.amdhsa_memory_ordered 1
		.amdhsa_forward_progress 0
		.amdhsa_shared_vgpr_count 0
		.amdhsa_exception_fp_ieee_invalid_op 0
		.amdhsa_exception_fp_denorm_src 0
		.amdhsa_exception_fp_ieee_div_zero 0
		.amdhsa_exception_fp_ieee_overflow 0
		.amdhsa_exception_fp_ieee_underflow 0
		.amdhsa_exception_fp_ieee_inexact 0
		.amdhsa_exception_int_div_zero 0
	.end_amdhsa_kernel
	.section	.text._ZN2at6native12_GLOBAL__N_125multi_tensor_apply_kernelINS1_18TensorListMetadataILi2EEENS1_24BinaryOpListAlphaFunctorIfLi2ELi2ELi0EEEJSt10multipliesIfEfEEEvT_T0_DpT1_,"axG",@progbits,_ZN2at6native12_GLOBAL__N_125multi_tensor_apply_kernelINS1_18TensorListMetadataILi2EEENS1_24BinaryOpListAlphaFunctorIfLi2ELi2ELi0EEEJSt10multipliesIfEfEEEvT_T0_DpT1_,comdat
.Lfunc_end54:
	.size	_ZN2at6native12_GLOBAL__N_125multi_tensor_apply_kernelINS1_18TensorListMetadataILi2EEENS1_24BinaryOpListAlphaFunctorIfLi2ELi2ELi0EEEJSt10multipliesIfEfEEEvT_T0_DpT1_, .Lfunc_end54-_ZN2at6native12_GLOBAL__N_125multi_tensor_apply_kernelINS1_18TensorListMetadataILi2EEENS1_24BinaryOpListAlphaFunctorIfLi2ELi2ELi0EEEJSt10multipliesIfEfEEEvT_T0_DpT1_
                                        ; -- End function
	.section	.AMDGPU.csdata,"",@progbits
; Kernel info:
; codeLenInByte = 1588
; NumSgprs: 26
; NumVgprs: 33
; ScratchSize: 0
; MemoryBound: 0
; FloatMode: 240
; IeeeMode: 1
; LDSByteSize: 0 bytes/workgroup (compile time only)
; SGPRBlocks: 3
; VGPRBlocks: 4
; NumSGPRsForWavesPerEU: 26
; NumVGPRsForWavesPerEU: 33
; Occupancy: 16
; WaveLimiterHint : 0
; COMPUTE_PGM_RSRC2:SCRATCH_EN: 0
; COMPUTE_PGM_RSRC2:USER_SGPR: 15
; COMPUTE_PGM_RSRC2:TRAP_HANDLER: 0
; COMPUTE_PGM_RSRC2:TGID_X_EN: 1
; COMPUTE_PGM_RSRC2:TGID_Y_EN: 0
; COMPUTE_PGM_RSRC2:TGID_Z_EN: 0
; COMPUTE_PGM_RSRC2:TIDIG_COMP_CNT: 0
	.section	.text._ZN2at6native12_GLOBAL__N_125multi_tensor_apply_kernelINS1_18TensorListMetadataILi2EEENS1_24BinaryOpListAlphaFunctorIN3c107complexIdEELi2ELi2ELi0EEEJSt10multipliesIS8_ES8_EEEvT_T0_DpT1_,"axG",@progbits,_ZN2at6native12_GLOBAL__N_125multi_tensor_apply_kernelINS1_18TensorListMetadataILi2EEENS1_24BinaryOpListAlphaFunctorIN3c107complexIdEELi2ELi2ELi0EEEJSt10multipliesIS8_ES8_EEEvT_T0_DpT1_,comdat
	.globl	_ZN2at6native12_GLOBAL__N_125multi_tensor_apply_kernelINS1_18TensorListMetadataILi2EEENS1_24BinaryOpListAlphaFunctorIN3c107complexIdEELi2ELi2ELi0EEEJSt10multipliesIS8_ES8_EEEvT_T0_DpT1_ ; -- Begin function _ZN2at6native12_GLOBAL__N_125multi_tensor_apply_kernelINS1_18TensorListMetadataILi2EEENS1_24BinaryOpListAlphaFunctorIN3c107complexIdEELi2ELi2ELi0EEEJSt10multipliesIS8_ES8_EEEvT_T0_DpT1_
	.p2align	8
	.type	_ZN2at6native12_GLOBAL__N_125multi_tensor_apply_kernelINS1_18TensorListMetadataILi2EEENS1_24BinaryOpListAlphaFunctorIN3c107complexIdEELi2ELi2ELi0EEEJSt10multipliesIS8_ES8_EEEvT_T0_DpT1_,@function
_ZN2at6native12_GLOBAL__N_125multi_tensor_apply_kernelINS1_18TensorListMetadataILi2EEENS1_24BinaryOpListAlphaFunctorIN3c107complexIdEELi2ELi2ELi0EEEJSt10multipliesIS8_ES8_EEEvT_T0_DpT1_: ; @_ZN2at6native12_GLOBAL__N_125multi_tensor_apply_kernelINS1_18TensorListMetadataILi2EEENS1_24BinaryOpListAlphaFunctorIN3c107complexIdEELi2ELi2ELi0EEEJSt10multipliesIS8_ES8_EEEvT_T0_DpT1_
; %bb.0:
	v_mov_b32_e32 v1, s15
	s_add_u32 s2, s0, s15
	s_mul_hi_u32 s3, s15, 3
	s_mul_i32 s15, s15, 3
	s_addc_u32 s4, s1, 0
	global_load_u8 v1, v1, s[0:1] offset:1536
	s_add_u32 s2, s2, s15
	s_addc_u32 s3, s4, s3
	s_mov_b32 s21, 0
	s_load_b32 s2, s[2:3], 0x740
	s_mov_b32 s23, s21
	s_mov_b32 s25, s21
	s_waitcnt vmcnt(0)
	v_readfirstlane_b32 s3, v1
	s_delay_alu instid0(VALU_DEP_1)
	s_lshl_b32 s3, s3, 3
	s_clause 0x3
	s_load_b64 s[16:17], s[0:1], s3 offset:0x0
	s_load_b64 s[18:19], s[0:1], s3 offset:0x200
	;; [unrolled: 1-line block ×3, first 2 shown]
	s_load_b128 s[4:7], s[0:1], 0xc50
	s_waitcnt lgkmcnt(0)
	s_ashr_i32 s3, s2, 31
	s_delay_alu instid0(SALU_CYCLE_1) | instskip(NEXT) | instid1(SALU_CYCLE_1)
	s_lshl_b64 s[8:9], s[2:3], 20
	s_add_u32 s12, s16, s8
	s_addc_u32 s13, s17, s9
	s_add_u32 s14, s18, s8
	s_addc_u32 s15, s19, s9
	s_and_b32 s22, s12, 63
	s_and_b32 s24, s10, 3
	;; [unrolled: 1-line block ×3, first 2 shown]
	s_or_b64 s[22:23], s[22:23], s[24:25]
	s_lshl_b64 s[2:3], s[2:3], 16
	s_or_b64 s[20:21], s[20:21], s[22:23]
	s_sub_u32 s10, s10, s2
	s_subb_u32 s11, s11, s3
	s_cmp_eq_u64 s[20:21], 0
	s_mov_b32 s2, -1
	s_cbranch_scc0 .LBB55_5
; %bb.1:
	v_dual_mov_b32 v2, 0 :: v_dual_lshlrev_b32 v1, 2, v0
	s_mov_b32 s20, exec_lo
	s_delay_alu instid0(VALU_DEP_1)
	v_cmpx_gt_i64_e64 s[10:11], v[1:2]
	s_cbranch_execz .LBB55_4
; %bb.2:
	s_load_b32 s2, s[0:1], 0xc6c
	v_lshlrev_b32_e32 v3, 6, v0
	s_mov_b32 s21, 0
	s_waitcnt lgkmcnt(0)
	s_and_b32 s2, s2, 0xffff
	s_delay_alu instid0(SALU_CYCLE_1)
	v_add_lshl_u32 v1, v0, s2, 2
	s_lshl_b32 s22, s2, 2
	s_lshl_b32 s23, s2, 6
.LBB55_3:                               ; =>This Inner Loop Header: Depth=1
	v_add_co_u32 v16, s2, s14, v3
	s_delay_alu instid0(VALU_DEP_1) | instskip(SKIP_1) | instid1(VALU_DEP_1)
	v_add_co_ci_u32_e64 v17, null, s15, 0, s2
	v_add_co_u32 v36, s2, s12, v3
	v_add_co_ci_u32_e64 v37, null, s13, 0, s2
	s_clause 0x3
	global_load_b128 v[4:7], v[16:17], off
	global_load_b128 v[8:11], v[16:17], off offset:16
	global_load_b128 v[12:15], v[16:17], off offset:32
	;; [unrolled: 1-line block ×3, first 2 shown]
	s_clause 0x3
	global_load_b128 v[20:23], v[36:37], off
	global_load_b128 v[24:27], v[36:37], off offset:16
	global_load_b128 v[28:31], v[36:37], off offset:32
	global_load_b128 v[32:35], v[36:37], off offset:48
	v_cmp_le_i64_e32 vcc_lo, s[10:11], v[1:2]
	v_cmp_lt_u64_e64 s2, 0xffff, v[1:2]
	v_add_co_u32 v1, s3, v1, s22
	s_delay_alu instid0(VALU_DEP_1) | instskip(NEXT) | instid1(VALU_DEP_3)
	v_add_co_ci_u32_e64 v2, s3, 0, v2, s3
	s_or_b32 s2, vcc_lo, s2
	s_add_u32 s12, s12, s23
	s_addc_u32 s13, s13, 0
	s_add_u32 s14, s14, s23
	s_addc_u32 s15, s15, 0
	s_and_b32 s2, exec_lo, s2
	s_delay_alu instid0(SALU_CYCLE_1)
	s_or_b32 s21, s2, s21
	s_waitcnt vmcnt(7)
	v_mul_f64 v[38:39], s[4:5], v[6:7]
	s_waitcnt vmcnt(6)
	v_mul_f64 v[40:41], s[4:5], v[10:11]
	;; [unrolled: 2-line block ×4, first 2 shown]
	v_mul_f64 v[6:7], s[6:7], v[6:7]
	v_mul_f64 v[10:11], s[6:7], v[10:11]
	;; [unrolled: 1-line block ×4, first 2 shown]
	v_fma_f64 v[38:39], s[6:7], v[4:5], v[38:39]
	v_fma_f64 v[40:41], s[6:7], v[8:9], v[40:41]
	;; [unrolled: 1-line block ×4, first 2 shown]
	v_fma_f64 v[6:7], s[4:5], v[4:5], -v[6:7]
	v_fma_f64 v[10:11], s[4:5], v[8:9], -v[10:11]
	;; [unrolled: 1-line block ×4, first 2 shown]
	s_waitcnt vmcnt(3)
	v_mul_f64 v[4:5], v[22:23], v[38:39]
	v_mul_f64 v[8:9], v[20:21], v[38:39]
	s_waitcnt vmcnt(2)
	v_mul_f64 v[12:13], v[26:27], v[40:41]
	v_mul_f64 v[16:17], v[24:25], v[40:41]
	;; [unrolled: 3-line block ×4, first 2 shown]
	v_fma_f64 v[4:5], v[20:21], v[6:7], -v[4:5]
	v_fma_f64 v[6:7], v[22:23], v[6:7], v[8:9]
	v_fma_f64 v[8:9], v[24:25], v[10:11], -v[12:13]
	v_fma_f64 v[10:11], v[26:27], v[10:11], v[16:17]
	;; [unrolled: 2-line block ×4, first 2 shown]
	s_clause 0x3
	global_store_b128 v[36:37], v[4:7], off
	global_store_b128 v[36:37], v[8:11], off offset:16
	global_store_b128 v[36:37], v[12:15], off offset:32
	;; [unrolled: 1-line block ×3, first 2 shown]
	s_and_not1_b32 exec_lo, exec_lo, s21
	s_cbranch_execnz .LBB55_3
.LBB55_4:
	s_or_b32 exec_lo, exec_lo, s20
	s_mov_b32 s2, 0
.LBB55_5:
	s_delay_alu instid0(SALU_CYCLE_1)
	s_and_not1_b32 vcc_lo, exec_lo, s2
	s_cbranch_vccnz .LBB55_25
; %bb.6:
	v_cmp_lt_i64_e64 s2, s[10:11], 1
	s_delay_alu instid0(VALU_DEP_1)
	s_and_b32 vcc_lo, exec_lo, s2
	s_cbranch_vccnz .LBB55_25
; %bb.7:
	s_load_b32 s0, s[0:1], 0xc6c
	v_mov_b32_e32 v1, 0
	v_lshl_or_b32 v2, v0, 4, 8
	v_cmp_gt_u64_e64 s1, 0x10000, s[10:11]
	s_mov_b32 s13, 0
	s_delay_alu instid0(VALU_DEP_3) | instskip(NEXT) | instid1(VALU_DEP_3)
	v_mov_b32_e32 v3, v1
	v_add_co_u32 v34, s2, s18, v2
	s_delay_alu instid0(VALU_DEP_1) | instskip(SKIP_1) | instid1(VALU_DEP_1)
	v_add_co_ci_u32_e64 v35, null, s19, 0, s2
	v_add_co_u32 v36, s2, s16, v2
	v_add_co_ci_u32_e64 v37, null, s17, 0, s2
	s_waitcnt lgkmcnt(0)
	s_and_b32 s20, s0, 0xffff
	s_and_b32 s0, s1, exec_lo
	v_add_lshl_u32 v6, v0, s20, 4
	v_mad_u64_u32 v[4:5], null, s20, 48, v[2:3]
	s_cselect_b32 s15, s11, 0
	s_cselect_b32 s14, s10, 0x10000
	s_delay_alu instid0(VALU_DEP_2) | instskip(NEXT) | instid1(VALU_DEP_1)
	v_add_co_u32 v38, s0, s16, v6
	v_add_co_ci_u32_e64 v39, null, s17, 0, s0
	v_add_co_u32 v42, s0, s18, v6
	s_delay_alu instid0(VALU_DEP_1)
	v_add_co_ci_u32_e64 v43, null, s19, 0, s0
	s_lshl_b32 s0, s20, 5
	v_add_co_u32 v40, vcc_lo, s18, v4
	v_add_co_u32 v2, s0, v2, s0
	v_add_co_ci_u32_e32 v41, vcc_lo, s19, v5, vcc_lo
	v_add_co_ci_u32_e64 v3, null, 0, 0, s0
	v_add_co_u32 v44, vcc_lo, s16, v4
	v_add_co_ci_u32_e32 v45, vcc_lo, s17, v5, vcc_lo
	v_add_co_u32 v46, vcc_lo, s18, v2
	s_delay_alu instid0(VALU_DEP_4)
	v_add_co_ci_u32_e32 v47, vcc_lo, s19, v3, vcc_lo
	v_add_co_u32 v48, vcc_lo, s16, v2
	v_add_co_ci_u32_e32 v49, vcc_lo, s17, v3, vcc_lo
	s_lshl_b32 s12, s20, 2
	s_lshl_b32 s21, s20, 1
	s_mul_i32 s22, s20, 3
	s_lshl_b32 s18, s20, 6
	s_mov_b64 s[16:17], s[12:13]
	s_branch .LBB55_9
.LBB55_8:                               ;   in Loop: Header=BB55_9 Depth=1
	s_or_b32 exec_lo, exec_lo, s0
	v_add_co_u32 v0, vcc_lo, v0, s12
	v_add_co_ci_u32_e32 v1, vcc_lo, 0, v1, vcc_lo
	v_add_co_u32 v34, vcc_lo, v34, s18
	v_add_co_ci_u32_e32 v35, vcc_lo, 0, v35, vcc_lo
	;; [unrolled: 2-line block ×7, first 2 shown]
	v_cmp_ge_i64_e64 s0, s[16:17], s[10:11]
	v_cmp_lt_u64_e64 s1, 0xffff, s[16:17]
	v_add_co_u32 v46, vcc_lo, v46, s18
	v_add_co_ci_u32_e32 v47, vcc_lo, 0, v47, vcc_lo
	v_add_co_u32 v48, vcc_lo, v48, s18
	v_add_co_ci_u32_e32 v49, vcc_lo, 0, v49, vcc_lo
	s_or_b32 s0, s0, s1
	s_add_u32 s16, s16, s12
	s_addc_u32 s17, s17, 0
	s_and_b32 vcc_lo, exec_lo, s0
	s_cbranch_vccnz .LBB55_25
.LBB55_9:                               ; =>This Inner Loop Header: Depth=1
	s_waitcnt vmcnt(0)
	v_mov_b32_e32 v4, 0
	v_mov_b32_e32 v5, 0
	v_cmp_gt_u64_e32 vcc_lo, s[14:15], v[0:1]
	s_delay_alu instid0(VALU_DEP_2)
	v_dual_mov_b32 v13, v5 :: v_dual_mov_b32 v12, v4
	v_dual_mov_b32 v11, v5 :: v_dual_mov_b32 v10, v4
	v_dual_mov_b32 v9, v5 :: v_dual_mov_b32 v8, v4
	v_dual_mov_b32 v7, v5 :: v_dual_mov_b32 v6, v4
	s_and_saveexec_b32 s1, vcc_lo
	s_cbranch_execz .LBB55_11
; %bb.10:                               ;   in Loop: Header=BB55_9 Depth=1
	v_add_co_u32 v2, s0, v36, s8
	s_delay_alu instid0(VALU_DEP_1) | instskip(SKIP_1) | instid1(VALU_DEP_1)
	v_add_co_ci_u32_e64 v3, s0, s9, v37, s0
	v_add_co_u32 v10, s0, v34, s8
	v_add_co_ci_u32_e64 v11, s0, s9, v35, s0
	global_load_b128 v[6:9], v[2:3], off offset:-8
	global_load_b128 v[10:13], v[10:11], off offset:-8
.LBB55_11:                              ;   in Loop: Header=BB55_9 Depth=1
	s_or_b32 exec_lo, exec_lo, s1
	v_add_co_u32 v14, s0, s20, v0
	s_delay_alu instid0(VALU_DEP_1) | instskip(SKIP_2) | instid1(VALU_DEP_3)
	v_add_co_ci_u32_e64 v15, s0, 0, v1, s0
	v_dual_mov_b32 v2, v4 :: v_dual_mov_b32 v3, v5
	v_dual_mov_b32 v17, v5 :: v_dual_mov_b32 v16, v4
	v_cmp_gt_u64_e64 s0, s[14:15], v[14:15]
	v_dual_mov_b32 v15, v5 :: v_dual_mov_b32 v14, v4
	s_delay_alu instid0(VALU_DEP_2)
	s_and_saveexec_b32 s2, s0
	s_cbranch_execz .LBB55_13
; %bb.12:                               ;   in Loop: Header=BB55_9 Depth=1
	v_add_co_u32 v2, s1, v38, s8
	s_delay_alu instid0(VALU_DEP_1) | instskip(SKIP_1) | instid1(VALU_DEP_1)
	v_add_co_ci_u32_e64 v3, s1, s9, v39, s1
	v_add_co_u32 v4, s1, v42, s8
	v_add_co_ci_u32_e64 v5, s1, s9, v43, s1
	global_load_b128 v[14:17], v[2:3], off
	global_load_b128 v[2:5], v[4:5], off
.LBB55_13:                              ;   in Loop: Header=BB55_9 Depth=1
	s_or_b32 exec_lo, exec_lo, s2
	v_add_co_u32 v18, s1, s21, v0
	s_delay_alu instid0(VALU_DEP_1) | instskip(SKIP_2) | instid1(VALU_DEP_3)
	v_add_co_ci_u32_e64 v19, s1, 0, v1, s1
	v_mov_b32_e32 v20, 0
	v_mov_b32_e32 v21, 0
	v_cmp_gt_u64_e64 s1, s[14:15], v[18:19]
	s_delay_alu instid0(VALU_DEP_2)
	v_dual_mov_b32 v29, v21 :: v_dual_mov_b32 v28, v20
	v_dual_mov_b32 v27, v21 :: v_dual_mov_b32 v26, v20
	;; [unrolled: 1-line block ×4, first 2 shown]
	s_and_saveexec_b32 s3, s1
	s_cbranch_execz .LBB55_15
; %bb.14:                               ;   in Loop: Header=BB55_9 Depth=1
	v_add_co_u32 v18, s2, v48, s8
	s_delay_alu instid0(VALU_DEP_1) | instskip(SKIP_1) | instid1(VALU_DEP_1)
	v_add_co_ci_u32_e64 v19, s2, s9, v49, s2
	v_add_co_u32 v26, s2, v46, s8
	v_add_co_ci_u32_e64 v27, s2, s9, v47, s2
	global_load_b128 v[22:25], v[18:19], off offset:-8
	global_load_b128 v[26:29], v[26:27], off offset:-8
.LBB55_15:                              ;   in Loop: Header=BB55_9 Depth=1
	s_or_b32 exec_lo, exec_lo, s3
	v_add_co_u32 v30, s2, s22, v0
	s_delay_alu instid0(VALU_DEP_1) | instskip(SKIP_2) | instid1(VALU_DEP_3)
	v_add_co_ci_u32_e64 v31, s2, 0, v1, s2
	v_dual_mov_b32 v18, v20 :: v_dual_mov_b32 v19, v21
	v_dual_mov_b32 v33, v21 :: v_dual_mov_b32 v32, v20
	v_cmp_gt_u64_e64 s2, s[14:15], v[30:31]
	v_dual_mov_b32 v31, v21 :: v_dual_mov_b32 v30, v20
	s_delay_alu instid0(VALU_DEP_2)
	s_and_saveexec_b32 s13, s2
	s_cbranch_execnz .LBB55_20
; %bb.16:                               ;   in Loop: Header=BB55_9 Depth=1
	s_or_b32 exec_lo, exec_lo, s13
	s_and_saveexec_b32 s3, vcc_lo
	s_cbranch_execnz .LBB55_21
.LBB55_17:                              ;   in Loop: Header=BB55_9 Depth=1
	s_or_b32 exec_lo, exec_lo, s3
	s_and_saveexec_b32 s3, s0
	s_cbranch_execnz .LBB55_22
.LBB55_18:                              ;   in Loop: Header=BB55_9 Depth=1
	s_or_b32 exec_lo, exec_lo, s3
	s_and_saveexec_b32 s0, s1
	s_cbranch_execnz .LBB55_23
.LBB55_19:                              ;   in Loop: Header=BB55_9 Depth=1
	s_or_b32 exec_lo, exec_lo, s0
	s_and_saveexec_b32 s0, s2
	s_cbranch_execz .LBB55_8
	s_branch .LBB55_24
.LBB55_20:                              ;   in Loop: Header=BB55_9 Depth=1
	v_add_co_u32 v18, s3, v44, s8
	s_delay_alu instid0(VALU_DEP_1) | instskip(SKIP_1) | instid1(VALU_DEP_1)
	v_add_co_ci_u32_e64 v19, s3, s9, v45, s3
	v_add_co_u32 v20, s3, v40, s8
	v_add_co_ci_u32_e64 v21, s3, s9, v41, s3
	global_load_b128 v[30:33], v[18:19], off offset:-8
	global_load_b128 v[18:21], v[20:21], off offset:-8
	s_or_b32 exec_lo, exec_lo, s13
	s_and_saveexec_b32 s3, vcc_lo
	s_cbranch_execz .LBB55_17
.LBB55_21:                              ;   in Loop: Header=BB55_9 Depth=1
	s_waitcnt vmcnt(0)
	v_mul_f64 v[50:51], s[6:7], v[10:11]
	v_mul_f64 v[52:53], s[6:7], v[12:13]
	s_delay_alu instid0(VALU_DEP_2) | instskip(NEXT) | instid1(VALU_DEP_2)
	v_fma_f64 v[12:13], s[4:5], v[12:13], v[50:51]
	v_fma_f64 v[10:11], s[4:5], v[10:11], -v[52:53]
	s_delay_alu instid0(VALU_DEP_2) | instskip(SKIP_1) | instid1(VALU_DEP_2)
	v_mul_f64 v[50:51], v[6:7], v[12:13]
	v_mul_f64 v[12:13], v[8:9], v[12:13]
	v_fma_f64 v[8:9], v[8:9], v[10:11], v[50:51]
	s_delay_alu instid0(VALU_DEP_2)
	v_fma_f64 v[6:7], v[6:7], v[10:11], -v[12:13]
	v_add_co_u32 v10, vcc_lo, v36, s8
	v_add_co_ci_u32_e32 v11, vcc_lo, s9, v37, vcc_lo
	global_store_b128 v[10:11], v[6:9], off offset:-8
	s_or_b32 exec_lo, exec_lo, s3
	s_and_saveexec_b32 s3, s0
	s_cbranch_execz .LBB55_18
.LBB55_22:                              ;   in Loop: Header=BB55_9 Depth=1
	s_waitcnt vmcnt(0)
	v_mul_f64 v[6:7], s[6:7], v[2:3]
	v_mul_f64 v[8:9], s[6:7], v[4:5]
	s_delay_alu instid0(VALU_DEP_2) | instskip(NEXT) | instid1(VALU_DEP_2)
	v_fma_f64 v[4:5], s[4:5], v[4:5], v[6:7]
	v_fma_f64 v[6:7], s[4:5], v[2:3], -v[8:9]
	s_delay_alu instid0(VALU_DEP_2) | instskip(SKIP_1) | instid1(VALU_DEP_2)
	v_mul_f64 v[2:3], v[16:17], v[4:5]
	v_mul_f64 v[4:5], v[14:15], v[4:5]
	v_fma_f64 v[2:3], v[14:15], v[6:7], -v[2:3]
	s_delay_alu instid0(VALU_DEP_2)
	v_fma_f64 v[4:5], v[16:17], v[6:7], v[4:5]
	v_add_co_u32 v6, vcc_lo, v38, s8
	v_add_co_ci_u32_e32 v7, vcc_lo, s9, v39, vcc_lo
	global_store_b128 v[6:7], v[2:5], off
	s_or_b32 exec_lo, exec_lo, s3
	s_and_saveexec_b32 s0, s1
	s_cbranch_execz .LBB55_19
.LBB55_23:                              ;   in Loop: Header=BB55_9 Depth=1
	s_waitcnt vmcnt(0)
	v_mul_f64 v[2:3], s[6:7], v[26:27]
	v_mul_f64 v[4:5], s[6:7], v[28:29]
	s_delay_alu instid0(VALU_DEP_2) | instskip(NEXT) | instid1(VALU_DEP_2)
	v_fma_f64 v[2:3], s[4:5], v[28:29], v[2:3]
	v_fma_f64 v[4:5], s[4:5], v[26:27], -v[4:5]
	s_delay_alu instid0(VALU_DEP_2) | instskip(SKIP_1) | instid1(VALU_DEP_2)
	v_mul_f64 v[6:7], v[24:25], v[2:3]
	v_mul_f64 v[8:9], v[22:23], v[2:3]
	v_fma_f64 v[2:3], v[22:23], v[4:5], -v[6:7]
	s_delay_alu instid0(VALU_DEP_2)
	v_fma_f64 v[4:5], v[24:25], v[4:5], v[8:9]
	v_add_co_u32 v6, vcc_lo, v48, s8
	v_add_co_ci_u32_e32 v7, vcc_lo, s9, v49, vcc_lo
	global_store_b128 v[6:7], v[2:5], off offset:-8
	s_or_b32 exec_lo, exec_lo, s0
	s_and_saveexec_b32 s0, s2
	s_cbranch_execz .LBB55_8
.LBB55_24:                              ;   in Loop: Header=BB55_9 Depth=1
	s_waitcnt vmcnt(0)
	v_mul_f64 v[2:3], s[6:7], v[18:19]
	v_mul_f64 v[4:5], s[6:7], v[20:21]
	s_delay_alu instid0(VALU_DEP_2) | instskip(NEXT) | instid1(VALU_DEP_2)
	v_fma_f64 v[2:3], s[4:5], v[20:21], v[2:3]
	v_fma_f64 v[4:5], s[4:5], v[18:19], -v[4:5]
	s_delay_alu instid0(VALU_DEP_2) | instskip(SKIP_1) | instid1(VALU_DEP_2)
	v_mul_f64 v[6:7], v[32:33], v[2:3]
	v_mul_f64 v[8:9], v[30:31], v[2:3]
	v_fma_f64 v[2:3], v[30:31], v[4:5], -v[6:7]
	s_delay_alu instid0(VALU_DEP_2)
	v_fma_f64 v[4:5], v[32:33], v[4:5], v[8:9]
	v_add_co_u32 v6, vcc_lo, v44, s8
	v_add_co_ci_u32_e32 v7, vcc_lo, s9, v45, vcc_lo
	global_store_b128 v[6:7], v[2:5], off offset:-8
	s_branch .LBB55_8
.LBB55_25:
	s_nop 0
	s_sendmsg sendmsg(MSG_DEALLOC_VGPRS)
	s_endpgm
	.section	.rodata,"a",@progbits
	.p2align	6, 0x0
	.amdhsa_kernel _ZN2at6native12_GLOBAL__N_125multi_tensor_apply_kernelINS1_18TensorListMetadataILi2EEENS1_24BinaryOpListAlphaFunctorIN3c107complexIdEELi2ELi2ELi0EEEJSt10multipliesIS8_ES8_EEEvT_T0_DpT1_
		.amdhsa_group_segment_fixed_size 0
		.amdhsa_private_segment_fixed_size 0
		.amdhsa_kernarg_size 3424
		.amdhsa_user_sgpr_count 15
		.amdhsa_user_sgpr_dispatch_ptr 0
		.amdhsa_user_sgpr_queue_ptr 0
		.amdhsa_user_sgpr_kernarg_segment_ptr 1
		.amdhsa_user_sgpr_dispatch_id 0
		.amdhsa_user_sgpr_private_segment_size 0
		.amdhsa_wavefront_size32 1
		.amdhsa_uses_dynamic_stack 0
		.amdhsa_enable_private_segment 0
		.amdhsa_system_sgpr_workgroup_id_x 1
		.amdhsa_system_sgpr_workgroup_id_y 0
		.amdhsa_system_sgpr_workgroup_id_z 0
		.amdhsa_system_sgpr_workgroup_info 0
		.amdhsa_system_vgpr_workitem_id 0
		.amdhsa_next_free_vgpr 54
		.amdhsa_next_free_sgpr 26
		.amdhsa_reserve_vcc 1
		.amdhsa_float_round_mode_32 0
		.amdhsa_float_round_mode_16_64 0
		.amdhsa_float_denorm_mode_32 3
		.amdhsa_float_denorm_mode_16_64 3
		.amdhsa_dx10_clamp 1
		.amdhsa_ieee_mode 1
		.amdhsa_fp16_overflow 0
		.amdhsa_workgroup_processor_mode 1
		.amdhsa_memory_ordered 1
		.amdhsa_forward_progress 0
		.amdhsa_shared_vgpr_count 0
		.amdhsa_exception_fp_ieee_invalid_op 0
		.amdhsa_exception_fp_denorm_src 0
		.amdhsa_exception_fp_ieee_div_zero 0
		.amdhsa_exception_fp_ieee_overflow 0
		.amdhsa_exception_fp_ieee_underflow 0
		.amdhsa_exception_fp_ieee_inexact 0
		.amdhsa_exception_int_div_zero 0
	.end_amdhsa_kernel
	.section	.text._ZN2at6native12_GLOBAL__N_125multi_tensor_apply_kernelINS1_18TensorListMetadataILi2EEENS1_24BinaryOpListAlphaFunctorIN3c107complexIdEELi2ELi2ELi0EEEJSt10multipliesIS8_ES8_EEEvT_T0_DpT1_,"axG",@progbits,_ZN2at6native12_GLOBAL__N_125multi_tensor_apply_kernelINS1_18TensorListMetadataILi2EEENS1_24BinaryOpListAlphaFunctorIN3c107complexIdEELi2ELi2ELi0EEEJSt10multipliesIS8_ES8_EEEvT_T0_DpT1_,comdat
.Lfunc_end55:
	.size	_ZN2at6native12_GLOBAL__N_125multi_tensor_apply_kernelINS1_18TensorListMetadataILi2EEENS1_24BinaryOpListAlphaFunctorIN3c107complexIdEELi2ELi2ELi0EEEJSt10multipliesIS8_ES8_EEEvT_T0_DpT1_, .Lfunc_end55-_ZN2at6native12_GLOBAL__N_125multi_tensor_apply_kernelINS1_18TensorListMetadataILi2EEENS1_24BinaryOpListAlphaFunctorIN3c107complexIdEELi2ELi2ELi0EEEJSt10multipliesIS8_ES8_EEEvT_T0_DpT1_
                                        ; -- End function
	.section	.AMDGPU.csdata,"",@progbits
; Kernel info:
; codeLenInByte = 2224
; NumSgprs: 28
; NumVgprs: 54
; ScratchSize: 0
; MemoryBound: 1
; FloatMode: 240
; IeeeMode: 1
; LDSByteSize: 0 bytes/workgroup (compile time only)
; SGPRBlocks: 3
; VGPRBlocks: 6
; NumSGPRsForWavesPerEU: 28
; NumVGPRsForWavesPerEU: 54
; Occupancy: 16
; WaveLimiterHint : 0
; COMPUTE_PGM_RSRC2:SCRATCH_EN: 0
; COMPUTE_PGM_RSRC2:USER_SGPR: 15
; COMPUTE_PGM_RSRC2:TRAP_HANDLER: 0
; COMPUTE_PGM_RSRC2:TGID_X_EN: 1
; COMPUTE_PGM_RSRC2:TGID_Y_EN: 0
; COMPUTE_PGM_RSRC2:TGID_Z_EN: 0
; COMPUTE_PGM_RSRC2:TIDIG_COMP_CNT: 0
	.section	.text._ZN2at6native12_GLOBAL__N_125multi_tensor_apply_kernelINS1_18TensorListMetadataILi2EEENS1_24BinaryOpListAlphaFunctorIN3c107complexIfEELi2ELi2ELi0EEEJSt10multipliesIS8_ES8_EEEvT_T0_DpT1_,"axG",@progbits,_ZN2at6native12_GLOBAL__N_125multi_tensor_apply_kernelINS1_18TensorListMetadataILi2EEENS1_24BinaryOpListAlphaFunctorIN3c107complexIfEELi2ELi2ELi0EEEJSt10multipliesIS8_ES8_EEEvT_T0_DpT1_,comdat
	.globl	_ZN2at6native12_GLOBAL__N_125multi_tensor_apply_kernelINS1_18TensorListMetadataILi2EEENS1_24BinaryOpListAlphaFunctorIN3c107complexIfEELi2ELi2ELi0EEEJSt10multipliesIS8_ES8_EEEvT_T0_DpT1_ ; -- Begin function _ZN2at6native12_GLOBAL__N_125multi_tensor_apply_kernelINS1_18TensorListMetadataILi2EEENS1_24BinaryOpListAlphaFunctorIN3c107complexIfEELi2ELi2ELi0EEEJSt10multipliesIS8_ES8_EEEvT_T0_DpT1_
	.p2align	8
	.type	_ZN2at6native12_GLOBAL__N_125multi_tensor_apply_kernelINS1_18TensorListMetadataILi2EEENS1_24BinaryOpListAlphaFunctorIN3c107complexIfEELi2ELi2ELi0EEEJSt10multipliesIS8_ES8_EEEvT_T0_DpT1_,@function
_ZN2at6native12_GLOBAL__N_125multi_tensor_apply_kernelINS1_18TensorListMetadataILi2EEENS1_24BinaryOpListAlphaFunctorIN3c107complexIfEELi2ELi2ELi0EEEJSt10multipliesIS8_ES8_EEEvT_T0_DpT1_: ; @_ZN2at6native12_GLOBAL__N_125multi_tensor_apply_kernelINS1_18TensorListMetadataILi2EEENS1_24BinaryOpListAlphaFunctorIN3c107complexIfEELi2ELi2ELi0EEEJSt10multipliesIS8_ES8_EEEvT_T0_DpT1_
; %bb.0:
	v_mov_b32_e32 v1, s15
	s_add_u32 s2, s0, s15
	s_mul_hi_u32 s3, s15, 3
	s_mul_i32 s15, s15, 3
	s_addc_u32 s4, s1, 0
	global_load_u8 v1, v1, s[0:1] offset:1536
	s_add_u32 s2, s2, s15
	s_addc_u32 s3, s4, s3
	s_mov_b32 s19, 0
	s_load_b32 s2, s[2:3], 0x740
	s_mov_b32 s21, s19
	s_mov_b32 s23, s19
	s_waitcnt vmcnt(0)
	v_readfirstlane_b32 s3, v1
	s_delay_alu instid0(VALU_DEP_1)
	s_lshl_b32 s3, s3, 3
	s_clause 0x3
	s_load_b64 s[14:15], s[0:1], s3 offset:0x0
	s_load_b64 s[16:17], s[0:1], s3 offset:0x200
	;; [unrolled: 1-line block ×3, first 2 shown]
	s_load_b64 s[4:5], s[0:1], 0xc50
	s_waitcnt lgkmcnt(0)
	s_ashr_i32 s3, s2, 31
	s_delay_alu instid0(SALU_CYCLE_1) | instskip(NEXT) | instid1(SALU_CYCLE_1)
	s_lshl_b64 s[6:7], s[2:3], 19
	s_add_u32 s10, s14, s6
	s_addc_u32 s11, s15, s7
	s_add_u32 s12, s16, s6
	s_addc_u32 s13, s17, s7
	s_and_b32 s20, s10, 31
	s_and_b32 s22, s8, 3
	;; [unrolled: 1-line block ×3, first 2 shown]
	s_or_b64 s[20:21], s[20:21], s[22:23]
	s_lshl_b64 s[2:3], s[2:3], 16
	s_or_b64 s[18:19], s[18:19], s[20:21]
	s_sub_u32 s8, s8, s2
	s_subb_u32 s9, s9, s3
	s_cmp_eq_u64 s[18:19], 0
	s_mov_b32 s2, -1
	s_cbranch_scc0 .LBB56_5
; %bb.1:
	v_dual_mov_b32 v2, 0 :: v_dual_lshlrev_b32 v1, 2, v0
	s_mov_b32 s18, exec_lo
	s_delay_alu instid0(VALU_DEP_1)
	v_cmpx_gt_i64_e64 s[8:9], v[1:2]
	s_cbranch_execz .LBB56_4
; %bb.2:
	s_load_b32 s2, s[0:1], 0xc64
	v_lshlrev_b32_e32 v3, 5, v0
	s_mov_b32 s19, 0
	s_waitcnt lgkmcnt(0)
	s_and_b32 s2, s2, 0xffff
	s_delay_alu instid0(SALU_CYCLE_1)
	v_add_lshl_u32 v1, v0, s2, 2
	s_lshl_b32 s20, s2, 2
	s_lshl_b32 s21, s2, 5
.LBB56_3:                               ; =>This Inner Loop Header: Depth=1
	v_add_co_u32 v8, s2, s12, v3
	s_delay_alu instid0(VALU_DEP_1) | instskip(SKIP_1) | instid1(VALU_DEP_1)
	v_add_co_ci_u32_e64 v9, null, s13, 0, s2
	v_add_co_u32 v20, s2, s10, v3
	v_add_co_ci_u32_e64 v21, null, s11, 0, s2
	s_clause 0x1
	global_load_b128 v[4:7], v[8:9], off
	global_load_b128 v[8:11], v[8:9], off offset:16
	s_clause 0x1
	global_load_b128 v[12:15], v[20:21], off
	global_load_b128 v[16:19], v[20:21], off offset:16
	v_cmp_le_i64_e32 vcc_lo, s[8:9], v[1:2]
	v_cmp_lt_u64_e64 s2, 0xffff, v[1:2]
	v_add_co_u32 v1, s3, v1, s20
	s_delay_alu instid0(VALU_DEP_1) | instskip(NEXT) | instid1(VALU_DEP_3)
	v_add_co_ci_u32_e64 v2, s3, 0, v2, s3
	s_or_b32 s2, vcc_lo, s2
	s_add_u32 s10, s10, s21
	s_addc_u32 s11, s11, 0
	s_add_u32 s12, s12, s21
	s_addc_u32 s13, s13, 0
	s_and_b32 s2, exec_lo, s2
	s_delay_alu instid0(SALU_CYCLE_1)
	s_or_b32 s19, s2, s19
	s_waitcnt vmcnt(3)
	v_mul_f32_e32 v22, s5, v5
	v_dual_mul_f32 v23, s4, v5 :: v_dual_mul_f32 v24, s4, v7
	v_mul_f32_e32 v5, s5, v7
	s_waitcnt vmcnt(2)
	v_mul_f32_e32 v25, s4, v9
	v_dual_mul_f32 v7, s5, v9 :: v_dual_mul_f32 v26, s4, v11
	v_mul_f32_e32 v9, s5, v11
	v_fma_f32 v22, v4, s4, -v22
	v_fma_f32 v27, v6, s4, -v5
	v_fmac_f32_e32 v24, s5, v6
	v_dual_fmac_f32 v26, s5, v10 :: v_dual_fmac_f32 v25, s5, v8
	v_fmac_f32_e32 v23, s5, v4
	v_fma_f32 v28, v8, s4, -v7
	v_fma_f32 v29, v10, s4, -v9
	s_waitcnt vmcnt(1)
	v_dual_mul_f32 v5, v13, v22 :: v_dual_mul_f32 v6, v15, v24
	s_waitcnt vmcnt(0)
	v_dual_mul_f32 v7, v15, v27 :: v_dual_mul_f32 v8, v17, v25
	v_mul_f32_e32 v4, v13, v23
	v_dual_mul_f32 v9, v17, v28 :: v_dual_mul_f32 v10, v19, v26
	v_mul_f32_e32 v11, v19, v29
	v_fmac_f32_e32 v5, v12, v23
	s_delay_alu instid0(VALU_DEP_4)
	v_fma_f32 v4, v12, v22, -v4
	v_fma_f32 v6, v14, v27, -v6
	v_fmac_f32_e32 v7, v14, v24
	v_fma_f32 v8, v16, v28, -v8
	v_fmac_f32_e32 v9, v16, v25
	;; [unrolled: 2-line block ×3, first 2 shown]
	s_clause 0x1
	global_store_b128 v[20:21], v[4:7], off
	global_store_b128 v[20:21], v[8:11], off offset:16
	s_and_not1_b32 exec_lo, exec_lo, s19
	s_cbranch_execnz .LBB56_3
.LBB56_4:
	s_or_b32 exec_lo, exec_lo, s18
	s_mov_b32 s2, 0
.LBB56_5:
	s_delay_alu instid0(SALU_CYCLE_1)
	s_and_not1_b32 vcc_lo, exec_lo, s2
	s_cbranch_vccnz .LBB56_25
; %bb.6:
	v_cmp_lt_i64_e64 s2, s[8:9], 1
	s_delay_alu instid0(VALU_DEP_1)
	s_and_b32 vcc_lo, exec_lo, s2
	s_cbranch_vccnz .LBB56_25
; %bb.7:
	s_load_b32 s0, s[0:1], 0xc64
	v_mov_b32_e32 v1, 0
	v_lshl_or_b32 v2, v0, 3, 4
	v_cmp_gt_u64_e64 s1, 0x10000, s[8:9]
	s_mov_b32 s11, 0
	s_delay_alu instid0(VALU_DEP_3) | instskip(NEXT) | instid1(VALU_DEP_3)
	v_mov_b32_e32 v3, v1
	v_add_co_u32 v18, s2, s16, v2
	s_delay_alu instid0(VALU_DEP_1) | instskip(SKIP_1) | instid1(VALU_DEP_1)
	v_add_co_ci_u32_e64 v19, null, s17, 0, s2
	v_add_co_u32 v20, s2, s14, v2
	v_add_co_ci_u32_e64 v21, null, s15, 0, s2
	s_waitcnt lgkmcnt(0)
	s_and_b32 s18, s0, 0xffff
	s_and_b32 s0, s1, exec_lo
	v_add_lshl_u32 v6, v0, s18, 3
	v_mad_u64_u32 v[4:5], null, s18, 24, v[2:3]
	s_cselect_b32 s13, s9, 0
	s_cselect_b32 s12, s8, 0x10000
	s_delay_alu instid0(VALU_DEP_2) | instskip(NEXT) | instid1(VALU_DEP_1)
	v_add_co_u32 v22, s0, s14, v6
	v_add_co_ci_u32_e64 v23, null, s15, 0, s0
	v_add_co_u32 v26, s0, s16, v6
	s_delay_alu instid0(VALU_DEP_1)
	v_add_co_ci_u32_e64 v27, null, s17, 0, s0
	s_lshl_b32 s0, s18, 4
	v_add_co_u32 v24, vcc_lo, s16, v4
	v_add_co_u32 v2, s0, v2, s0
	v_add_co_ci_u32_e32 v25, vcc_lo, s17, v5, vcc_lo
	v_add_co_ci_u32_e64 v3, null, 0, 0, s0
	v_add_co_u32 v28, vcc_lo, s14, v4
	v_add_co_ci_u32_e32 v29, vcc_lo, s15, v5, vcc_lo
	v_add_co_u32 v30, vcc_lo, s16, v2
	s_delay_alu instid0(VALU_DEP_4)
	v_add_co_ci_u32_e32 v31, vcc_lo, s17, v3, vcc_lo
	v_add_co_u32 v32, vcc_lo, s14, v2
	v_add_co_ci_u32_e32 v33, vcc_lo, s15, v3, vcc_lo
	s_lshl_b32 s10, s18, 2
	s_lshl_b32 s19, s18, 1
	s_mul_i32 s20, s18, 3
	s_lshl_b32 s16, s18, 5
	s_mov_b64 s[14:15], s[10:11]
	s_branch .LBB56_9
.LBB56_8:                               ;   in Loop: Header=BB56_9 Depth=1
	s_or_b32 exec_lo, exec_lo, s0
	v_add_co_u32 v0, vcc_lo, v0, s10
	v_add_co_ci_u32_e32 v1, vcc_lo, 0, v1, vcc_lo
	v_add_co_u32 v18, vcc_lo, v18, s16
	v_add_co_ci_u32_e32 v19, vcc_lo, 0, v19, vcc_lo
	;; [unrolled: 2-line block ×7, first 2 shown]
	v_cmp_ge_i64_e64 s0, s[14:15], s[8:9]
	v_cmp_lt_u64_e64 s1, 0xffff, s[14:15]
	v_add_co_u32 v30, vcc_lo, v30, s16
	v_add_co_ci_u32_e32 v31, vcc_lo, 0, v31, vcc_lo
	v_add_co_u32 v32, vcc_lo, v32, s16
	v_add_co_ci_u32_e32 v33, vcc_lo, 0, v33, vcc_lo
	s_or_b32 s0, s0, s1
	s_add_u32 s14, s14, s10
	s_addc_u32 s15, s15, 0
	s_and_b32 vcc_lo, exec_lo, s0
	s_cbranch_vccnz .LBB56_25
.LBB56_9:                               ; =>This Inner Loop Header: Depth=1
	v_cmp_gt_u64_e32 vcc_lo, s[12:13], v[0:1]
	s_waitcnt vmcnt(1)
	v_dual_mov_b32 v5, 0 :: v_dual_mov_b32 v4, 0
	s_waitcnt vmcnt(0)
	v_dual_mov_b32 v7, 0 :: v_dual_mov_b32 v6, 0
	s_and_saveexec_b32 s1, vcc_lo
	s_cbranch_execz .LBB56_11
; %bb.10:                               ;   in Loop: Header=BB56_9 Depth=1
	v_add_co_u32 v2, s0, v20, s6
	s_delay_alu instid0(VALU_DEP_1) | instskip(SKIP_1) | instid1(VALU_DEP_1)
	v_add_co_ci_u32_e64 v3, s0, s7, v21, s0
	v_add_co_u32 v6, s0, v18, s6
	v_add_co_ci_u32_e64 v7, s0, s7, v19, s0
	global_load_b64 v[4:5], v[2:3], off offset:-4
	global_load_b64 v[6:7], v[6:7], off offset:-4
.LBB56_11:                              ;   in Loop: Header=BB56_9 Depth=1
	s_or_b32 exec_lo, exec_lo, s1
	v_add_co_u32 v8, s0, s18, v0
	s_delay_alu instid0(VALU_DEP_1) | instskip(SKIP_2) | instid1(VALU_DEP_3)
	v_add_co_ci_u32_e64 v9, s0, 0, v1, s0
	v_mov_b32_e32 v3, 0
	v_dual_mov_b32 v11, 0 :: v_dual_mov_b32 v10, 0
	v_cmp_gt_u64_e64 s0, s[12:13], v[8:9]
	v_dual_mov_b32 v8, 0 :: v_dual_mov_b32 v9, 0
	s_delay_alu instid0(VALU_DEP_2)
	s_and_saveexec_b32 s2, s0
	s_cbranch_execz .LBB56_13
; %bb.12:                               ;   in Loop: Header=BB56_9 Depth=1
	v_add_co_u32 v8, s1, v22, s6
	s_delay_alu instid0(VALU_DEP_1) | instskip(SKIP_1) | instid1(VALU_DEP_1)
	v_add_co_ci_u32_e64 v9, s1, s7, v23, s1
	v_add_co_u32 v10, s1, v26, s6
	v_add_co_ci_u32_e64 v11, s1, s7, v27, s1
	global_load_b64 v[8:9], v[8:9], off
	global_load_b64 v[10:11], v[10:11], off
.LBB56_13:                              ;   in Loop: Header=BB56_9 Depth=1
	s_or_b32 exec_lo, exec_lo, s2
	v_add_co_u32 v12, s1, s19, v0
	s_delay_alu instid0(VALU_DEP_1) | instskip(SKIP_1) | instid1(VALU_DEP_2)
	v_add_co_ci_u32_e64 v13, s1, 0, v1, s1
	v_mov_b32_e32 v2, 0
	v_cmp_gt_u64_e64 s1, s[12:13], v[12:13]
	v_dual_mov_b32 v13, 0 :: v_dual_mov_b32 v12, 0
	s_delay_alu instid0(VALU_DEP_2)
	s_and_saveexec_b32 s3, s1
	s_cbranch_execz .LBB56_15
; %bb.14:                               ;   in Loop: Header=BB56_9 Depth=1
	v_add_co_u32 v2, s2, v32, s6
	s_delay_alu instid0(VALU_DEP_1) | instskip(SKIP_1) | instid1(VALU_DEP_1)
	v_add_co_ci_u32_e64 v3, s2, s7, v33, s2
	v_add_co_u32 v12, s2, v30, s6
	v_add_co_ci_u32_e64 v13, s2, s7, v31, s2
	global_load_b64 v[2:3], v[2:3], off offset:-4
	global_load_b64 v[12:13], v[12:13], off offset:-4
.LBB56_15:                              ;   in Loop: Header=BB56_9 Depth=1
	s_or_b32 exec_lo, exec_lo, s3
	v_add_co_u32 v16, s2, s20, v0
	s_delay_alu instid0(VALU_DEP_1) | instskip(SKIP_1) | instid1(VALU_DEP_2)
	v_add_co_ci_u32_e64 v17, s2, 0, v1, s2
	v_dual_mov_b32 v15, 0 :: v_dual_mov_b32 v14, 0
	v_cmp_gt_u64_e64 s2, s[12:13], v[16:17]
	v_dual_mov_b32 v17, 0 :: v_dual_mov_b32 v16, 0
	s_delay_alu instid0(VALU_DEP_2)
	s_and_saveexec_b32 s11, s2
	s_cbranch_execnz .LBB56_20
; %bb.16:                               ;   in Loop: Header=BB56_9 Depth=1
	s_or_b32 exec_lo, exec_lo, s11
	s_and_saveexec_b32 s3, vcc_lo
	s_cbranch_execnz .LBB56_21
.LBB56_17:                              ;   in Loop: Header=BB56_9 Depth=1
	s_or_b32 exec_lo, exec_lo, s3
	s_and_saveexec_b32 s3, s0
	s_cbranch_execnz .LBB56_22
.LBB56_18:                              ;   in Loop: Header=BB56_9 Depth=1
	s_or_b32 exec_lo, exec_lo, s3
	s_and_saveexec_b32 s0, s1
	s_cbranch_execnz .LBB56_23
.LBB56_19:                              ;   in Loop: Header=BB56_9 Depth=1
	s_or_b32 exec_lo, exec_lo, s0
	s_and_saveexec_b32 s0, s2
	s_cbranch_execz .LBB56_8
	s_branch .LBB56_24
.LBB56_20:                              ;   in Loop: Header=BB56_9 Depth=1
	v_add_co_u32 v14, s3, v28, s6
	s_delay_alu instid0(VALU_DEP_1) | instskip(SKIP_1) | instid1(VALU_DEP_1)
	v_add_co_ci_u32_e64 v15, s3, s7, v29, s3
	v_add_co_u32 v16, s3, v24, s6
	v_add_co_ci_u32_e64 v17, s3, s7, v25, s3
	global_load_b64 v[14:15], v[14:15], off offset:-4
	global_load_b64 v[16:17], v[16:17], off offset:-4
	s_or_b32 exec_lo, exec_lo, s11
	s_and_saveexec_b32 s3, vcc_lo
	s_cbranch_execz .LBB56_17
.LBB56_21:                              ;   in Loop: Header=BB56_9 Depth=1
	s_waitcnt vmcnt(0)
	v_mul_f32_e32 v36, s5, v6
	s_delay_alu instid0(VALU_DEP_1) | instskip(NEXT) | instid1(VALU_DEP_1)
	v_fmac_f32_e32 v36, s4, v7
	v_dual_mul_f32 v34, s5, v7 :: v_dual_mul_f32 v37, v5, v36
	s_delay_alu instid0(VALU_DEP_1) | instskip(SKIP_2) | instid1(VALU_DEP_3)
	v_fma_f32 v7, v6, s4, -v34
	v_add_co_u32 v34, vcc_lo, v20, s6
	v_add_co_ci_u32_e32 v35, vcc_lo, s7, v21, vcc_lo
	v_mul_f32_e32 v6, v5, v7
	v_fma_f32 v5, v4, v7, -v37
	s_delay_alu instid0(VALU_DEP_2)
	v_fmac_f32_e32 v6, v4, v36
	global_store_b64 v[34:35], v[5:6], off offset:-4
	s_or_b32 exec_lo, exec_lo, s3
	s_and_saveexec_b32 s3, s0
	s_cbranch_execz .LBB56_18
.LBB56_22:                              ;   in Loop: Header=BB56_9 Depth=1
	s_waitcnt vmcnt(0)
	v_mul_f32_e32 v4, s5, v11
	s_delay_alu instid0(VALU_DEP_1) | instskip(NEXT) | instid1(VALU_DEP_1)
	v_fma_f32 v4, v10, s4, -v4
	v_dual_mul_f32 v6, s5, v10 :: v_dual_mul_f32 v5, v9, v4
	s_delay_alu instid0(VALU_DEP_1) | instskip(NEXT) | instid1(VALU_DEP_1)
	v_fmac_f32_e32 v6, s4, v11
	v_mul_f32_e32 v7, v9, v6
	s_delay_alu instid0(VALU_DEP_3) | instskip(SKIP_1) | instid1(VALU_DEP_3)
	v_fmac_f32_e32 v5, v8, v6
	v_add_co_u32 v6, vcc_lo, v22, s6
	v_fma_f32 v4, v8, v4, -v7
	v_add_co_ci_u32_e32 v7, vcc_lo, s7, v23, vcc_lo
	global_store_b64 v[6:7], v[4:5], off
	s_or_b32 exec_lo, exec_lo, s3
	s_and_saveexec_b32 s0, s1
	s_cbranch_execz .LBB56_19
.LBB56_23:                              ;   in Loop: Header=BB56_9 Depth=1
	s_waitcnt vmcnt(0)
	v_dual_mul_f32 v5, s5, v12 :: v_dual_mul_f32 v4, s5, v13
	s_delay_alu instid0(VALU_DEP_1) | instskip(NEXT) | instid1(VALU_DEP_1)
	v_fma_f32 v6, v12, s4, -v4
	v_dual_fmac_f32 v5, s4, v13 :: v_dual_mul_f32 v4, v3, v6
	s_delay_alu instid0(VALU_DEP_1) | instskip(NEXT) | instid1(VALU_DEP_2)
	v_mul_f32_e32 v7, v3, v5
	v_fmac_f32_e32 v4, v2, v5
	v_add_co_u32 v5, vcc_lo, v32, s6
	s_delay_alu instid0(VALU_DEP_3)
	v_fma_f32 v3, v2, v6, -v7
	v_add_co_ci_u32_e32 v6, vcc_lo, s7, v33, vcc_lo
	global_store_b64 v[5:6], v[3:4], off offset:-4
	s_or_b32 exec_lo, exec_lo, s0
	s_and_saveexec_b32 s0, s2
	s_cbranch_execz .LBB56_8
.LBB56_24:                              ;   in Loop: Header=BB56_9 Depth=1
	s_waitcnt vmcnt(0)
	v_mul_f32_e32 v2, s5, v17
	s_delay_alu instid0(VALU_DEP_1) | instskip(NEXT) | instid1(VALU_DEP_1)
	v_fma_f32 v2, v16, s4, -v2
	v_dual_mul_f32 v4, s5, v16 :: v_dual_mul_f32 v3, v15, v2
	s_delay_alu instid0(VALU_DEP_1) | instskip(NEXT) | instid1(VALU_DEP_1)
	v_fmac_f32_e32 v4, s4, v17
	v_mul_f32_e32 v5, v15, v4
	s_delay_alu instid0(VALU_DEP_3) | instskip(SKIP_1) | instid1(VALU_DEP_3)
	v_fmac_f32_e32 v3, v14, v4
	v_add_co_u32 v4, vcc_lo, v28, s6
	v_fma_f32 v2, v14, v2, -v5
	v_add_co_ci_u32_e32 v5, vcc_lo, s7, v29, vcc_lo
	global_store_b64 v[4:5], v[2:3], off offset:-4
	s_branch .LBB56_8
.LBB56_25:
	s_nop 0
	s_sendmsg sendmsg(MSG_DEALLOC_VGPRS)
	s_endpgm
	.section	.rodata,"a",@progbits
	.p2align	6, 0x0
	.amdhsa_kernel _ZN2at6native12_GLOBAL__N_125multi_tensor_apply_kernelINS1_18TensorListMetadataILi2EEENS1_24BinaryOpListAlphaFunctorIN3c107complexIfEELi2ELi2ELi0EEEJSt10multipliesIS8_ES8_EEEvT_T0_DpT1_
		.amdhsa_group_segment_fixed_size 0
		.amdhsa_private_segment_fixed_size 0
		.amdhsa_kernarg_size 3416
		.amdhsa_user_sgpr_count 15
		.amdhsa_user_sgpr_dispatch_ptr 0
		.amdhsa_user_sgpr_queue_ptr 0
		.amdhsa_user_sgpr_kernarg_segment_ptr 1
		.amdhsa_user_sgpr_dispatch_id 0
		.amdhsa_user_sgpr_private_segment_size 0
		.amdhsa_wavefront_size32 1
		.amdhsa_uses_dynamic_stack 0
		.amdhsa_enable_private_segment 0
		.amdhsa_system_sgpr_workgroup_id_x 1
		.amdhsa_system_sgpr_workgroup_id_y 0
		.amdhsa_system_sgpr_workgroup_id_z 0
		.amdhsa_system_sgpr_workgroup_info 0
		.amdhsa_system_vgpr_workitem_id 0
		.amdhsa_next_free_vgpr 38
		.amdhsa_next_free_sgpr 24
		.amdhsa_reserve_vcc 1
		.amdhsa_float_round_mode_32 0
		.amdhsa_float_round_mode_16_64 0
		.amdhsa_float_denorm_mode_32 3
		.amdhsa_float_denorm_mode_16_64 3
		.amdhsa_dx10_clamp 1
		.amdhsa_ieee_mode 1
		.amdhsa_fp16_overflow 0
		.amdhsa_workgroup_processor_mode 1
		.amdhsa_memory_ordered 1
		.amdhsa_forward_progress 0
		.amdhsa_shared_vgpr_count 0
		.amdhsa_exception_fp_ieee_invalid_op 0
		.amdhsa_exception_fp_denorm_src 0
		.amdhsa_exception_fp_ieee_div_zero 0
		.amdhsa_exception_fp_ieee_overflow 0
		.amdhsa_exception_fp_ieee_underflow 0
		.amdhsa_exception_fp_ieee_inexact 0
		.amdhsa_exception_int_div_zero 0
	.end_amdhsa_kernel
	.section	.text._ZN2at6native12_GLOBAL__N_125multi_tensor_apply_kernelINS1_18TensorListMetadataILi2EEENS1_24BinaryOpListAlphaFunctorIN3c107complexIfEELi2ELi2ELi0EEEJSt10multipliesIS8_ES8_EEEvT_T0_DpT1_,"axG",@progbits,_ZN2at6native12_GLOBAL__N_125multi_tensor_apply_kernelINS1_18TensorListMetadataILi2EEENS1_24BinaryOpListAlphaFunctorIN3c107complexIfEELi2ELi2ELi0EEEJSt10multipliesIS8_ES8_EEEvT_T0_DpT1_,comdat
.Lfunc_end56:
	.size	_ZN2at6native12_GLOBAL__N_125multi_tensor_apply_kernelINS1_18TensorListMetadataILi2EEENS1_24BinaryOpListAlphaFunctorIN3c107complexIfEELi2ELi2ELi0EEEJSt10multipliesIS8_ES8_EEEvT_T0_DpT1_, .Lfunc_end56-_ZN2at6native12_GLOBAL__N_125multi_tensor_apply_kernelINS1_18TensorListMetadataILi2EEENS1_24BinaryOpListAlphaFunctorIN3c107complexIfEELi2ELi2ELi0EEEJSt10multipliesIS8_ES8_EEEvT_T0_DpT1_
                                        ; -- End function
	.section	.AMDGPU.csdata,"",@progbits
; Kernel info:
; codeLenInByte = 1908
; NumSgprs: 26
; NumVgprs: 38
; ScratchSize: 0
; MemoryBound: 0
; FloatMode: 240
; IeeeMode: 1
; LDSByteSize: 0 bytes/workgroup (compile time only)
; SGPRBlocks: 3
; VGPRBlocks: 4
; NumSGPRsForWavesPerEU: 26
; NumVGPRsForWavesPerEU: 38
; Occupancy: 16
; WaveLimiterHint : 0
; COMPUTE_PGM_RSRC2:SCRATCH_EN: 0
; COMPUTE_PGM_RSRC2:USER_SGPR: 15
; COMPUTE_PGM_RSRC2:TRAP_HANDLER: 0
; COMPUTE_PGM_RSRC2:TGID_X_EN: 1
; COMPUTE_PGM_RSRC2:TGID_Y_EN: 0
; COMPUTE_PGM_RSRC2:TGID_Z_EN: 0
; COMPUTE_PGM_RSRC2:TIDIG_COMP_CNT: 0
	.section	.text._ZN2at6native12_GLOBAL__N_125multi_tensor_apply_kernelINS1_18TensorListMetadataILi2EEENS1_24BinaryOpListAlphaFunctorIbLi2ELi2ELi0EEEJSt10multipliesIbEbEEEvT_T0_DpT1_,"axG",@progbits,_ZN2at6native12_GLOBAL__N_125multi_tensor_apply_kernelINS1_18TensorListMetadataILi2EEENS1_24BinaryOpListAlphaFunctorIbLi2ELi2ELi0EEEJSt10multipliesIbEbEEEvT_T0_DpT1_,comdat
	.globl	_ZN2at6native12_GLOBAL__N_125multi_tensor_apply_kernelINS1_18TensorListMetadataILi2EEENS1_24BinaryOpListAlphaFunctorIbLi2ELi2ELi0EEEJSt10multipliesIbEbEEEvT_T0_DpT1_ ; -- Begin function _ZN2at6native12_GLOBAL__N_125multi_tensor_apply_kernelINS1_18TensorListMetadataILi2EEENS1_24BinaryOpListAlphaFunctorIbLi2ELi2ELi0EEEJSt10multipliesIbEbEEEvT_T0_DpT1_
	.p2align	8
	.type	_ZN2at6native12_GLOBAL__N_125multi_tensor_apply_kernelINS1_18TensorListMetadataILi2EEENS1_24BinaryOpListAlphaFunctorIbLi2ELi2ELi0EEEJSt10multipliesIbEbEEEvT_T0_DpT1_,@function
_ZN2at6native12_GLOBAL__N_125multi_tensor_apply_kernelINS1_18TensorListMetadataILi2EEENS1_24BinaryOpListAlphaFunctorIbLi2ELi2ELi0EEEJSt10multipliesIbEbEEEvT_T0_DpT1_: ; @_ZN2at6native12_GLOBAL__N_125multi_tensor_apply_kernelINS1_18TensorListMetadataILi2EEENS1_24BinaryOpListAlphaFunctorIbLi2ELi2ELi0EEEJSt10multipliesIbEbEEEvT_T0_DpT1_
; %bb.0:
	v_mov_b32_e32 v1, s15
	s_mul_hi_u32 s3, s15, 3
	s_load_b32 s2, s[0:1], 0xc48
	global_load_u8 v1, v1, s[0:1] offset:1536
	s_waitcnt lgkmcnt(0)
	s_bitcmp1_b32 s2, 16
	s_mul_i32 s2, s15, 3
	s_cselect_b32 s20, -1, 0
	s_add_u32 s4, s0, s15
	s_addc_u32 s5, s1, 0
	s_add_u32 s2, s4, s2
	s_addc_u32 s3, s5, s3
	s_load_b32 s2, s[2:3], 0x740
	s_waitcnt vmcnt(0)
	v_readfirstlane_b32 s4, v1
	s_delay_alu instid0(VALU_DEP_1)
	s_lshl_b32 s3, s4, 3
	s_clause 0x2
	s_load_b64 s[12:13], s[0:1], s3 offset:0x0
	s_load_b64 s[14:15], s[0:1], s3 offset:0x200
	;; [unrolled: 1-line block ×3, first 2 shown]
	s_waitcnt lgkmcnt(0)
	s_ashr_i32 s3, s2, 31
	s_delay_alu instid0(SALU_CYCLE_1) | instskip(NEXT) | instid1(SALU_CYCLE_1)
	s_lshl_b64 s[16:17], s[2:3], 16
	s_add_u32 s18, s12, s16
	s_addc_u32 s19, s13, s17
	s_add_u32 s21, s14, s16
	s_addc_u32 s22, s15, s17
	s_or_b64 s[2:3], s[4:5], s[18:19]
	s_delay_alu instid0(SALU_CYCLE_1) | instskip(NEXT) | instid1(SALU_CYCLE_1)
	s_or_b32 s2, s21, s2
	s_and_b32 s2, s2, 3
	s_sub_u32 s10, s4, s16
	s_subb_u32 s11, s5, s17
	s_cmp_eq_u32 s2, 0
	s_mov_b32 s2, -1
	s_cbranch_scc0 .LBB57_5
; %bb.1:
	v_dual_mov_b32 v2, 0 :: v_dual_lshlrev_b32 v1, 2, v0
	s_mov_b32 s23, exec_lo
	s_delay_alu instid0(VALU_DEP_1)
	v_cmpx_gt_i64_e64 s[10:11], v[1:2]
	s_cbranch_execz .LBB57_4
; %bb.2:
	s_load_b32 s2, s[0:1], 0xc5c
	s_mov_b32 s25, 0
	s_waitcnt lgkmcnt(0)
	s_and_b32 s2, s2, 0xffff
	s_delay_alu instid0(SALU_CYCLE_1)
	s_lshl_b32 s24, s2, 2
.LBB57_3:                               ; =>This Inner Loop Header: Depth=1
	v_add_co_u32 v3, vcc_lo, s21, v1
	v_add_co_ci_u32_e32 v4, vcc_lo, s22, v2, vcc_lo
	v_add_co_u32 v5, vcc_lo, s18, v1
	v_add_co_ci_u32_e32 v6, vcc_lo, s19, v2, vcc_lo
	v_add_co_u32 v1, vcc_lo, s24, v1
	global_load_b32 v3, v[3:4], off
	global_load_b32 v4, v[5:6], off
	v_add_co_ci_u32_e32 v2, vcc_lo, 0, v2, vcc_lo
	s_delay_alu instid0(VALU_DEP_1) | instskip(SKIP_1) | instid1(VALU_DEP_1)
	v_cmp_le_i64_e32 vcc_lo, s[10:11], v[1:2]
	v_cmp_lt_u64_e64 s2, 0xffff, v[1:2]
	s_or_b32 s2, vcc_lo, s2
	s_waitcnt vmcnt(1)
	v_and_b32_e32 v7, 0xff, v3
	s_waitcnt vmcnt(0)
	v_and_b32_e32 v8, 0xff, v4
	v_and_b32_e32 v9, 0xff00, v3
	;; [unrolled: 1-line block ×4, first 2 shown]
	v_min_u32_e32 v3, v4, v3
	v_and_b32_e32 v12, 0xff0000, v4
	v_cmp_ne_u32_e64 s3, 0, v7
	v_cmp_ne_u32_e64 s4, 0, v8
	;; [unrolled: 1-line block ×4, first 2 shown]
	v_cmp_lt_u32_e64 s9, 0xffffff, v3
	v_cmp_ne_u32_e64 s7, 0, v11
	v_cmp_ne_u32_e64 s8, 0, v12
	s_and_b32 s3, s4, s3
	s_and_b32 s4, s6, s5
	;; [unrolled: 1-line block ×4, first 2 shown]
	v_cndmask_b32_e64 v3, 0, 0x1000000, s6
	v_cndmask_b32_e64 v4, 0, 1, s3
	s_and_b32 s5, s8, s7
	s_and_b32 s3, s4, s20
	s_delay_alu instid0(SALU_CYCLE_1) | instskip(SKIP_4) | instid1(SALU_CYCLE_1)
	v_cndmask_b32_e64 v7, 0, 0x100, s3
	s_and_b32 s3, s5, s20
	v_or_b32_e32 v3, v3, v4
	v_cndmask_b32_e64 v8, 0, 0x10000, s3
	s_and_b32 s2, exec_lo, s2
	s_or_b32 s25, s2, s25
	s_delay_alu instid0(VALU_DEP_1)
	v_or3_b32 v3, v3, v7, v8
	global_store_b32 v[5:6], v3, off
	s_and_not1_b32 exec_lo, exec_lo, s25
	s_cbranch_execnz .LBB57_3
.LBB57_4:
	s_or_b32 exec_lo, exec_lo, s23
	s_mov_b32 s2, 0
.LBB57_5:
	s_delay_alu instid0(SALU_CYCLE_1)
	s_and_not1_b32 vcc_lo, exec_lo, s2
	s_cbranch_vccnz .LBB57_25
; %bb.6:
	v_cmp_lt_i64_e64 s2, s[10:11], 1
	s_delay_alu instid0(VALU_DEP_1)
	s_and_b32 vcc_lo, exec_lo, s2
	s_cbranch_vccnz .LBB57_25
; %bb.7:
	s_load_b32 s0, s[0:1], 0xc5c
	v_add_co_u32 v15, s1, s16, v0
	s_delay_alu instid0(VALU_DEP_1) | instskip(SKIP_1) | instid1(VALU_DEP_3)
	v_add_co_ci_u32_e64 v16, null, s17, 0, s1
	v_cmp_gt_u64_e64 s1, 0x10000, s[10:11]
	v_add_co_u32 v1, vcc_lo, s12, v15
	s_delay_alu instid0(VALU_DEP_3)
	v_add_co_ci_u32_e32 v2, vcc_lo, s13, v16, vcc_lo
	v_add_co_u32 v3, vcc_lo, s14, v15
	v_add_co_ci_u32_e32 v4, vcc_lo, s15, v16, vcc_lo
	s_waitcnt lgkmcnt(0)
	s_and_b32 s0, s0, 0xffff
	s_and_b32 s1, s1, exec_lo
	s_mul_i32 s2, s0, 3
	s_cselect_b32 s5, s11, 0
	s_cselect_b32 s4, s10, 0x10000
	s_lshl_b32 s1, s0, 1
	s_lshl_b32 s8, s0, 2
	s_add_u32 s3, s16, s2
	s_addc_u32 s6, s17, 0
	v_add_co_u32 v7, s3, s3, v0
	s_delay_alu instid0(VALU_DEP_1) | instskip(SKIP_1) | instid1(VALU_DEP_2)
	v_add_co_ci_u32_e64 v8, null, s6, 0, s3
	s_add_u32 s3, s16, s1
	v_add_co_u32 v5, vcc_lo, s12, v7
	s_addc_u32 s6, s17, 0
	v_add_co_u32 v13, s3, s3, v0
	v_add_co_ci_u32_e32 v6, vcc_lo, s13, v8, vcc_lo
	v_add_co_u32 v7, vcc_lo, s14, v7
	v_add_co_ci_u32_e64 v14, null, s6, 0, s3
	v_add_co_ci_u32_e32 v8, vcc_lo, s15, v8, vcc_lo
	v_add_co_u32 v11, vcc_lo, s12, v13
	s_delay_alu instid0(VALU_DEP_3)
	v_add_co_ci_u32_e32 v12, vcc_lo, s13, v14, vcc_lo
	v_add_co_u32 v13, vcc_lo, s14, v13
	v_add_co_ci_u32_e32 v14, vcc_lo, s15, v14, vcc_lo
	v_add_co_u32 v19, vcc_lo, v15, s0
	v_add_co_ci_u32_e32 v20, vcc_lo, 0, v16, vcc_lo
	v_add_co_u32 v9, s2, s2, v0
	s_delay_alu instid0(VALU_DEP_3) | instskip(NEXT) | instid1(VALU_DEP_3)
	v_add_co_u32 v17, vcc_lo, s12, v19
	v_add_co_ci_u32_e32 v18, vcc_lo, s13, v20, vcc_lo
	v_add_co_u32 v15, s1, s1, v0
	v_add_co_u32 v19, vcc_lo, s14, v19
	v_add_co_u32 v21, s0, v0, s0
	v_add_co_ci_u32_e64 v10, null, 0, 0, s2
	v_add_co_ci_u32_e64 v16, null, 0, 0, s1
	v_add_co_ci_u32_e32 v20, vcc_lo, s15, v20, vcc_lo
	v_add_co_ci_u32_e64 v22, null, 0, 0, s0
	s_mov_b64 s[6:7], 0
	s_branch .LBB57_9
.LBB57_8:                               ;   in Loop: Header=BB57_9 Depth=1
	s_or_b32 exec_lo, exec_lo, s1
	s_add_u32 s6, s6, s8
	s_addc_u32 s7, s7, 0
	s_delay_alu instid0(SALU_CYCLE_1) | instskip(SKIP_1) | instid1(VALU_DEP_1)
	v_cmp_ge_i64_e64 s0, s[6:7], s[10:11]
	v_cmp_lt_u64_e64 s1, 0xffff, s[6:7]
	s_or_b32 s0, s0, s1
	s_delay_alu instid0(SALU_CYCLE_1)
	s_and_b32 vcc_lo, exec_lo, s0
	s_cbranch_vccnz .LBB57_25
.LBB57_9:                               ; =>This Inner Loop Header: Depth=1
	s_waitcnt vmcnt(0)
	v_add_co_u32 v25, s0, v0, s6
	s_delay_alu instid0(VALU_DEP_1) | instskip(SKIP_1) | instid1(VALU_DEP_2)
	v_add_co_ci_u32_e64 v26, null, 0, s7, s0
	v_dual_mov_b32 v24, 0 :: v_dual_mov_b32 v23, 0
	v_cmp_gt_u64_e32 vcc_lo, s[4:5], v[25:26]
	v_mov_b32_e32 v25, 0
	s_and_saveexec_b32 s1, vcc_lo
	s_cbranch_execz .LBB57_11
; %bb.10:                               ;   in Loop: Header=BB57_9 Depth=1
	v_add_co_u32 v25, s0, v1, s6
	s_delay_alu instid0(VALU_DEP_1) | instskip(SKIP_1) | instid1(VALU_DEP_1)
	v_add_co_ci_u32_e64 v26, s0, s7, v2, s0
	v_add_co_u32 v27, s0, v3, s6
	v_add_co_ci_u32_e64 v28, s0, s7, v4, s0
	global_load_u8 v23, v[25:26], off
	global_load_u8 v25, v[27:28], off
.LBB57_11:                              ;   in Loop: Header=BB57_9 Depth=1
	s_or_b32 exec_lo, exec_lo, s1
	v_add_co_u32 v26, s0, v21, s6
	s_delay_alu instid0(VALU_DEP_1) | instskip(NEXT) | instid1(VALU_DEP_1)
	v_add_co_ci_u32_e64 v27, s0, s7, v22, s0
	v_cmp_gt_u64_e64 s0, s[4:5], v[26:27]
	s_delay_alu instid0(VALU_DEP_1)
	s_and_saveexec_b32 s2, s0
	s_cbranch_execz .LBB57_13
; %bb.12:                               ;   in Loop: Header=BB57_9 Depth=1
	v_add_co_u32 v26, s1, v17, s6
	s_delay_alu instid0(VALU_DEP_1) | instskip(SKIP_2) | instid1(VALU_DEP_1)
	v_add_co_ci_u32_e64 v27, s1, s7, v18, s1
	global_load_u8 v28, v[26:27], off
	v_add_co_u32 v26, s1, v19, s6
	v_add_co_ci_u32_e64 v27, s1, s7, v20, s1
	global_load_u8 v24, v[26:27], off
	s_waitcnt vmcnt(1)
	v_lshl_or_b32 v23, v28, 8, v23
.LBB57_13:                              ;   in Loop: Header=BB57_9 Depth=1
	s_or_b32 exec_lo, exec_lo, s2
	v_add_co_u32 v26, s1, v15, s6
	s_delay_alu instid0(VALU_DEP_1) | instskip(NEXT) | instid1(VALU_DEP_1)
	v_add_co_ci_u32_e64 v27, s1, s7, v16, s1
	v_cmp_gt_u64_e64 s1, s[4:5], v[26:27]
	v_dual_mov_b32 v26, 0 :: v_dual_mov_b32 v27, 0
	s_delay_alu instid0(VALU_DEP_2)
	s_and_saveexec_b32 s3, s1
	s_cbranch_execz .LBB57_15
; %bb.14:                               ;   in Loop: Header=BB57_9 Depth=1
	v_add_co_u32 v27, s2, v11, s6
	s_delay_alu instid0(VALU_DEP_1) | instskip(SKIP_2) | instid1(VALU_DEP_1)
	v_add_co_ci_u32_e64 v28, s2, s7, v12, s2
	global_load_u8 v29, v[27:28], off
	v_add_co_u32 v27, s2, v13, s6
	v_add_co_ci_u32_e64 v28, s2, s7, v14, s2
	global_load_u8 v27, v[27:28], off
	s_waitcnt vmcnt(1)
	v_lshl_or_b32 v23, v29, 16, v23
.LBB57_15:                              ;   in Loop: Header=BB57_9 Depth=1
	s_or_b32 exec_lo, exec_lo, s3
	v_add_co_u32 v28, s2, v9, s6
	s_delay_alu instid0(VALU_DEP_1) | instskip(NEXT) | instid1(VALU_DEP_1)
	v_add_co_ci_u32_e64 v29, s2, s7, v10, s2
	v_cmp_gt_u64_e64 s2, s[4:5], v[28:29]
	s_delay_alu instid0(VALU_DEP_1)
	s_and_saveexec_b32 s9, s2
	s_cbranch_execnz .LBB57_20
; %bb.16:                               ;   in Loop: Header=BB57_9 Depth=1
	s_or_b32 exec_lo, exec_lo, s9
	s_and_saveexec_b32 s9, vcc_lo
	s_cbranch_execnz .LBB57_21
.LBB57_17:                              ;   in Loop: Header=BB57_9 Depth=1
	s_or_b32 exec_lo, exec_lo, s9
	s_and_saveexec_b32 s3, s0
	s_cbranch_execnz .LBB57_22
.LBB57_18:                              ;   in Loop: Header=BB57_9 Depth=1
	s_or_b32 exec_lo, exec_lo, s3
	s_and_saveexec_b32 s3, s1
	s_cbranch_execnz .LBB57_23
.LBB57_19:                              ;   in Loop: Header=BB57_9 Depth=1
	s_or_b32 exec_lo, exec_lo, s3
	s_and_saveexec_b32 s1, s2
	s_cbranch_execz .LBB57_8
	s_branch .LBB57_24
.LBB57_20:                              ;   in Loop: Header=BB57_9 Depth=1
	v_add_co_u32 v28, s3, v5, s6
	s_delay_alu instid0(VALU_DEP_1) | instskip(SKIP_2) | instid1(VALU_DEP_1)
	v_add_co_ci_u32_e64 v29, s3, s7, v6, s3
	global_load_u8 v30, v[28:29], off
	v_add_co_u32 v28, s3, v7, s6
	v_add_co_ci_u32_e64 v29, s3, s7, v8, s3
	global_load_u8 v26, v[28:29], off
	s_waitcnt vmcnt(1)
	v_lshl_or_b32 v23, v30, 24, v23
	s_or_b32 exec_lo, exec_lo, s9
	s_and_saveexec_b32 s9, vcc_lo
	s_cbranch_execz .LBB57_17
.LBB57_21:                              ;   in Loop: Header=BB57_9 Depth=1
	s_waitcnt vmcnt(1)
	v_and_b32_e32 v28, 0xff, v23
	s_waitcnt vmcnt(0)
	v_and_b32_e32 v25, 0xff, v25
	s_delay_alu instid0(VALU_DEP_2) | instskip(NEXT) | instid1(VALU_DEP_2)
	v_cmp_ne_u32_e32 vcc_lo, 0, v28
	v_cmp_ne_u16_e64 s3, 0, v25
	s_delay_alu instid0(VALU_DEP_1)
	s_and_b32 s3, s3, vcc_lo
	v_add_co_u32 v28, vcc_lo, v1, s6
	s_and_b32 s3, s3, s20
	v_add_co_ci_u32_e32 v29, vcc_lo, s7, v2, vcc_lo
	v_cndmask_b32_e64 v25, 0, 1, s3
	global_store_b8 v[28:29], v25, off
	s_or_b32 exec_lo, exec_lo, s9
	s_and_saveexec_b32 s3, s0
	s_cbranch_execz .LBB57_18
.LBB57_22:                              ;   in Loop: Header=BB57_9 Depth=1
	s_waitcnt vmcnt(0)
	v_and_b32_e32 v24, 0xff, v24
	v_and_b32_e32 v25, 0xff00, v23
	s_delay_alu instid0(VALU_DEP_2) | instskip(NEXT) | instid1(VALU_DEP_2)
	v_cmp_ne_u16_e32 vcc_lo, 0, v24
	v_cmp_ne_u32_e64 s0, 0, v25
	s_delay_alu instid0(VALU_DEP_1)
	s_and_b32 s0, vcc_lo, s0
	v_add_co_u32 v24, vcc_lo, v17, s6
	s_and_b32 s0, s0, s20
	v_add_co_ci_u32_e32 v25, vcc_lo, s7, v18, vcc_lo
	v_cndmask_b32_e64 v28, 0, 1, s0
	global_store_b8 v[24:25], v28, off
	s_or_b32 exec_lo, exec_lo, s3
	s_and_saveexec_b32 s3, s1
	s_cbranch_execz .LBB57_19
.LBB57_23:                              ;   in Loop: Header=BB57_9 Depth=1
	s_waitcnt vmcnt(0)
	v_and_b32_e32 v24, 0xff, v27
	v_and_b32_e32 v25, 0xff0000, v23
	s_delay_alu instid0(VALU_DEP_2) | instskip(NEXT) | instid1(VALU_DEP_2)
	v_cmp_ne_u16_e32 vcc_lo, 0, v24
	v_cmp_ne_u32_e64 s0, 0, v25
	s_delay_alu instid0(VALU_DEP_1)
	s_and_b32 s0, vcc_lo, s0
	v_add_co_u32 v24, vcc_lo, v11, s6
	s_and_b32 s0, s0, s20
	v_add_co_ci_u32_e32 v25, vcc_lo, s7, v12, vcc_lo
	v_cndmask_b32_e64 v27, 0, 1, s0
	global_store_b8 v[24:25], v27, off
	s_or_b32 exec_lo, exec_lo, s3
	s_and_saveexec_b32 s1, s2
	s_cbranch_execz .LBB57_8
.LBB57_24:                              ;   in Loop: Header=BB57_9 Depth=1
	s_waitcnt vmcnt(0)
	v_and_b32_e32 v24, 0xff, v26
	v_cmp_lt_u32_e32 vcc_lo, 0xffffff, v23
	s_delay_alu instid0(VALU_DEP_2) | instskip(NEXT) | instid1(VALU_DEP_1)
	v_cmp_ne_u16_e64 s0, 0, v24
	s_and_b32 s0, vcc_lo, s0
	v_add_co_u32 v23, vcc_lo, v5, s6
	s_and_b32 s0, s0, s20
	v_add_co_ci_u32_e32 v24, vcc_lo, s7, v6, vcc_lo
	v_cndmask_b32_e64 v25, 0, 1, s0
	global_store_b8 v[23:24], v25, off
	s_branch .LBB57_8
.LBB57_25:
	s_nop 0
	s_sendmsg sendmsg(MSG_DEALLOC_VGPRS)
	s_endpgm
	.section	.rodata,"a",@progbits
	.p2align	6, 0x0
	.amdhsa_kernel _ZN2at6native12_GLOBAL__N_125multi_tensor_apply_kernelINS1_18TensorListMetadataILi2EEENS1_24BinaryOpListAlphaFunctorIbLi2ELi2ELi0EEEJSt10multipliesIbEbEEEvT_T0_DpT1_
		.amdhsa_group_segment_fixed_size 0
		.amdhsa_private_segment_fixed_size 0
		.amdhsa_kernarg_size 3408
		.amdhsa_user_sgpr_count 15
		.amdhsa_user_sgpr_dispatch_ptr 0
		.amdhsa_user_sgpr_queue_ptr 0
		.amdhsa_user_sgpr_kernarg_segment_ptr 1
		.amdhsa_user_sgpr_dispatch_id 0
		.amdhsa_user_sgpr_private_segment_size 0
		.amdhsa_wavefront_size32 1
		.amdhsa_uses_dynamic_stack 0
		.amdhsa_enable_private_segment 0
		.amdhsa_system_sgpr_workgroup_id_x 1
		.amdhsa_system_sgpr_workgroup_id_y 0
		.amdhsa_system_sgpr_workgroup_id_z 0
		.amdhsa_system_sgpr_workgroup_info 0
		.amdhsa_system_vgpr_workitem_id 0
		.amdhsa_next_free_vgpr 31
		.amdhsa_next_free_sgpr 26
		.amdhsa_reserve_vcc 1
		.amdhsa_float_round_mode_32 0
		.amdhsa_float_round_mode_16_64 0
		.amdhsa_float_denorm_mode_32 3
		.amdhsa_float_denorm_mode_16_64 3
		.amdhsa_dx10_clamp 1
		.amdhsa_ieee_mode 1
		.amdhsa_fp16_overflow 0
		.amdhsa_workgroup_processor_mode 1
		.amdhsa_memory_ordered 1
		.amdhsa_forward_progress 0
		.amdhsa_shared_vgpr_count 0
		.amdhsa_exception_fp_ieee_invalid_op 0
		.amdhsa_exception_fp_denorm_src 0
		.amdhsa_exception_fp_ieee_div_zero 0
		.amdhsa_exception_fp_ieee_overflow 0
		.amdhsa_exception_fp_ieee_underflow 0
		.amdhsa_exception_fp_ieee_inexact 0
		.amdhsa_exception_int_div_zero 0
	.end_amdhsa_kernel
	.section	.text._ZN2at6native12_GLOBAL__N_125multi_tensor_apply_kernelINS1_18TensorListMetadataILi2EEENS1_24BinaryOpListAlphaFunctorIbLi2ELi2ELi0EEEJSt10multipliesIbEbEEEvT_T0_DpT1_,"axG",@progbits,_ZN2at6native12_GLOBAL__N_125multi_tensor_apply_kernelINS1_18TensorListMetadataILi2EEENS1_24BinaryOpListAlphaFunctorIbLi2ELi2ELi0EEEJSt10multipliesIbEbEEEvT_T0_DpT1_,comdat
.Lfunc_end57:
	.size	_ZN2at6native12_GLOBAL__N_125multi_tensor_apply_kernelINS1_18TensorListMetadataILi2EEENS1_24BinaryOpListAlphaFunctorIbLi2ELi2ELi0EEEJSt10multipliesIbEbEEEvT_T0_DpT1_, .Lfunc_end57-_ZN2at6native12_GLOBAL__N_125multi_tensor_apply_kernelINS1_18TensorListMetadataILi2EEENS1_24BinaryOpListAlphaFunctorIbLi2ELi2ELi0EEEJSt10multipliesIbEbEEEvT_T0_DpT1_
                                        ; -- End function
	.section	.AMDGPU.csdata,"",@progbits
; Kernel info:
; codeLenInByte = 1796
; NumSgprs: 28
; NumVgprs: 31
; ScratchSize: 0
; MemoryBound: 0
; FloatMode: 240
; IeeeMode: 1
; LDSByteSize: 0 bytes/workgroup (compile time only)
; SGPRBlocks: 3
; VGPRBlocks: 3
; NumSGPRsForWavesPerEU: 28
; NumVGPRsForWavesPerEU: 31
; Occupancy: 16
; WaveLimiterHint : 0
; COMPUTE_PGM_RSRC2:SCRATCH_EN: 0
; COMPUTE_PGM_RSRC2:USER_SGPR: 15
; COMPUTE_PGM_RSRC2:TRAP_HANDLER: 0
; COMPUTE_PGM_RSRC2:TGID_X_EN: 1
; COMPUTE_PGM_RSRC2:TGID_Y_EN: 0
; COMPUTE_PGM_RSRC2:TGID_Z_EN: 0
; COMPUTE_PGM_RSRC2:TIDIG_COMP_CNT: 0
	.section	.text._ZN2at6native12_GLOBAL__N_125multi_tensor_apply_kernelINS1_18TensorListMetadataILi2EEENS1_24BinaryOpListAlphaFunctorIN3c108BFloat16ELi2ELi2ELi0EEEJSt10multipliesIfEfEEEvT_T0_DpT1_,"axG",@progbits,_ZN2at6native12_GLOBAL__N_125multi_tensor_apply_kernelINS1_18TensorListMetadataILi2EEENS1_24BinaryOpListAlphaFunctorIN3c108BFloat16ELi2ELi2ELi0EEEJSt10multipliesIfEfEEEvT_T0_DpT1_,comdat
	.globl	_ZN2at6native12_GLOBAL__N_125multi_tensor_apply_kernelINS1_18TensorListMetadataILi2EEENS1_24BinaryOpListAlphaFunctorIN3c108BFloat16ELi2ELi2ELi0EEEJSt10multipliesIfEfEEEvT_T0_DpT1_ ; -- Begin function _ZN2at6native12_GLOBAL__N_125multi_tensor_apply_kernelINS1_18TensorListMetadataILi2EEENS1_24BinaryOpListAlphaFunctorIN3c108BFloat16ELi2ELi2ELi0EEEJSt10multipliesIfEfEEEvT_T0_DpT1_
	.p2align	8
	.type	_ZN2at6native12_GLOBAL__N_125multi_tensor_apply_kernelINS1_18TensorListMetadataILi2EEENS1_24BinaryOpListAlphaFunctorIN3c108BFloat16ELi2ELi2ELi0EEEJSt10multipliesIfEfEEEvT_T0_DpT1_,@function
_ZN2at6native12_GLOBAL__N_125multi_tensor_apply_kernelINS1_18TensorListMetadataILi2EEENS1_24BinaryOpListAlphaFunctorIN3c108BFloat16ELi2ELi2ELi0EEEJSt10multipliesIfEfEEEvT_T0_DpT1_: ; @_ZN2at6native12_GLOBAL__N_125multi_tensor_apply_kernelINS1_18TensorListMetadataILi2EEENS1_24BinaryOpListAlphaFunctorIN3c108BFloat16ELi2ELi2ELi0EEEJSt10multipliesIfEfEEEvT_T0_DpT1_
; %bb.0:
	v_mov_b32_e32 v1, s15
	s_add_u32 s2, s0, s15
	s_mul_hi_u32 s3, s15, 3
	s_mul_i32 s15, s15, 3
	s_addc_u32 s4, s1, 0
	global_load_u8 v1, v1, s[0:1] offset:1536
	s_add_u32 s2, s2, s15
	s_addc_u32 s3, s4, s3
	s_mov_b32 s9, 0
	s_load_b32 s2, s[2:3], 0x740
	s_mov_b32 s19, s9
	s_mov_b32 s17, s9
	s_waitcnt vmcnt(0)
	v_readfirstlane_b32 s3, v1
	s_delay_alu instid0(VALU_DEP_1)
	s_lshl_b32 s3, s3, 3
	s_clause 0x3
	s_load_b64 s[10:11], s[0:1], s3 offset:0x0
	s_load_b64 s[12:13], s[0:1], s3 offset:0x200
	;; [unrolled: 1-line block ×3, first 2 shown]
	s_load_b32 s14, s[0:1], 0xc4c
	s_waitcnt lgkmcnt(0)
	s_ashr_i32 s3, s2, 31
	s_delay_alu instid0(SALU_CYCLE_1) | instskip(SKIP_4) | instid1(SALU_CYCLE_1)
	s_lshl_b64 s[6:7], s[2:3], 17
	s_lshl_b64 s[2:3], s[2:3], 16
	s_and_b32 s8, s10, 7
	s_and_b32 s16, s12, 7
	;; [unrolled: 1-line block ×3, first 2 shown]
	s_or_b64 s[8:9], s[8:9], s[18:19]
	s_delay_alu instid0(SALU_CYCLE_1)
	s_or_b64 s[16:17], s[16:17], s[8:9]
	s_sub_u32 s8, s4, s2
	s_subb_u32 s9, s5, s3
	s_cmp_eq_u64 s[16:17], 0
	s_mov_b32 s2, -1
	s_cbranch_scc0 .LBB58_5
; %bb.1:
	v_dual_mov_b32 v2, 0 :: v_dual_lshlrev_b32 v1, 2, v0
	s_mov_b32 s15, exec_lo
	s_delay_alu instid0(VALU_DEP_1)
	v_cmpx_gt_i64_e64 s[8:9], v[1:2]
	s_cbranch_execz .LBB58_4
; %bb.2:
	s_load_b32 s2, s[0:1], 0xc5c
	v_lshlrev_b32_e32 v1, 3, v0
	s_mov_b32 s16, 0
	s_delay_alu instid0(VALU_DEP_1) | instskip(NEXT) | instid1(VALU_DEP_1)
	v_add_co_u32 v3, s3, s6, v1
	v_add_co_ci_u32_e64 v4, null, s7, 0, s3
	s_waitcnt lgkmcnt(0)
	s_and_b32 s2, s2, 0xffff
	s_delay_alu instid0(SALU_CYCLE_1)
	v_add_lshl_u32 v1, v0, s2, 2
	s_lshl_b32 s17, s2, 3
	s_lshl_b32 s18, s2, 2
.LBB58_3:                               ; =>This Inner Loop Header: Depth=1
	v_add_co_u32 v5, vcc_lo, s12, v3
	v_add_co_ci_u32_e32 v6, vcc_lo, s13, v4, vcc_lo
	v_add_co_u32 v7, vcc_lo, s10, v3
	v_add_co_ci_u32_e32 v8, vcc_lo, s11, v4, vcc_lo
	v_cmp_le_i64_e32 vcc_lo, s[8:9], v[1:2]
	global_load_b64 v[5:6], v[5:6], off
	global_load_b64 v[9:10], v[7:8], off
	v_cmp_lt_u64_e64 s2, 0xffff, v[1:2]
	v_add_co_u32 v3, s3, v3, s17
	s_delay_alu instid0(VALU_DEP_1) | instskip(SKIP_1) | instid1(VALU_DEP_4)
	v_add_co_ci_u32_e64 v4, s3, 0, v4, s3
	v_add_co_u32 v1, s3, v1, s18
	s_or_b32 s2, vcc_lo, s2
	v_add_co_ci_u32_e64 v2, s3, 0, v2, s3
	s_and_b32 s2, exec_lo, s2
	s_delay_alu instid0(SALU_CYCLE_1) | instskip(SKIP_3) | instid1(VALU_DEP_1)
	s_or_b32 s16, s2, s16
	s_waitcnt vmcnt(1)
	v_lshlrev_b32_e32 v12, 16, v5
	s_waitcnt vmcnt(0)
	v_dual_mul_f32 v12, s14, v12 :: v_dual_lshlrev_b32 v11, 16, v9
	v_and_b32_e32 v14, 0xffff0000, v5
	v_alignbit_b32 v5, v6, v5, 16
	s_delay_alu instid0(VALU_DEP_3) | instskip(NEXT) | instid1(VALU_DEP_3)
	v_mul_f32_e32 v11, v12, v11
	v_dual_mul_f32 v14, s14, v14 :: v_dual_and_b32 v13, 0xffff0000, v9
	v_alignbit_b32 v9, v10, v9, 16
	s_delay_alu instid0(VALU_DEP_4) | instskip(SKIP_3) | instid1(VALU_DEP_4)
	v_and_b32_e32 v5, 0xffff0000, v5
	v_and_b32_e32 v10, 0xffff0000, v10
	v_cmp_o_f32_e64 s5, v11, v11
	v_mul_f32_e32 v12, v14, v13
	v_mul_f32_e32 v5, s14, v5
	v_and_b32_e32 v9, 0xffff0000, v9
	v_and_b32_e32 v6, 0xffff0000, v6
	s_delay_alu instid0(VALU_DEP_4) | instskip(SKIP_1) | instid1(VALU_DEP_3)
	v_bfe_u32 v13, v12, 16, 1
	v_cmp_o_f32_e64 s4, v12, v12
	v_dual_mul_f32 v5, v5, v9 :: v_dual_mul_f32 v6, s14, v6
	s_delay_alu instid0(VALU_DEP_3) | instskip(NEXT) | instid1(VALU_DEP_2)
	v_add3_u32 v13, v12, v13, 0x7fff
	v_bfe_u32 v14, v5, 16, 1
	s_delay_alu instid0(VALU_DEP_3) | instskip(SKIP_1) | instid1(VALU_DEP_4)
	v_mul_f32_e32 v6, v6, v10
	v_bfe_u32 v10, v11, 16, 1
	v_and_b32_e32 v13, 0xffff0000, v13
	s_delay_alu instid0(VALU_DEP_4) | instskip(NEXT) | instid1(VALU_DEP_4)
	v_add3_u32 v14, v5, v14, 0x7fff
	v_bfe_u32 v9, v6, 16, 1
	s_delay_alu instid0(VALU_DEP_4) | instskip(NEXT) | instid1(VALU_DEP_4)
	v_add3_u32 v10, v11, v10, 0x7fff
	v_cndmask_b32_e64 v12, 0x7fc00000, v13, s4
	v_cmp_o_f32_e64 s4, v6, v6
	v_lshrrev_b32_e32 v11, 16, v14
	v_add3_u32 v9, v6, v9, 0x7fff
	v_lshrrev_b32_e32 v10, 16, v10
	s_delay_alu instid0(VALU_DEP_2) | instskip(NEXT) | instid1(VALU_DEP_2)
	v_and_b32_e32 v9, 0xffff0000, v9
	v_cndmask_b32_e64 v10, 0x7fc0, v10, s5
	s_delay_alu instid0(VALU_DEP_2) | instskip(SKIP_1) | instid1(VALU_DEP_3)
	v_cndmask_b32_e64 v6, 0x7fc00000, v9, s4
	v_cmp_o_f32_e64 s4, v5, v5
	v_or_b32_e32 v9, v10, v12
	s_delay_alu instid0(VALU_DEP_2) | instskip(NEXT) | instid1(VALU_DEP_1)
	v_cndmask_b32_e64 v5, 0x7fc0, v11, s4
	v_or3_b32 v6, 0, v5, v6
	s_delay_alu instid0(VALU_DEP_3)
	v_or3_b32 v5, v9, 0, 0
	global_store_b64 v[7:8], v[5:6], off
	s_and_not1_b32 exec_lo, exec_lo, s16
	s_cbranch_execnz .LBB58_3
.LBB58_4:
	s_or_b32 exec_lo, exec_lo, s15
	s_mov_b32 s2, 0
.LBB58_5:
	s_delay_alu instid0(SALU_CYCLE_1)
	s_and_not1_b32 vcc_lo, exec_lo, s2
	s_cbranch_vccnz .LBB58_25
; %bb.6:
	v_cmp_lt_i64_e64 s2, s[8:9], 1
	s_delay_alu instid0(VALU_DEP_1)
	s_and_b32 vcc_lo, exec_lo, s2
	s_cbranch_vccnz .LBB58_25
; %bb.7:
	s_load_b32 s0, s[0:1], 0xc5c
	v_dual_mov_b32 v2, 0 :: v_dual_lshlrev_b32 v1, 1, v0
	v_cmp_gt_u64_e64 s1, 0x10000, s[8:9]
	s_delay_alu instid0(VALU_DEP_2) | instskip(NEXT) | instid1(VALU_DEP_1)
	v_add_co_u32 v3, s2, s10, v1
	v_add_co_ci_u32_e64 v4, null, s11, 0, s2
	v_add_co_u32 v5, s2, s12, v1
	s_delay_alu instid0(VALU_DEP_1)
	v_add_co_ci_u32_e64 v6, null, s13, 0, s2
	s_waitcnt lgkmcnt(0)
	s_and_b32 s0, s0, 0xffff
	s_and_b32 s1, s1, exec_lo
	v_mad_u64_u32 v[9:10], null, s0, 6, v[1:2]
	s_cselect_b32 s5, s9, 0
	s_cselect_b32 s4, s8, 0x10000
	s_lshl_b32 s15, s0, 2
	s_mul_i32 s2, s0, 3
	v_add_co_u32 v1, s3, s15, v1
	s_delay_alu instid0(VALU_DEP_2) | instskip(NEXT) | instid1(VALU_DEP_3)
	v_add_co_u32 v7, vcc_lo, s10, v9
	v_add_co_ci_u32_e32 v8, vcc_lo, s11, v10, vcc_lo
	v_add_co_u32 v11, s2, s2, v0
	v_add_co_u32 v9, vcc_lo, s12, v9
	v_add_co_ci_u32_e64 v2, null, 0, 0, s3
	v_add_co_ci_u32_e64 v12, null, 0, 0, s2
	v_add_co_u32 v15, s2, v0, s0
	v_add_co_ci_u32_e32 v10, vcc_lo, s13, v10, vcc_lo
	v_add_co_u32 v13, vcc_lo, s10, v1
	v_add_co_ci_u32_e32 v14, vcc_lo, s11, v2, vcc_lo
	v_add_co_u32 v16, vcc_lo, s12, v1
	v_lshlrev_b32_e32 v1, 1, v15
	s_lshl_b32 s1, s0, 1
	v_add_co_ci_u32_e32 v17, vcc_lo, s13, v2, vcc_lo
	v_add_co_u32 v19, s1, s1, v0
	s_delay_alu instid0(VALU_DEP_1) | instskip(SKIP_1) | instid1(VALU_DEP_1)
	v_add_co_ci_u32_e64 v20, null, 0, 0, s1
	v_add_co_u32 v21, s1, s10, v1
	v_add_co_ci_u32_e64 v22, null, s11, 0, s1
	v_add_co_u32 v23, s1, s12, v1
	v_add_co_ci_u32_e64 v18, null, 0, 0, s2
	v_add_co_ci_u32_e64 v24, null, s13, 0, s1
	s_mov_b32 s12, 0
	s_lshl_b32 s13, s0, 3
	s_mov_b64 s[10:11], 0
	s_branch .LBB58_9
.LBB58_8:                               ;   in Loop: Header=BB58_9 Depth=1
	s_or_b32 exec_lo, exec_lo, s0
	v_add_co_u32 v3, vcc_lo, v3, s13
	v_add_co_ci_u32_e32 v4, vcc_lo, 0, v4, vcc_lo
	v_add_co_u32 v5, vcc_lo, v5, s13
	v_add_co_ci_u32_e32 v6, vcc_lo, 0, v6, vcc_lo
	v_add_co_u32 v7, vcc_lo, v7, s13
	v_add_co_ci_u32_e32 v8, vcc_lo, 0, v8, vcc_lo
	v_add_co_u32 v9, vcc_lo, v9, s13
	v_add_co_ci_u32_e32 v10, vcc_lo, 0, v10, vcc_lo
	v_add_co_u32 v13, vcc_lo, v13, s13
	v_add_co_ci_u32_e32 v14, vcc_lo, 0, v14, vcc_lo
	s_add_u32 s10, s10, s15
	v_add_co_u32 v16, vcc_lo, v16, s13
	s_addc_u32 s11, s11, 0
	v_add_co_ci_u32_e32 v17, vcc_lo, 0, v17, vcc_lo
	v_cmp_ge_i64_e64 s0, s[10:11], s[8:9]
	v_cmp_lt_u64_e64 s1, 0xffff, s[10:11]
	v_add_co_u32 v21, vcc_lo, v21, s13
	v_add_co_ci_u32_e32 v22, vcc_lo, 0, v22, vcc_lo
	v_add_co_u32 v23, vcc_lo, v23, s13
	v_add_co_ci_u32_e32 v24, vcc_lo, 0, v24, vcc_lo
	s_or_b32 s0, s0, s1
	s_delay_alu instid0(SALU_CYCLE_1)
	s_and_b32 vcc_lo, exec_lo, s0
	s_cbranch_vccnz .LBB58_25
.LBB58_9:                               ; =>This Inner Loop Header: Depth=1
	v_add_co_u32 v1, s0, v0, s10
	s_delay_alu instid0(VALU_DEP_1) | instskip(SKIP_2) | instid1(VALU_DEP_2)
	v_add_co_ci_u32_e64 v2, null, 0, s11, s0
	s_waitcnt vmcnt(0)
	v_mov_b32_e32 v26, 0
	v_cmp_gt_u64_e32 vcc_lo, s[4:5], v[1:2]
	v_mov_b32_e32 v1, 0
	v_mov_b32_e32 v2, 0
	s_and_saveexec_b32 s1, vcc_lo
	s_cbranch_execz .LBB58_11
; %bb.10:                               ;   in Loop: Header=BB58_9 Depth=1
	v_add_co_u32 v1, s0, v3, s6
	s_delay_alu instid0(VALU_DEP_1) | instskip(SKIP_2) | instid1(VALU_DEP_1)
	v_add_co_ci_u32_e64 v2, s0, s7, v4, s0
	global_load_u16 v25, v[1:2], off
	v_add_co_u32 v1, s0, v5, s6
	v_add_co_ci_u32_e64 v2, s0, s7, v6, s0
	global_load_u16 v26, v[1:2], off
	s_waitcnt vmcnt(1)
	v_dual_mov_b32 v2, s12 :: v_dual_and_b32 v1, 0xffff, v25
.LBB58_11:                              ;   in Loop: Header=BB58_9 Depth=1
	s_or_b32 exec_lo, exec_lo, s1
	v_add_co_u32 v27, s0, v15, s10
	s_delay_alu instid0(VALU_DEP_1) | instskip(SKIP_1) | instid1(VALU_DEP_2)
	v_add_co_ci_u32_e64 v28, s0, s11, v18, s0
	v_mov_b32_e32 v25, 0
	v_cmp_gt_u64_e64 s0, s[4:5], v[27:28]
	v_mov_b32_e32 v27, 0
	s_delay_alu instid0(VALU_DEP_2)
	s_and_saveexec_b32 s2, s0
	s_cbranch_execz .LBB58_13
; %bb.12:                               ;   in Loop: Header=BB58_9 Depth=1
	v_add_co_u32 v27, s1, v21, s6
	s_delay_alu instid0(VALU_DEP_1) | instskip(SKIP_2) | instid1(VALU_DEP_1)
	v_add_co_ci_u32_e64 v28, s1, s7, v22, s1
	global_load_u16 v29, v[27:28], off
	v_add_co_u32 v27, s1, v23, s6
	v_add_co_ci_u32_e64 v28, s1, s7, v24, s1
	global_load_u16 v27, v[27:28], off
	s_waitcnt vmcnt(1)
	v_lshl_or_b32 v1, v29, 16, v1
.LBB58_13:                              ;   in Loop: Header=BB58_9 Depth=1
	s_or_b32 exec_lo, exec_lo, s2
	v_add_co_u32 v28, s1, v19, s10
	s_delay_alu instid0(VALU_DEP_1) | instskip(NEXT) | instid1(VALU_DEP_1)
	v_add_co_ci_u32_e64 v29, s1, s11, v20, s1
	v_cmp_gt_u64_e64 s1, s[4:5], v[28:29]
	s_delay_alu instid0(VALU_DEP_1)
	s_and_saveexec_b32 s3, s1
	s_cbranch_execz .LBB58_15
; %bb.14:                               ;   in Loop: Header=BB58_9 Depth=1
	v_add_co_u32 v28, s2, v13, s6
	s_delay_alu instid0(VALU_DEP_1) | instskip(SKIP_2) | instid1(VALU_DEP_1)
	v_add_co_ci_u32_e64 v29, s2, s7, v14, s2
	global_load_u16 v30, v[28:29], off
	v_add_co_u32 v28, s2, v16, s6
	v_add_co_ci_u32_e64 v29, s2, s7, v17, s2
	global_load_u16 v25, v[28:29], off
	s_waitcnt vmcnt(1)
	v_or_b32_e32 v2, v30, v2
.LBB58_15:                              ;   in Loop: Header=BB58_9 Depth=1
	s_or_b32 exec_lo, exec_lo, s3
	v_add_co_u32 v28, s2, v11, s10
	s_delay_alu instid0(VALU_DEP_1) | instskip(NEXT) | instid1(VALU_DEP_1)
	v_add_co_ci_u32_e64 v29, s2, s11, v12, s2
	v_cmp_gt_u64_e64 s2, s[4:5], v[28:29]
	v_mov_b32_e32 v28, 0
	s_delay_alu instid0(VALU_DEP_2)
	s_and_saveexec_b32 s16, s2
	s_cbranch_execnz .LBB58_20
; %bb.16:                               ;   in Loop: Header=BB58_9 Depth=1
	s_or_b32 exec_lo, exec_lo, s16
	s_and_saveexec_b32 s3, vcc_lo
	s_cbranch_execnz .LBB58_21
.LBB58_17:                              ;   in Loop: Header=BB58_9 Depth=1
	s_or_b32 exec_lo, exec_lo, s3
	s_and_saveexec_b32 s3, s0
	s_cbranch_execnz .LBB58_22
.LBB58_18:                              ;   in Loop: Header=BB58_9 Depth=1
	s_or_b32 exec_lo, exec_lo, s3
	s_and_saveexec_b32 s0, s1
	s_cbranch_execnz .LBB58_23
.LBB58_19:                              ;   in Loop: Header=BB58_9 Depth=1
	s_or_b32 exec_lo, exec_lo, s0
	s_and_saveexec_b32 s0, s2
	s_cbranch_execz .LBB58_8
	s_branch .LBB58_24
.LBB58_20:                              ;   in Loop: Header=BB58_9 Depth=1
	v_add_co_u32 v28, s3, v7, s6
	s_delay_alu instid0(VALU_DEP_1) | instskip(SKIP_3) | instid1(VALU_DEP_1)
	v_add_co_ci_u32_e64 v29, s3, s7, v8, s3
	v_mov_b32_e32 v30, 0
	global_load_d16_hi_b16 v30, v[28:29], off
	v_add_co_u32 v28, s3, v9, s6
	v_add_co_ci_u32_e64 v29, s3, s7, v10, s3
	global_load_u16 v28, v[28:29], off
	s_waitcnt vmcnt(1)
	v_or_b32_e32 v2, v30, v2
	s_or_b32 exec_lo, exec_lo, s16
	s_and_saveexec_b32 s3, vcc_lo
	s_cbranch_execz .LBB58_17
.LBB58_21:                              ;   in Loop: Header=BB58_9 Depth=1
	s_waitcnt vmcnt(0)
	v_lshlrev_b32_e32 v26, 16, v26
	s_delay_alu instid0(VALU_DEP_1) | instskip(NEXT) | instid1(VALU_DEP_1)
	v_dual_mul_f32 v26, s14, v26 :: v_dual_lshlrev_b32 v29, 16, v1
	v_mul_f32_e32 v26, v26, v29
	s_delay_alu instid0(VALU_DEP_1) | instskip(NEXT) | instid1(VALU_DEP_1)
	v_bfe_u32 v29, v26, 16, 1
	v_add3_u32 v29, v26, v29, 0x7fff
	s_delay_alu instid0(VALU_DEP_1) | instskip(SKIP_3) | instid1(VALU_DEP_4)
	v_lshrrev_b32_e32 v31, 16, v29
	v_add_co_u32 v29, vcc_lo, v3, s6
	v_add_co_ci_u32_e32 v30, vcc_lo, s7, v4, vcc_lo
	v_cmp_o_f32_e32 vcc_lo, v26, v26
	v_cndmask_b32_e32 v26, 0x7fc0, v31, vcc_lo
	global_store_b16 v[29:30], v26, off
	s_or_b32 exec_lo, exec_lo, s3
	s_and_saveexec_b32 s3, s0
	s_cbranch_execz .LBB58_18
.LBB58_22:                              ;   in Loop: Header=BB58_9 Depth=1
	s_waitcnt vmcnt(0)
	v_lshlrev_b32_e32 v26, 16, v27
	s_delay_alu instid0(VALU_DEP_1) | instskip(NEXT) | instid1(VALU_DEP_1)
	v_dual_mul_f32 v26, s14, v26 :: v_dual_and_b32 v27, 0xffff0000, v1
	v_mul_f32_e32 v26, v26, v27
	s_delay_alu instid0(VALU_DEP_1) | instskip(SKIP_1) | instid1(VALU_DEP_2)
	v_bfe_u32 v27, v26, 16, 1
	v_cmp_o_f32_e32 vcc_lo, v26, v26
	v_add3_u32 v27, v26, v27, 0x7fff
	s_delay_alu instid0(VALU_DEP_1) | instskip(NEXT) | instid1(VALU_DEP_1)
	v_lshrrev_b32_e32 v27, 16, v27
	v_cndmask_b32_e32 v29, 0x7fc0, v27, vcc_lo
	v_add_co_u32 v26, vcc_lo, v21, s6
	v_add_co_ci_u32_e32 v27, vcc_lo, s7, v22, vcc_lo
	global_store_b16 v[26:27], v29, off
	s_or_b32 exec_lo, exec_lo, s3
	s_and_saveexec_b32 s0, s1
	s_cbranch_execz .LBB58_19
.LBB58_23:                              ;   in Loop: Header=BB58_9 Depth=1
	v_alignbit_b32 v1, v2, v1, 16
	s_waitcnt vmcnt(0)
	v_lshlrev_b32_e32 v25, 16, v25
	s_delay_alu instid0(VALU_DEP_2) | instskip(NEXT) | instid1(VALU_DEP_2)
	v_and_b32_e32 v1, 0xffff0000, v1
	v_mul_f32_e32 v25, s14, v25
	s_delay_alu instid0(VALU_DEP_1) | instskip(NEXT) | instid1(VALU_DEP_1)
	v_mul_f32_e32 v1, v25, v1
	v_bfe_u32 v25, v1, 16, 1
	v_cmp_o_f32_e32 vcc_lo, v1, v1
	s_delay_alu instid0(VALU_DEP_2) | instskip(NEXT) | instid1(VALU_DEP_1)
	v_add3_u32 v25, v1, v25, 0x7fff
	v_lshrrev_b32_e32 v25, 16, v25
	s_delay_alu instid0(VALU_DEP_1)
	v_cndmask_b32_e32 v1, 0x7fc0, v25, vcc_lo
	v_add_co_u32 v25, vcc_lo, v13, s6
	v_add_co_ci_u32_e32 v26, vcc_lo, s7, v14, vcc_lo
	global_store_b16 v[25:26], v1, off
	s_or_b32 exec_lo, exec_lo, s0
	s_and_saveexec_b32 s0, s2
	s_cbranch_execz .LBB58_8
.LBB58_24:                              ;   in Loop: Header=BB58_9 Depth=1
	s_waitcnt vmcnt(0)
	v_lshlrev_b32_e32 v1, 16, v28
	s_delay_alu instid0(VALU_DEP_1) | instskip(NEXT) | instid1(VALU_DEP_1)
	v_dual_mul_f32 v1, s14, v1 :: v_dual_and_b32 v2, 0xffff0000, v2
	v_mul_f32_e32 v1, v1, v2
	s_delay_alu instid0(VALU_DEP_1) | instskip(SKIP_1) | instid1(VALU_DEP_2)
	v_bfe_u32 v2, v1, 16, 1
	v_cmp_o_f32_e32 vcc_lo, v1, v1
	v_add3_u32 v2, v1, v2, 0x7fff
	s_delay_alu instid0(VALU_DEP_1) | instskip(NEXT) | instid1(VALU_DEP_1)
	v_lshrrev_b32_e32 v2, 16, v2
	v_cndmask_b32_e32 v25, 0x7fc0, v2, vcc_lo
	v_add_co_u32 v1, vcc_lo, v7, s6
	v_add_co_ci_u32_e32 v2, vcc_lo, s7, v8, vcc_lo
	global_store_b16 v[1:2], v25, off
	s_branch .LBB58_8
.LBB58_25:
	s_nop 0
	s_sendmsg sendmsg(MSG_DEALLOC_VGPRS)
	s_endpgm
	.section	.rodata,"a",@progbits
	.p2align	6, 0x0
	.amdhsa_kernel _ZN2at6native12_GLOBAL__N_125multi_tensor_apply_kernelINS1_18TensorListMetadataILi2EEENS1_24BinaryOpListAlphaFunctorIN3c108BFloat16ELi2ELi2ELi0EEEJSt10multipliesIfEfEEEvT_T0_DpT1_
		.amdhsa_group_segment_fixed_size 0
		.amdhsa_private_segment_fixed_size 0
		.amdhsa_kernarg_size 3408
		.amdhsa_user_sgpr_count 15
		.amdhsa_user_sgpr_dispatch_ptr 0
		.amdhsa_user_sgpr_queue_ptr 0
		.amdhsa_user_sgpr_kernarg_segment_ptr 1
		.amdhsa_user_sgpr_dispatch_id 0
		.amdhsa_user_sgpr_private_segment_size 0
		.amdhsa_wavefront_size32 1
		.amdhsa_uses_dynamic_stack 0
		.amdhsa_enable_private_segment 0
		.amdhsa_system_sgpr_workgroup_id_x 1
		.amdhsa_system_sgpr_workgroup_id_y 0
		.amdhsa_system_sgpr_workgroup_id_z 0
		.amdhsa_system_sgpr_workgroup_info 0
		.amdhsa_system_vgpr_workitem_id 0
		.amdhsa_next_free_vgpr 32
		.amdhsa_next_free_sgpr 20
		.amdhsa_reserve_vcc 1
		.amdhsa_float_round_mode_32 0
		.amdhsa_float_round_mode_16_64 0
		.amdhsa_float_denorm_mode_32 3
		.amdhsa_float_denorm_mode_16_64 3
		.amdhsa_dx10_clamp 1
		.amdhsa_ieee_mode 1
		.amdhsa_fp16_overflow 0
		.amdhsa_workgroup_processor_mode 1
		.amdhsa_memory_ordered 1
		.amdhsa_forward_progress 0
		.amdhsa_shared_vgpr_count 0
		.amdhsa_exception_fp_ieee_invalid_op 0
		.amdhsa_exception_fp_denorm_src 0
		.amdhsa_exception_fp_ieee_div_zero 0
		.amdhsa_exception_fp_ieee_overflow 0
		.amdhsa_exception_fp_ieee_underflow 0
		.amdhsa_exception_fp_ieee_inexact 0
		.amdhsa_exception_int_div_zero 0
	.end_amdhsa_kernel
	.section	.text._ZN2at6native12_GLOBAL__N_125multi_tensor_apply_kernelINS1_18TensorListMetadataILi2EEENS1_24BinaryOpListAlphaFunctorIN3c108BFloat16ELi2ELi2ELi0EEEJSt10multipliesIfEfEEEvT_T0_DpT1_,"axG",@progbits,_ZN2at6native12_GLOBAL__N_125multi_tensor_apply_kernelINS1_18TensorListMetadataILi2EEENS1_24BinaryOpListAlphaFunctorIN3c108BFloat16ELi2ELi2ELi0EEEJSt10multipliesIfEfEEEvT_T0_DpT1_,comdat
.Lfunc_end58:
	.size	_ZN2at6native12_GLOBAL__N_125multi_tensor_apply_kernelINS1_18TensorListMetadataILi2EEENS1_24BinaryOpListAlphaFunctorIN3c108BFloat16ELi2ELi2ELi0EEEJSt10multipliesIfEfEEEvT_T0_DpT1_, .Lfunc_end58-_ZN2at6native12_GLOBAL__N_125multi_tensor_apply_kernelINS1_18TensorListMetadataILi2EEENS1_24BinaryOpListAlphaFunctorIN3c108BFloat16ELi2ELi2ELi0EEEJSt10multipliesIfEfEEEvT_T0_DpT1_
                                        ; -- End function
	.section	.AMDGPU.csdata,"",@progbits
; Kernel info:
; codeLenInByte = 2164
; NumSgprs: 22
; NumVgprs: 32
; ScratchSize: 0
; MemoryBound: 0
; FloatMode: 240
; IeeeMode: 1
; LDSByteSize: 0 bytes/workgroup (compile time only)
; SGPRBlocks: 2
; VGPRBlocks: 3
; NumSGPRsForWavesPerEU: 22
; NumVGPRsForWavesPerEU: 32
; Occupancy: 16
; WaveLimiterHint : 0
; COMPUTE_PGM_RSRC2:SCRATCH_EN: 0
; COMPUTE_PGM_RSRC2:USER_SGPR: 15
; COMPUTE_PGM_RSRC2:TRAP_HANDLER: 0
; COMPUTE_PGM_RSRC2:TGID_X_EN: 1
; COMPUTE_PGM_RSRC2:TGID_Y_EN: 0
; COMPUTE_PGM_RSRC2:TGID_Z_EN: 0
; COMPUTE_PGM_RSRC2:TIDIG_COMP_CNT: 0
	.section	.text._ZN2at6native12_GLOBAL__N_125multi_tensor_apply_kernelINS1_18TensorListMetadataILi2EEENS1_24BinaryOpListAlphaFunctorIN3c104HalfELi2ELi2ELi0EEEJSt10multipliesIfEfEEEvT_T0_DpT1_,"axG",@progbits,_ZN2at6native12_GLOBAL__N_125multi_tensor_apply_kernelINS1_18TensorListMetadataILi2EEENS1_24BinaryOpListAlphaFunctorIN3c104HalfELi2ELi2ELi0EEEJSt10multipliesIfEfEEEvT_T0_DpT1_,comdat
	.globl	_ZN2at6native12_GLOBAL__N_125multi_tensor_apply_kernelINS1_18TensorListMetadataILi2EEENS1_24BinaryOpListAlphaFunctorIN3c104HalfELi2ELi2ELi0EEEJSt10multipliesIfEfEEEvT_T0_DpT1_ ; -- Begin function _ZN2at6native12_GLOBAL__N_125multi_tensor_apply_kernelINS1_18TensorListMetadataILi2EEENS1_24BinaryOpListAlphaFunctorIN3c104HalfELi2ELi2ELi0EEEJSt10multipliesIfEfEEEvT_T0_DpT1_
	.p2align	8
	.type	_ZN2at6native12_GLOBAL__N_125multi_tensor_apply_kernelINS1_18TensorListMetadataILi2EEENS1_24BinaryOpListAlphaFunctorIN3c104HalfELi2ELi2ELi0EEEJSt10multipliesIfEfEEEvT_T0_DpT1_,@function
_ZN2at6native12_GLOBAL__N_125multi_tensor_apply_kernelINS1_18TensorListMetadataILi2EEENS1_24BinaryOpListAlphaFunctorIN3c104HalfELi2ELi2ELi0EEEJSt10multipliesIfEfEEEvT_T0_DpT1_: ; @_ZN2at6native12_GLOBAL__N_125multi_tensor_apply_kernelINS1_18TensorListMetadataILi2EEENS1_24BinaryOpListAlphaFunctorIN3c104HalfELi2ELi2ELi0EEEJSt10multipliesIfEfEEEvT_T0_DpT1_
; %bb.0:
	v_mov_b32_e32 v1, s15
	s_add_u32 s2, s0, s15
	s_mul_hi_u32 s3, s15, 3
	s_mul_i32 s15, s15, 3
	s_addc_u32 s4, s1, 0
	global_load_u8 v1, v1, s[0:1] offset:1536
	s_add_u32 s2, s2, s15
	s_addc_u32 s3, s4, s3
	s_mov_b32 s9, 0
	s_load_b32 s2, s[2:3], 0x740
	s_mov_b32 s19, s9
	s_mov_b32 s17, s9
	s_waitcnt vmcnt(0)
	v_readfirstlane_b32 s3, v1
	s_delay_alu instid0(VALU_DEP_1)
	s_lshl_b32 s3, s3, 3
	s_clause 0x3
	s_load_b64 s[10:11], s[0:1], s3 offset:0x0
	s_load_b64 s[12:13], s[0:1], s3 offset:0x200
	;; [unrolled: 1-line block ×3, first 2 shown]
	s_load_b32 s14, s[0:1], 0xc4c
	s_waitcnt lgkmcnt(0)
	s_ashr_i32 s3, s2, 31
	s_delay_alu instid0(SALU_CYCLE_1) | instskip(SKIP_4) | instid1(SALU_CYCLE_1)
	s_lshl_b64 s[4:5], s[2:3], 17
	s_lshl_b64 s[2:3], s[2:3], 16
	s_and_b32 s8, s10, 7
	s_and_b32 s16, s12, 7
	;; [unrolled: 1-line block ×3, first 2 shown]
	s_or_b64 s[8:9], s[8:9], s[18:19]
	s_delay_alu instid0(SALU_CYCLE_1)
	s_or_b64 s[8:9], s[16:17], s[8:9]
	s_sub_u32 s6, s6, s2
	s_subb_u32 s7, s7, s3
	s_cmp_eq_u64 s[8:9], 0
	s_mov_b32 s2, -1
	s_cbranch_scc0 .LBB59_5
; %bb.1:
	v_dual_mov_b32 v2, 0 :: v_dual_lshlrev_b32 v1, 2, v0
	s_mov_b32 s8, exec_lo
	s_delay_alu instid0(VALU_DEP_1)
	v_cmpx_gt_i64_e64 s[6:7], v[1:2]
	s_cbranch_execz .LBB59_4
; %bb.2:
	s_load_b32 s2, s[0:1], 0xc5c
	v_lshlrev_b32_e32 v1, 3, v0
	s_mov_b32 s9, s14
	s_mov_b32 s15, 0
	s_delay_alu instid0(VALU_DEP_1) | instskip(NEXT) | instid1(VALU_DEP_1)
	v_add_co_u32 v3, s3, s4, v1
	v_add_co_ci_u32_e64 v4, null, s5, 0, s3
	s_delay_alu instid0(VALU_DEP_2) | instskip(NEXT) | instid1(VALU_DEP_2)
	v_add_co_u32 v3, vcc_lo, v3, 4
	v_add_co_ci_u32_e32 v4, vcc_lo, 0, v4, vcc_lo
	s_waitcnt lgkmcnt(0)
	s_and_b32 s2, s2, 0xffff
	s_delay_alu instid0(SALU_CYCLE_1)
	v_add_lshl_u32 v1, v0, s2, 2
	s_lshl_b32 s16, s2, 2
	s_lshl_b32 s17, s2, 3
	s_set_inst_prefetch_distance 0x1
	.p2align	6
.LBB59_3:                               ; =>This Inner Loop Header: Depth=1
	v_add_co_u32 v5, vcc_lo, s12, v3
	v_add_co_ci_u32_e32 v6, vcc_lo, s13, v4, vcc_lo
	v_add_co_u32 v7, vcc_lo, s10, v3
	v_add_co_ci_u32_e32 v8, vcc_lo, s11, v4, vcc_lo
	global_load_b64 v[5:6], v[5:6], off offset:-4
	v_cmp_le_i64_e32 vcc_lo, s[6:7], v[1:2]
	v_cmp_lt_u64_e64 s2, 0xffff, v[1:2]
	global_load_b64 v[9:10], v[7:8], off offset:-4
	v_add_co_u32 v1, s3, v1, s16
	s_delay_alu instid0(VALU_DEP_1) | instskip(SKIP_4) | instid1(SALU_CYCLE_1)
	v_add_co_ci_u32_e64 v2, s3, 0, v2, s3
	v_add_co_u32 v3, s3, v3, s17
	s_or_b32 s2, vcc_lo, s2
	v_add_co_ci_u32_e64 v4, s3, 0, v4, s3
	s_and_b32 s2, exec_lo, s2
	s_or_b32 s15, s2, s15
	s_waitcnt vmcnt(1)
	v_lshrrev_b32_e32 v11, 16, v5
	v_cvt_f32_f16_e32 v5, v5
	v_lshrrev_b32_e32 v12, 16, v6
	v_cvt_f32_f16_e32 v6, v6
	s_delay_alu instid0(VALU_DEP_4) | instskip(NEXT) | instid1(VALU_DEP_4)
	v_cvt_f32_f16_e32 v11, v11
	v_mul_f32_e32 v5, s14, v5
	s_delay_alu instid0(VALU_DEP_4) | instskip(NEXT) | instid1(VALU_DEP_3)
	v_cvt_f32_f16_e32 v12, v12
	v_dual_mul_f32 v6, s14, v6 :: v_dual_mul_f32 v11, s9, v11
	s_waitcnt vmcnt(0)
	s_delay_alu instid0(VALU_DEP_3) | instskip(NEXT) | instid1(VALU_DEP_3)
	v_fma_mixlo_f16 v5, v5, v9, 0 op_sel_hi:[0,1,0]
	v_mul_f32_e32 v12, s9, v12
	s_delay_alu instid0(VALU_DEP_3) | instskip(NEXT) | instid1(VALU_DEP_3)
	v_fma_mixlo_f16 v6, v6, v10, 0 op_sel_hi:[0,1,0]
	v_fma_mixhi_f16 v5, v11, v9, 0 op_sel:[0,1,0] op_sel_hi:[0,1,0]
	s_delay_alu instid0(VALU_DEP_2)
	v_fma_mixhi_f16 v6, v12, v10, 0 op_sel:[0,1,0] op_sel_hi:[0,1,0]
	global_store_b64 v[7:8], v[5:6], off offset:-4
	s_and_not1_b32 exec_lo, exec_lo, s15
	s_cbranch_execnz .LBB59_3
.LBB59_4:
	s_set_inst_prefetch_distance 0x2
	s_or_b32 exec_lo, exec_lo, s8
	s_mov_b32 s2, 0
.LBB59_5:
	s_delay_alu instid0(SALU_CYCLE_1)
	s_and_not1_b32 vcc_lo, exec_lo, s2
	s_cbranch_vccnz .LBB59_25
; %bb.6:
	v_cmp_lt_i64_e64 s2, s[6:7], 1
	s_delay_alu instid0(VALU_DEP_1)
	s_and_b32 vcc_lo, exec_lo, s2
	s_cbranch_vccnz .LBB59_25
; %bb.7:
	s_load_b32 s0, s[0:1], 0xc5c
	v_dual_mov_b32 v10, 0 :: v_dual_lshlrev_b32 v9, 1, v0
	v_cmp_gt_u64_e64 s1, 0x10000, s[6:7]
	s_delay_alu instid0(VALU_DEP_2) | instskip(NEXT) | instid1(VALU_DEP_1)
	v_add_co_u32 v1, s2, s10, v9
	v_add_co_ci_u32_e64 v2, null, s11, 0, s2
	v_add_co_u32 v3, s2, s12, v9
	s_delay_alu instid0(VALU_DEP_1)
	v_add_co_ci_u32_e64 v4, null, s13, 0, s2
	s_waitcnt lgkmcnt(0)
	s_and_b32 s0, s0, 0xffff
	s_and_b32 s1, s1, exec_lo
	v_mad_u64_u32 v[7:8], null, s0, 6, v[9:10]
	s_cselect_b32 s9, s7, 0
	s_cselect_b32 s8, s6, 0x10000
	s_mul_i32 s2, s0, 3
	s_lshl_b32 s15, s0, 2
	s_lshl_b32 s1, s0, 1
	v_add_co_u32 v14, s3, s15, v9
	v_add_co_u32 v9, s2, s2, v0
	s_delay_alu instid0(VALU_DEP_1) | instskip(SKIP_3) | instid1(VALU_DEP_3)
	v_add_co_ci_u32_e64 v10, null, 0, 0, s2
	v_add_co_u32 v13, s2, v0, s0
	v_add_co_u32 v5, vcc_lo, s10, v7
	v_add_co_ci_u32_e32 v6, vcc_lo, s11, v8, vcc_lo
	v_lshlrev_b32_e32 v21, 1, v13
	v_add_co_u32 v7, vcc_lo, s12, v7
	v_add_co_ci_u32_e64 v15, null, 0, 0, s3
	v_add_co_ci_u32_e32 v8, vcc_lo, s13, v8, vcc_lo
	v_add_co_u32 v17, s1, s1, v0
	v_add_co_u32 v11, vcc_lo, s10, v14
	v_add_co_ci_u32_e64 v18, null, 0, 0, s1
	v_add_co_u32 v19, s1, s10, v21
	v_add_co_ci_u32_e32 v12, vcc_lo, s11, v15, vcc_lo
	v_add_co_u32 v14, vcc_lo, s12, v14
	v_add_co_ci_u32_e64 v20, null, s11, 0, s1
	v_add_co_u32 v21, s1, s12, v21
	v_add_co_ci_u32_e32 v15, vcc_lo, s13, v15, vcc_lo
	v_add_co_ci_u32_e64 v16, null, 0, 0, s2
	v_add_co_ci_u32_e64 v22, null, s13, 0, s1
	s_lshl_b32 s12, s0, 3
	s_mov_b64 s[10:11], 0
	s_branch .LBB59_9
.LBB59_8:                               ;   in Loop: Header=BB59_9 Depth=1
	s_or_b32 exec_lo, exec_lo, s0
	v_add_co_u32 v1, vcc_lo, v1, s12
	v_add_co_ci_u32_e32 v2, vcc_lo, 0, v2, vcc_lo
	v_add_co_u32 v3, vcc_lo, v3, s12
	v_add_co_ci_u32_e32 v4, vcc_lo, 0, v4, vcc_lo
	;; [unrolled: 2-line block ×5, first 2 shown]
	s_add_u32 s10, s10, s15
	v_add_co_u32 v14, vcc_lo, v14, s12
	s_addc_u32 s11, s11, 0
	v_add_co_ci_u32_e32 v15, vcc_lo, 0, v15, vcc_lo
	v_cmp_ge_i64_e64 s0, s[10:11], s[6:7]
	v_cmp_lt_u64_e64 s1, 0xffff, s[10:11]
	v_add_co_u32 v19, vcc_lo, v19, s12
	v_add_co_ci_u32_e32 v20, vcc_lo, 0, v20, vcc_lo
	v_add_co_u32 v21, vcc_lo, v21, s12
	v_add_co_ci_u32_e32 v22, vcc_lo, 0, v22, vcc_lo
	s_or_b32 s0, s0, s1
	s_delay_alu instid0(SALU_CYCLE_1)
	s_and_b32 vcc_lo, exec_lo, s0
	s_cbranch_vccnz .LBB59_25
.LBB59_9:                               ; =>This Inner Loop Header: Depth=1
	s_waitcnt vmcnt(1)
	v_add_co_u32 v23, s0, v0, s10
	s_delay_alu instid0(VALU_DEP_1) | instskip(SKIP_2) | instid1(VALU_DEP_2)
	v_add_co_ci_u32_e64 v24, null, 0, s11, s0
	s_waitcnt vmcnt(0)
	v_mov_b32_e32 v25, 0
	v_cmp_gt_u64_e32 vcc_lo, s[8:9], v[23:24]
	v_mov_b32_e32 v23, 0
	s_and_saveexec_b32 s1, vcc_lo
	s_cbranch_execz .LBB59_11
; %bb.10:                               ;   in Loop: Header=BB59_9 Depth=1
	v_add_co_u32 v23, s0, v1, s4
	s_delay_alu instid0(VALU_DEP_1) | instskip(SKIP_1) | instid1(VALU_DEP_1)
	v_add_co_ci_u32_e64 v24, s0, s5, v2, s0
	v_add_co_u32 v25, s0, v3, s4
	v_add_co_ci_u32_e64 v26, s0, s5, v4, s0
	global_load_u16 v23, v[23:24], off
	global_load_u16 v25, v[25:26], off
.LBB59_11:                              ;   in Loop: Header=BB59_9 Depth=1
	s_or_b32 exec_lo, exec_lo, s1
	v_add_co_u32 v26, s0, v13, s10
	s_delay_alu instid0(VALU_DEP_1) | instskip(SKIP_1) | instid1(VALU_DEP_2)
	v_add_co_ci_u32_e64 v27, s0, s11, v16, s0
	v_mov_b32_e32 v24, 0
	v_cmp_gt_u64_e64 s0, s[8:9], v[26:27]
	v_dual_mov_b32 v27, 0 :: v_dual_mov_b32 v26, 0
	s_delay_alu instid0(VALU_DEP_2)
	s_and_saveexec_b32 s2, s0
	s_cbranch_execz .LBB59_13
; %bb.12:                               ;   in Loop: Header=BB59_9 Depth=1
	v_add_co_u32 v26, s1, v19, s4
	s_delay_alu instid0(VALU_DEP_1) | instskip(SKIP_1) | instid1(VALU_DEP_1)
	v_add_co_ci_u32_e64 v27, s1, s5, v20, s1
	v_add_co_u32 v28, s1, v21, s4
	v_add_co_ci_u32_e64 v29, s1, s5, v22, s1
	global_load_u16 v26, v[26:27], off
	global_load_u16 v27, v[28:29], off
.LBB59_13:                              ;   in Loop: Header=BB59_9 Depth=1
	s_or_b32 exec_lo, exec_lo, s2
	v_add_co_u32 v28, s1, v17, s10
	s_delay_alu instid0(VALU_DEP_1) | instskip(NEXT) | instid1(VALU_DEP_1)
	v_add_co_ci_u32_e64 v29, s1, s11, v18, s1
	v_cmp_gt_u64_e64 s1, s[8:9], v[28:29]
	v_mov_b32_e32 v28, 0
	s_delay_alu instid0(VALU_DEP_2)
	s_and_saveexec_b32 s3, s1
	s_cbranch_execz .LBB59_15
; %bb.14:                               ;   in Loop: Header=BB59_9 Depth=1
	v_add_co_u32 v28, s2, v11, s4
	s_delay_alu instid0(VALU_DEP_1) | instskip(SKIP_1) | instid1(VALU_DEP_1)
	v_add_co_ci_u32_e64 v29, s2, s5, v12, s2
	v_add_co_u32 v30, s2, v14, s4
	v_add_co_ci_u32_e64 v31, s2, s5, v15, s2
	global_load_u16 v24, v[28:29], off
	global_load_u16 v28, v[30:31], off
.LBB59_15:                              ;   in Loop: Header=BB59_9 Depth=1
	s_or_b32 exec_lo, exec_lo, s3
	v_add_co_u32 v29, s2, v9, s10
	s_delay_alu instid0(VALU_DEP_1) | instskip(NEXT) | instid1(VALU_DEP_1)
	v_add_co_ci_u32_e64 v30, s2, s11, v10, s2
	v_cmp_gt_u64_e64 s2, s[8:9], v[29:30]
	v_dual_mov_b32 v29, 0 :: v_dual_mov_b32 v30, 0
	s_delay_alu instid0(VALU_DEP_2)
	s_and_saveexec_b32 s13, s2
	s_cbranch_execnz .LBB59_20
; %bb.16:                               ;   in Loop: Header=BB59_9 Depth=1
	s_or_b32 exec_lo, exec_lo, s13
	s_and_saveexec_b32 s3, vcc_lo
	s_cbranch_execnz .LBB59_21
.LBB59_17:                              ;   in Loop: Header=BB59_9 Depth=1
	s_or_b32 exec_lo, exec_lo, s3
	s_and_saveexec_b32 s3, s0
	s_cbranch_execnz .LBB59_22
.LBB59_18:                              ;   in Loop: Header=BB59_9 Depth=1
	s_or_b32 exec_lo, exec_lo, s3
	s_and_saveexec_b32 s0, s1
	s_cbranch_execnz .LBB59_23
.LBB59_19:                              ;   in Loop: Header=BB59_9 Depth=1
	s_or_b32 exec_lo, exec_lo, s0
	s_and_saveexec_b32 s0, s2
	s_cbranch_execz .LBB59_8
	s_branch .LBB59_24
.LBB59_20:                              ;   in Loop: Header=BB59_9 Depth=1
	v_add_co_u32 v29, s3, v5, s4
	s_delay_alu instid0(VALU_DEP_1) | instskip(SKIP_1) | instid1(VALU_DEP_1)
	v_add_co_ci_u32_e64 v30, s3, s5, v6, s3
	v_add_co_u32 v31, s3, v7, s4
	v_add_co_ci_u32_e64 v32, s3, s5, v8, s3
	global_load_u16 v29, v[29:30], off
	global_load_u16 v30, v[31:32], off
	s_or_b32 exec_lo, exec_lo, s13
	s_and_saveexec_b32 s3, vcc_lo
	s_cbranch_execz .LBB59_17
.LBB59_21:                              ;   in Loop: Header=BB59_9 Depth=1
	s_waitcnt vmcnt(0)
	v_cvt_f32_f16_e32 v25, v25
	v_add_co_u32 v31, vcc_lo, v1, s4
	v_add_co_ci_u32_e32 v32, vcc_lo, s5, v2, vcc_lo
	s_delay_alu instid0(VALU_DEP_3) | instskip(NEXT) | instid1(VALU_DEP_1)
	v_mul_f32_e32 v25, s14, v25
	v_fma_mixlo_f16 v23, v25, v23, 0 op_sel_hi:[0,1,0]
	global_store_b16 v[31:32], v23, off
	s_or_b32 exec_lo, exec_lo, s3
	s_and_saveexec_b32 s3, s0
	s_cbranch_execz .LBB59_18
.LBB59_22:                              ;   in Loop: Header=BB59_9 Depth=1
	s_waitcnt vmcnt(0)
	v_cvt_f32_f16_e32 v23, v27
	v_add_co_u32 v25, vcc_lo, v19, s4
	s_delay_alu instid0(VALU_DEP_2) | instskip(NEXT) | instid1(VALU_DEP_1)
	v_mul_f32_e32 v23, s14, v23
	v_fma_mixlo_f16 v23, v23, v26, 0 op_sel_hi:[0,1,0]
	v_add_co_ci_u32_e32 v26, vcc_lo, s5, v20, vcc_lo
	global_store_b16 v[25:26], v23, off
	s_or_b32 exec_lo, exec_lo, s3
	s_and_saveexec_b32 s0, s1
	s_cbranch_execz .LBB59_19
.LBB59_23:                              ;   in Loop: Header=BB59_9 Depth=1
	s_waitcnt vmcnt(0)
	v_cvt_f32_f16_e32 v23, v28
	s_delay_alu instid0(VALU_DEP_1) | instskip(NEXT) | instid1(VALU_DEP_1)
	v_mul_f32_e32 v23, s14, v23
	v_fma_mixlo_f16 v25, v23, v24, 0 op_sel_hi:[0,1,0]
	v_add_co_u32 v23, vcc_lo, v11, s4
	v_add_co_ci_u32_e32 v24, vcc_lo, s5, v12, vcc_lo
	global_store_b16 v[23:24], v25, off
	s_or_b32 exec_lo, exec_lo, s0
	s_and_saveexec_b32 s0, s2
	s_cbranch_execz .LBB59_8
.LBB59_24:                              ;   in Loop: Header=BB59_9 Depth=1
	s_waitcnt vmcnt(0)
	v_cvt_f32_f16_e32 v23, v30
	s_delay_alu instid0(VALU_DEP_1) | instskip(NEXT) | instid1(VALU_DEP_1)
	v_mul_f32_e32 v23, s14, v23
	v_fma_mixlo_f16 v25, v23, v29, 0 op_sel_hi:[0,1,0]
	v_add_co_u32 v23, vcc_lo, v5, s4
	v_add_co_ci_u32_e32 v24, vcc_lo, s5, v6, vcc_lo
	global_store_b16 v[23:24], v25, off
	s_branch .LBB59_8
.LBB59_25:
	s_nop 0
	s_sendmsg sendmsg(MSG_DEALLOC_VGPRS)
	s_endpgm
	.section	.rodata,"a",@progbits
	.p2align	6, 0x0
	.amdhsa_kernel _ZN2at6native12_GLOBAL__N_125multi_tensor_apply_kernelINS1_18TensorListMetadataILi2EEENS1_24BinaryOpListAlphaFunctorIN3c104HalfELi2ELi2ELi0EEEJSt10multipliesIfEfEEEvT_T0_DpT1_
		.amdhsa_group_segment_fixed_size 0
		.amdhsa_private_segment_fixed_size 0
		.amdhsa_kernarg_size 3408
		.amdhsa_user_sgpr_count 15
		.amdhsa_user_sgpr_dispatch_ptr 0
		.amdhsa_user_sgpr_queue_ptr 0
		.amdhsa_user_sgpr_kernarg_segment_ptr 1
		.amdhsa_user_sgpr_dispatch_id 0
		.amdhsa_user_sgpr_private_segment_size 0
		.amdhsa_wavefront_size32 1
		.amdhsa_uses_dynamic_stack 0
		.amdhsa_enable_private_segment 0
		.amdhsa_system_sgpr_workgroup_id_x 1
		.amdhsa_system_sgpr_workgroup_id_y 0
		.amdhsa_system_sgpr_workgroup_id_z 0
		.amdhsa_system_sgpr_workgroup_info 0
		.amdhsa_system_vgpr_workitem_id 0
		.amdhsa_next_free_vgpr 33
		.amdhsa_next_free_sgpr 20
		.amdhsa_reserve_vcc 1
		.amdhsa_float_round_mode_32 0
		.amdhsa_float_round_mode_16_64 0
		.amdhsa_float_denorm_mode_32 3
		.amdhsa_float_denorm_mode_16_64 3
		.amdhsa_dx10_clamp 1
		.amdhsa_ieee_mode 1
		.amdhsa_fp16_overflow 0
		.amdhsa_workgroup_processor_mode 1
		.amdhsa_memory_ordered 1
		.amdhsa_forward_progress 0
		.amdhsa_shared_vgpr_count 0
		.amdhsa_exception_fp_ieee_invalid_op 0
		.amdhsa_exception_fp_denorm_src 0
		.amdhsa_exception_fp_ieee_div_zero 0
		.amdhsa_exception_fp_ieee_overflow 0
		.amdhsa_exception_fp_ieee_underflow 0
		.amdhsa_exception_fp_ieee_inexact 0
		.amdhsa_exception_int_div_zero 0
	.end_amdhsa_kernel
	.section	.text._ZN2at6native12_GLOBAL__N_125multi_tensor_apply_kernelINS1_18TensorListMetadataILi2EEENS1_24BinaryOpListAlphaFunctorIN3c104HalfELi2ELi2ELi0EEEJSt10multipliesIfEfEEEvT_T0_DpT1_,"axG",@progbits,_ZN2at6native12_GLOBAL__N_125multi_tensor_apply_kernelINS1_18TensorListMetadataILi2EEENS1_24BinaryOpListAlphaFunctorIN3c104HalfELi2ELi2ELi0EEEJSt10multipliesIfEfEEEvT_T0_DpT1_,comdat
.Lfunc_end59:
	.size	_ZN2at6native12_GLOBAL__N_125multi_tensor_apply_kernelINS1_18TensorListMetadataILi2EEENS1_24BinaryOpListAlphaFunctorIN3c104HalfELi2ELi2ELi0EEEJSt10multipliesIfEfEEEvT_T0_DpT1_, .Lfunc_end59-_ZN2at6native12_GLOBAL__N_125multi_tensor_apply_kernelINS1_18TensorListMetadataILi2EEENS1_24BinaryOpListAlphaFunctorIN3c104HalfELi2ELi2ELi0EEEJSt10multipliesIfEfEEEvT_T0_DpT1_
                                        ; -- End function
	.section	.AMDGPU.csdata,"",@progbits
; Kernel info:
; codeLenInByte = 1684
; NumSgprs: 22
; NumVgprs: 33
; ScratchSize: 0
; MemoryBound: 0
; FloatMode: 240
; IeeeMode: 1
; LDSByteSize: 0 bytes/workgroup (compile time only)
; SGPRBlocks: 2
; VGPRBlocks: 4
; NumSGPRsForWavesPerEU: 22
; NumVGPRsForWavesPerEU: 33
; Occupancy: 16
; WaveLimiterHint : 0
; COMPUTE_PGM_RSRC2:SCRATCH_EN: 0
; COMPUTE_PGM_RSRC2:USER_SGPR: 15
; COMPUTE_PGM_RSRC2:TRAP_HANDLER: 0
; COMPUTE_PGM_RSRC2:TGID_X_EN: 1
; COMPUTE_PGM_RSRC2:TGID_Y_EN: 0
; COMPUTE_PGM_RSRC2:TGID_Z_EN: 0
; COMPUTE_PGM_RSRC2:TIDIG_COMP_CNT: 0
	.section	.text._ZN2at6native12_GLOBAL__N_125multi_tensor_apply_kernelINS1_18TensorListMetadataILi3EEENS1_24BinaryOpListAlphaFunctorIhLi3ELi2ELi2EEEJSt10multipliesIhEhEEEvT_T0_DpT1_,"axG",@progbits,_ZN2at6native12_GLOBAL__N_125multi_tensor_apply_kernelINS1_18TensorListMetadataILi3EEENS1_24BinaryOpListAlphaFunctorIhLi3ELi2ELi2EEEJSt10multipliesIhEhEEEvT_T0_DpT1_,comdat
	.globl	_ZN2at6native12_GLOBAL__N_125multi_tensor_apply_kernelINS1_18TensorListMetadataILi3EEENS1_24BinaryOpListAlphaFunctorIhLi3ELi2ELi2EEEJSt10multipliesIhEhEEEvT_T0_DpT1_ ; -- Begin function _ZN2at6native12_GLOBAL__N_125multi_tensor_apply_kernelINS1_18TensorListMetadataILi3EEENS1_24BinaryOpListAlphaFunctorIhLi3ELi2ELi2EEEJSt10multipliesIhEhEEEvT_T0_DpT1_
	.p2align	8
	.type	_ZN2at6native12_GLOBAL__N_125multi_tensor_apply_kernelINS1_18TensorListMetadataILi3EEENS1_24BinaryOpListAlphaFunctorIhLi3ELi2ELi2EEEJSt10multipliesIhEhEEEvT_T0_DpT1_,@function
_ZN2at6native12_GLOBAL__N_125multi_tensor_apply_kernelINS1_18TensorListMetadataILi3EEENS1_24BinaryOpListAlphaFunctorIhLi3ELi2ELi2EEEJSt10multipliesIhEhEEEvT_T0_DpT1_: ; @_ZN2at6native12_GLOBAL__N_125multi_tensor_apply_kernelINS1_18TensorListMetadataILi3EEENS1_24BinaryOpListAlphaFunctorIhLi3ELi2ELi2EEEJSt10multipliesIhEhEEEvT_T0_DpT1_
; %bb.0:
	v_mov_b32_e32 v1, s15
	s_add_u32 s2, s0, s15
	s_mul_hi_u32 s3, s15, 3
	s_mul_i32 s15, s15, 3
	s_addc_u32 s4, s1, 0
	global_load_u8 v1, v1, s[0:1] offset:1536
	s_add_u32 s2, s2, s15
	s_addc_u32 s3, s4, s3
	s_load_b32 s2, s[2:3], 0x740
	s_waitcnt vmcnt(0)
	v_readfirstlane_b32 s3, v1
	s_delay_alu instid0(VALU_DEP_1)
	s_lshl_b32 s3, s3, 3
	s_clause 0x3
	s_load_b64 s[8:9], s[0:1], s3 offset:0x0
	s_load_b64 s[10:11], s[0:1], s3 offset:0x180
	;; [unrolled: 1-line block ×4, first 2 shown]
	s_waitcnt lgkmcnt(0)
	s_ashr_i32 s3, s2, 31
	s_delay_alu instid0(SALU_CYCLE_1)
	s_lshl_b64 s[14:15], s[2:3], 16
	s_load_b32 s3, s[0:1], 0xc48
	s_add_u32 s6, s8, s14
	s_addc_u32 s7, s9, s15
	s_add_u32 s16, s10, s14
	s_addc_u32 s17, s11, s15
	s_add_u32 s18, s12, s14
	s_addc_u32 s19, s13, s15
	s_or_b32 s2, s18, s16
	s_delay_alu instid0(SALU_CYCLE_1) | instskip(NEXT) | instid1(SALU_CYCLE_1)
	s_and_b32 s2, s2, 3
	s_cmp_lg_u32 s2, 0
	s_cselect_b32 s2, -1, 0
	s_sub_u32 s4, s20, s14
	s_subb_u32 s5, s21, s15
	s_or_b64 s[20:21], s[20:21], s[6:7]
	s_mov_b32 s21, 0
	s_and_b32 s20, s20, 3
	s_delay_alu instid0(SALU_CYCLE_1) | instskip(SKIP_1) | instid1(SALU_CYCLE_1)
	s_cmp_lg_u64 s[20:21], 0
	s_cselect_b32 s20, -1, 0
	s_or_b32 s2, s2, s20
	s_delay_alu instid0(SALU_CYCLE_1)
	s_and_not1_b32 vcc_lo, exec_lo, s2
	s_mov_b32 s2, -1
	s_cbranch_vccz .LBB60_5
; %bb.1:
	v_dual_mov_b32 v2, 0 :: v_dual_lshlrev_b32 v1, 2, v0
	s_mov_b32 s20, exec_lo
	s_delay_alu instid0(VALU_DEP_1)
	v_cmpx_gt_i64_e64 s[4:5], v[1:2]
	s_cbranch_execz .LBB60_4
; %bb.2:
	s_load_b32 s2, s[0:1], 0xc5c
	s_waitcnt lgkmcnt(0)
	s_lshr_b32 s23, s3, 16
	s_and_b32 s2, s2, 0xffff
	s_delay_alu instid0(SALU_CYCLE_1)
	s_lshl_b32 s22, s2, 2
.LBB60_3:                               ; =>This Inner Loop Header: Depth=1
	v_add_co_u32 v3, vcc_lo, s6, v1
	v_add_co_ci_u32_e32 v4, vcc_lo, s7, v2, vcc_lo
	v_add_co_u32 v5, vcc_lo, s16, v1
	v_add_co_ci_u32_e32 v6, vcc_lo, s17, v2, vcc_lo
	global_load_b32 v7, v[3:4], off
	global_load_b32 v5, v[5:6], off
	v_add_co_u32 v3, vcc_lo, s18, v1
	v_add_co_ci_u32_e32 v4, vcc_lo, s19, v2, vcc_lo
	v_add_co_u32 v1, vcc_lo, s22, v1
	v_add_co_ci_u32_e32 v2, vcc_lo, 0, v2, vcc_lo
	s_delay_alu instid0(VALU_DEP_1) | instskip(SKIP_1) | instid1(VALU_DEP_1)
	v_cmp_le_i64_e32 vcc_lo, s[4:5], v[1:2]
	v_cmp_lt_u64_e64 s2, 0xffff, v[1:2]
	s_or_b32 s2, vcc_lo, s2
	s_delay_alu instid0(SALU_CYCLE_1) | instskip(NEXT) | instid1(SALU_CYCLE_1)
	s_and_b32 s2, exec_lo, s2
	s_or_b32 s21, s2, s21
	s_waitcnt vmcnt(1)
	v_lshrrev_b32_e32 v8, 8, v7
	v_lshrrev_b32_e32 v9, 16, v7
	v_mul_lo_u16 v6, v7, s23
	s_waitcnt vmcnt(0)
	v_lshrrev_b32_e32 v10, 8, v5
	v_lshrrev_b32_e32 v11, 16, v5
	;; [unrolled: 1-line block ×3, first 2 shown]
	v_mul_lo_u16 v8, v8, s23
	v_mul_lo_u16 v9, v9, s23
	v_lshrrev_b32_e32 v12, 24, v5
	v_mul_lo_u16 v5, v6, v5
	v_mul_lo_u16 v7, v7, s23
	;; [unrolled: 1-line block ×4, first 2 shown]
	s_delay_alu instid0(VALU_DEP_3) | instskip(NEXT) | instid1(VALU_DEP_3)
	v_mul_lo_u16 v6, v7, v12
	v_and_b32_e32 v7, 0xff, v8
	s_delay_alu instid0(VALU_DEP_3) | instskip(NEXT) | instid1(VALU_DEP_3)
	v_and_b32_e32 v8, 0xff, v9
	v_lshlrev_b32_e32 v6, 24, v6
	s_delay_alu instid0(VALU_DEP_3) | instskip(NEXT) | instid1(VALU_DEP_3)
	v_perm_b32 v5, v7, v5, 0x6050400
	v_lshlrev_b32_e32 v7, 16, v8
	s_delay_alu instid0(VALU_DEP_1)
	v_or3_b32 v5, v5, v7, v6
	global_store_b32 v[3:4], v5, off
	s_and_not1_b32 exec_lo, exec_lo, s21
	s_cbranch_execnz .LBB60_3
.LBB60_4:
	s_or_b32 exec_lo, exec_lo, s20
	s_mov_b32 s2, 0
.LBB60_5:
	s_delay_alu instid0(SALU_CYCLE_1)
	s_and_not1_b32 vcc_lo, exec_lo, s2
	s_cbranch_vccnz .LBB60_25
; %bb.6:
	v_cmp_lt_i64_e64 s2, s[4:5], 1
	s_delay_alu instid0(VALU_DEP_1)
	s_and_b32 vcc_lo, exec_lo, s2
	s_cbranch_vccnz .LBB60_25
; %bb.7:
	s_load_b32 s0, s[0:1], 0xc5c
	v_add_co_u32 v21, s1, s14, v0
	s_delay_alu instid0(VALU_DEP_1) | instskip(SKIP_1) | instid1(VALU_DEP_3)
	v_add_co_ci_u32_e64 v22, null, s15, 0, s1
	v_cmp_gt_u64_e64 s1, 0x10000, s[4:5]
	v_add_co_u32 v1, vcc_lo, s8, v21
	s_delay_alu instid0(VALU_DEP_3)
	v_add_co_ci_u32_e32 v2, vcc_lo, s9, v22, vcc_lo
	v_add_co_u32 v3, vcc_lo, s10, v21
	v_add_co_ci_u32_e32 v4, vcc_lo, s11, v22, vcc_lo
	v_add_co_u32 v5, vcc_lo, s12, v21
	v_add_co_ci_u32_e32 v6, vcc_lo, s13, v22, vcc_lo
	s_waitcnt lgkmcnt(0)
	s_and_b32 s0, s0, 0xffff
	s_and_b32 s1, s1, exec_lo
	s_mul_i32 s2, s0, 3
	s_cselect_b32 s7, s5, 0
	s_cselect_b32 s6, s4, 0x10000
	s_lshl_b32 s1, s0, 1
	s_lshl_b32 s16, s0, 2
	s_add_u32 s17, s14, s2
	s_addc_u32 s18, s15, 0
	v_add_co_u32 v11, s17, s17, v0
	s_delay_alu instid0(VALU_DEP_1) | instskip(SKIP_1) | instid1(VALU_DEP_2)
	v_add_co_ci_u32_e64 v12, null, s18, 0, s17
	s_add_u32 s14, s14, s1
	v_add_co_u32 v7, vcc_lo, s8, v11
	s_delay_alu instid0(VALU_DEP_2)
	v_add_co_ci_u32_e32 v8, vcc_lo, s9, v12, vcc_lo
	v_add_co_u32 v9, vcc_lo, s10, v11
	s_addc_u32 s15, s15, 0
	v_add_co_u32 v19, s14, s14, v0
	v_add_co_ci_u32_e32 v10, vcc_lo, s11, v12, vcc_lo
	v_add_co_u32 v11, vcc_lo, s12, v11
	v_add_co_ci_u32_e64 v20, null, s15, 0, s14
	v_add_co_ci_u32_e32 v12, vcc_lo, s13, v12, vcc_lo
	v_add_co_u32 v15, vcc_lo, s8, v19
	s_delay_alu instid0(VALU_DEP_3)
	v_add_co_ci_u32_e32 v16, vcc_lo, s9, v20, vcc_lo
	v_add_co_u32 v17, vcc_lo, s10, v19
	v_add_co_ci_u32_e32 v18, vcc_lo, s11, v20, vcc_lo
	v_add_co_u32 v19, vcc_lo, s12, v19
	;; [unrolled: 2-line block ×3, first 2 shown]
	v_add_co_ci_u32_e32 v28, vcc_lo, 0, v22, vcc_lo
	v_add_co_u32 v13, s2, s2, v0
	s_delay_alu instid0(VALU_DEP_3) | instskip(NEXT) | instid1(VALU_DEP_3)
	v_add_co_u32 v23, vcc_lo, s8, v27
	v_add_co_ci_u32_e32 v24, vcc_lo, s9, v28, vcc_lo
	v_add_co_u32 v25, vcc_lo, s10, v27
	v_add_co_ci_u32_e32 v26, vcc_lo, s11, v28, vcc_lo
	v_add_co_u32 v21, s1, s1, v0
	v_add_co_u32 v27, vcc_lo, s12, v27
	v_add_co_u32 v29, s0, v0, s0
	v_add_co_ci_u32_e64 v14, null, 0, 0, s2
	v_add_co_ci_u32_e64 v22, null, 0, 0, s1
	v_add_co_ci_u32_e32 v28, vcc_lo, s13, v28, vcc_lo
	v_add_co_ci_u32_e64 v30, null, 0, 0, s0
	s_mov_b64 s[8:9], 0
	s_lshr_b32 s10, s3, 16
	s_branch .LBB60_9
.LBB60_8:                               ;   in Loop: Header=BB60_9 Depth=1
	s_or_b32 exec_lo, exec_lo, s0
	s_add_u32 s8, s8, s16
	s_addc_u32 s9, s9, 0
	s_delay_alu instid0(SALU_CYCLE_1) | instskip(SKIP_1) | instid1(VALU_DEP_1)
	v_cmp_ge_i64_e64 s0, s[8:9], s[4:5]
	v_cmp_lt_u64_e64 s1, 0xffff, s[8:9]
	s_or_b32 s0, s0, s1
	s_delay_alu instid0(SALU_CYCLE_1)
	s_and_b32 vcc_lo, exec_lo, s0
	s_cbranch_vccnz .LBB60_25
.LBB60_9:                               ; =>This Inner Loop Header: Depth=1
	s_waitcnt vmcnt(0)
	v_add_co_u32 v33, s0, v0, s8
	s_delay_alu instid0(VALU_DEP_1) | instskip(SKIP_1) | instid1(VALU_DEP_2)
	v_add_co_ci_u32_e64 v34, null, 0, s9, s0
	v_dual_mov_b32 v32, 0 :: v_dual_mov_b32 v31, 0
	v_cmp_gt_u64_e32 vcc_lo, s[6:7], v[33:34]
	v_mov_b32_e32 v33, 0
	s_and_saveexec_b32 s1, vcc_lo
	s_cbranch_execz .LBB60_11
; %bb.10:                               ;   in Loop: Header=BB60_9 Depth=1
	v_add_co_u32 v33, s0, v1, s8
	s_delay_alu instid0(VALU_DEP_1) | instskip(SKIP_1) | instid1(VALU_DEP_1)
	v_add_co_ci_u32_e64 v34, s0, s9, v2, s0
	v_add_co_u32 v35, s0, v3, s8
	v_add_co_ci_u32_e64 v36, s0, s9, v4, s0
	global_load_u8 v31, v[33:34], off
	global_load_u8 v33, v[35:36], off
.LBB60_11:                              ;   in Loop: Header=BB60_9 Depth=1
	s_or_b32 exec_lo, exec_lo, s1
	v_add_co_u32 v34, s0, v29, s8
	s_delay_alu instid0(VALU_DEP_1) | instskip(NEXT) | instid1(VALU_DEP_1)
	v_add_co_ci_u32_e64 v35, s0, s9, v30, s0
	v_cmp_gt_u64_e64 s0, s[6:7], v[34:35]
	s_delay_alu instid0(VALU_DEP_1)
	s_and_saveexec_b32 s2, s0
	s_cbranch_execz .LBB60_13
; %bb.12:                               ;   in Loop: Header=BB60_9 Depth=1
	v_add_co_u32 v34, s1, v23, s8
	s_delay_alu instid0(VALU_DEP_1) | instskip(SKIP_2) | instid1(VALU_DEP_1)
	v_add_co_ci_u32_e64 v35, s1, s9, v24, s1
	global_load_u8 v36, v[34:35], off
	v_add_co_u32 v34, s1, v25, s8
	v_add_co_ci_u32_e64 v35, s1, s9, v26, s1
	global_load_u8 v32, v[34:35], off
	s_waitcnt vmcnt(1)
	v_lshl_or_b32 v31, v36, 8, v31
.LBB60_13:                              ;   in Loop: Header=BB60_9 Depth=1
	s_or_b32 exec_lo, exec_lo, s2
	v_add_co_u32 v34, s1, v21, s8
	s_delay_alu instid0(VALU_DEP_1) | instskip(NEXT) | instid1(VALU_DEP_1)
	v_add_co_ci_u32_e64 v35, s1, s9, v22, s1
	v_cmp_gt_u64_e64 s1, s[6:7], v[34:35]
	v_dual_mov_b32 v34, 0 :: v_dual_mov_b32 v35, 0
	s_delay_alu instid0(VALU_DEP_2)
	s_and_saveexec_b32 s3, s1
	s_cbranch_execz .LBB60_15
; %bb.14:                               ;   in Loop: Header=BB60_9 Depth=1
	v_add_co_u32 v35, s2, v15, s8
	s_delay_alu instid0(VALU_DEP_1) | instskip(SKIP_2) | instid1(VALU_DEP_1)
	v_add_co_ci_u32_e64 v36, s2, s9, v16, s2
	global_load_u8 v37, v[35:36], off
	v_add_co_u32 v35, s2, v17, s8
	v_add_co_ci_u32_e64 v36, s2, s9, v18, s2
	global_load_u8 v35, v[35:36], off
	s_waitcnt vmcnt(1)
	v_lshl_or_b32 v31, v37, 16, v31
.LBB60_15:                              ;   in Loop: Header=BB60_9 Depth=1
	s_or_b32 exec_lo, exec_lo, s3
	v_add_co_u32 v36, s2, v13, s8
	s_delay_alu instid0(VALU_DEP_1) | instskip(NEXT) | instid1(VALU_DEP_1)
	v_add_co_ci_u32_e64 v37, s2, s9, v14, s2
	v_cmp_gt_u64_e64 s2, s[6:7], v[36:37]
	s_delay_alu instid0(VALU_DEP_1)
	s_and_saveexec_b32 s11, s2
	s_cbranch_execnz .LBB60_20
; %bb.16:                               ;   in Loop: Header=BB60_9 Depth=1
	s_or_b32 exec_lo, exec_lo, s11
	s_and_saveexec_b32 s3, vcc_lo
	s_cbranch_execnz .LBB60_21
.LBB60_17:                              ;   in Loop: Header=BB60_9 Depth=1
	s_or_b32 exec_lo, exec_lo, s3
	s_and_saveexec_b32 s3, s0
	s_cbranch_execnz .LBB60_22
.LBB60_18:                              ;   in Loop: Header=BB60_9 Depth=1
	s_or_b32 exec_lo, exec_lo, s3
	s_and_saveexec_b32 s0, s1
	s_cbranch_execnz .LBB60_23
.LBB60_19:                              ;   in Loop: Header=BB60_9 Depth=1
	s_or_b32 exec_lo, exec_lo, s0
	s_and_saveexec_b32 s0, s2
	s_cbranch_execz .LBB60_8
	s_branch .LBB60_24
.LBB60_20:                              ;   in Loop: Header=BB60_9 Depth=1
	v_add_co_u32 v36, s3, v7, s8
	s_delay_alu instid0(VALU_DEP_1) | instskip(SKIP_2) | instid1(VALU_DEP_1)
	v_add_co_ci_u32_e64 v37, s3, s9, v8, s3
	global_load_u8 v38, v[36:37], off
	v_add_co_u32 v36, s3, v9, s8
	v_add_co_ci_u32_e64 v37, s3, s9, v10, s3
	global_load_u8 v34, v[36:37], off
	s_waitcnt vmcnt(1)
	v_lshl_or_b32 v31, v38, 24, v31
	s_or_b32 exec_lo, exec_lo, s11
	s_and_saveexec_b32 s3, vcc_lo
	s_cbranch_execz .LBB60_17
.LBB60_21:                              ;   in Loop: Header=BB60_9 Depth=1
	s_waitcnt vmcnt(0)
	v_mul_lo_u16 v33, v33, s10
	v_add_co_u32 v36, vcc_lo, v5, s8
	v_add_co_ci_u32_e32 v37, vcc_lo, s9, v6, vcc_lo
	s_delay_alu instid0(VALU_DEP_3)
	v_mul_lo_u16 v33, v33, v31
	global_store_b8 v[36:37], v33, off
	s_or_b32 exec_lo, exec_lo, s3
	s_and_saveexec_b32 s3, s0
	s_cbranch_execz .LBB60_18
.LBB60_22:                              ;   in Loop: Header=BB60_9 Depth=1
	s_waitcnt vmcnt(0)
	v_lshrrev_b32_e32 v33, 8, v31
	v_mul_lo_u16 v32, v32, s10
	s_delay_alu instid0(VALU_DEP_1)
	v_mul_lo_u16 v36, v32, v33
	v_add_co_u32 v32, vcc_lo, v27, s8
	v_add_co_ci_u32_e32 v33, vcc_lo, s9, v28, vcc_lo
	global_store_b8 v[32:33], v36, off
	s_or_b32 exec_lo, exec_lo, s3
	s_and_saveexec_b32 s0, s1
	s_cbranch_execz .LBB60_19
.LBB60_23:                              ;   in Loop: Header=BB60_9 Depth=1
	s_waitcnt vmcnt(0)
	v_lshrrev_b32_e32 v32, 16, v31
	v_mul_lo_u16 v33, v35, s10
	s_delay_alu instid0(VALU_DEP_1)
	v_mul_lo_u16 v35, v33, v32
	v_add_co_u32 v32, vcc_lo, v19, s8
	v_add_co_ci_u32_e32 v33, vcc_lo, s9, v20, vcc_lo
	global_store_b8 v[32:33], v35, off
	s_or_b32 exec_lo, exec_lo, s0
	s_and_saveexec_b32 s0, s2
	s_cbranch_execz .LBB60_8
.LBB60_24:                              ;   in Loop: Header=BB60_9 Depth=1
	s_waitcnt vmcnt(1)
	v_lshrrev_b32_e32 v31, 24, v31
	s_waitcnt vmcnt(0)
	v_mul_lo_u16 v32, v34, s10
	s_delay_alu instid0(VALU_DEP_1)
	v_mul_lo_u16 v33, v32, v31
	v_add_co_u32 v31, vcc_lo, v11, s8
	v_add_co_ci_u32_e32 v32, vcc_lo, s9, v12, vcc_lo
	global_store_b8 v[31:32], v33, off
	s_branch .LBB60_8
.LBB60_25:
	s_nop 0
	s_sendmsg sendmsg(MSG_DEALLOC_VGPRS)
	s_endpgm
	.section	.rodata,"a",@progbits
	.p2align	6, 0x0
	.amdhsa_kernel _ZN2at6native12_GLOBAL__N_125multi_tensor_apply_kernelINS1_18TensorListMetadataILi3EEENS1_24BinaryOpListAlphaFunctorIhLi3ELi2ELi2EEEJSt10multipliesIhEhEEEvT_T0_DpT1_
		.amdhsa_group_segment_fixed_size 0
		.amdhsa_private_segment_fixed_size 0
		.amdhsa_kernarg_size 3408
		.amdhsa_user_sgpr_count 15
		.amdhsa_user_sgpr_dispatch_ptr 0
		.amdhsa_user_sgpr_queue_ptr 0
		.amdhsa_user_sgpr_kernarg_segment_ptr 1
		.amdhsa_user_sgpr_dispatch_id 0
		.amdhsa_user_sgpr_private_segment_size 0
		.amdhsa_wavefront_size32 1
		.amdhsa_uses_dynamic_stack 0
		.amdhsa_enable_private_segment 0
		.amdhsa_system_sgpr_workgroup_id_x 1
		.amdhsa_system_sgpr_workgroup_id_y 0
		.amdhsa_system_sgpr_workgroup_id_z 0
		.amdhsa_system_sgpr_workgroup_info 0
		.amdhsa_system_vgpr_workitem_id 0
		.amdhsa_next_free_vgpr 39
		.amdhsa_next_free_sgpr 24
		.amdhsa_reserve_vcc 1
		.amdhsa_float_round_mode_32 0
		.amdhsa_float_round_mode_16_64 0
		.amdhsa_float_denorm_mode_32 3
		.amdhsa_float_denorm_mode_16_64 3
		.amdhsa_dx10_clamp 1
		.amdhsa_ieee_mode 1
		.amdhsa_fp16_overflow 0
		.amdhsa_workgroup_processor_mode 1
		.amdhsa_memory_ordered 1
		.amdhsa_forward_progress 0
		.amdhsa_shared_vgpr_count 0
		.amdhsa_exception_fp_ieee_invalid_op 0
		.amdhsa_exception_fp_denorm_src 0
		.amdhsa_exception_fp_ieee_div_zero 0
		.amdhsa_exception_fp_ieee_overflow 0
		.amdhsa_exception_fp_ieee_underflow 0
		.amdhsa_exception_fp_ieee_inexact 0
		.amdhsa_exception_int_div_zero 0
	.end_amdhsa_kernel
	.section	.text._ZN2at6native12_GLOBAL__N_125multi_tensor_apply_kernelINS1_18TensorListMetadataILi3EEENS1_24BinaryOpListAlphaFunctorIhLi3ELi2ELi2EEEJSt10multipliesIhEhEEEvT_T0_DpT1_,"axG",@progbits,_ZN2at6native12_GLOBAL__N_125multi_tensor_apply_kernelINS1_18TensorListMetadataILi3EEENS1_24BinaryOpListAlphaFunctorIhLi3ELi2ELi2EEEJSt10multipliesIhEhEEEvT_T0_DpT1_,comdat
.Lfunc_end60:
	.size	_ZN2at6native12_GLOBAL__N_125multi_tensor_apply_kernelINS1_18TensorListMetadataILi3EEENS1_24BinaryOpListAlphaFunctorIhLi3ELi2ELi2EEEJSt10multipliesIhEhEEEvT_T0_DpT1_, .Lfunc_end60-_ZN2at6native12_GLOBAL__N_125multi_tensor_apply_kernelINS1_18TensorListMetadataILi3EEENS1_24BinaryOpListAlphaFunctorIhLi3ELi2ELi2EEEJSt10multipliesIhEhEEEvT_T0_DpT1_
                                        ; -- End function
	.section	.AMDGPU.csdata,"",@progbits
; Kernel info:
; codeLenInByte = 1744
; NumSgprs: 26
; NumVgprs: 39
; ScratchSize: 0
; MemoryBound: 0
; FloatMode: 240
; IeeeMode: 1
; LDSByteSize: 0 bytes/workgroup (compile time only)
; SGPRBlocks: 3
; VGPRBlocks: 4
; NumSGPRsForWavesPerEU: 26
; NumVGPRsForWavesPerEU: 39
; Occupancy: 16
; WaveLimiterHint : 0
; COMPUTE_PGM_RSRC2:SCRATCH_EN: 0
; COMPUTE_PGM_RSRC2:USER_SGPR: 15
; COMPUTE_PGM_RSRC2:TRAP_HANDLER: 0
; COMPUTE_PGM_RSRC2:TGID_X_EN: 1
; COMPUTE_PGM_RSRC2:TGID_Y_EN: 0
; COMPUTE_PGM_RSRC2:TGID_Z_EN: 0
; COMPUTE_PGM_RSRC2:TIDIG_COMP_CNT: 0
	.section	.text._ZN2at6native12_GLOBAL__N_125multi_tensor_apply_kernelINS1_18TensorListMetadataILi3EEENS1_24BinaryOpListAlphaFunctorIaLi3ELi2ELi2EEEJSt10multipliesIaEaEEEvT_T0_DpT1_,"axG",@progbits,_ZN2at6native12_GLOBAL__N_125multi_tensor_apply_kernelINS1_18TensorListMetadataILi3EEENS1_24BinaryOpListAlphaFunctorIaLi3ELi2ELi2EEEJSt10multipliesIaEaEEEvT_T0_DpT1_,comdat
	.globl	_ZN2at6native12_GLOBAL__N_125multi_tensor_apply_kernelINS1_18TensorListMetadataILi3EEENS1_24BinaryOpListAlphaFunctorIaLi3ELi2ELi2EEEJSt10multipliesIaEaEEEvT_T0_DpT1_ ; -- Begin function _ZN2at6native12_GLOBAL__N_125multi_tensor_apply_kernelINS1_18TensorListMetadataILi3EEENS1_24BinaryOpListAlphaFunctorIaLi3ELi2ELi2EEEJSt10multipliesIaEaEEEvT_T0_DpT1_
	.p2align	8
	.type	_ZN2at6native12_GLOBAL__N_125multi_tensor_apply_kernelINS1_18TensorListMetadataILi3EEENS1_24BinaryOpListAlphaFunctorIaLi3ELi2ELi2EEEJSt10multipliesIaEaEEEvT_T0_DpT1_,@function
_ZN2at6native12_GLOBAL__N_125multi_tensor_apply_kernelINS1_18TensorListMetadataILi3EEENS1_24BinaryOpListAlphaFunctorIaLi3ELi2ELi2EEEJSt10multipliesIaEaEEEvT_T0_DpT1_: ; @_ZN2at6native12_GLOBAL__N_125multi_tensor_apply_kernelINS1_18TensorListMetadataILi3EEENS1_24BinaryOpListAlphaFunctorIaLi3ELi2ELi2EEEJSt10multipliesIaEaEEEvT_T0_DpT1_
; %bb.0:
	v_mov_b32_e32 v1, s15
	s_add_u32 s2, s0, s15
	s_mul_hi_u32 s3, s15, 3
	s_mul_i32 s15, s15, 3
	s_addc_u32 s4, s1, 0
	global_load_u8 v1, v1, s[0:1] offset:1536
	s_add_u32 s2, s2, s15
	s_addc_u32 s3, s4, s3
	s_load_b32 s2, s[2:3], 0x740
	s_waitcnt vmcnt(0)
	v_readfirstlane_b32 s3, v1
	s_delay_alu instid0(VALU_DEP_1)
	s_lshl_b32 s3, s3, 3
	s_clause 0x3
	s_load_b64 s[8:9], s[0:1], s3 offset:0x0
	s_load_b64 s[10:11], s[0:1], s3 offset:0x180
	;; [unrolled: 1-line block ×4, first 2 shown]
	s_waitcnt lgkmcnt(0)
	s_ashr_i32 s3, s2, 31
	s_delay_alu instid0(SALU_CYCLE_1)
	s_lshl_b64 s[14:15], s[2:3], 16
	s_load_b32 s3, s[0:1], 0xc48
	s_add_u32 s6, s8, s14
	s_addc_u32 s7, s9, s15
	s_add_u32 s16, s10, s14
	s_addc_u32 s17, s11, s15
	;; [unrolled: 2-line block ×3, first 2 shown]
	s_or_b32 s2, s18, s16
	s_delay_alu instid0(SALU_CYCLE_1) | instskip(NEXT) | instid1(SALU_CYCLE_1)
	s_and_b32 s2, s2, 3
	s_cmp_lg_u32 s2, 0
	s_cselect_b32 s2, -1, 0
	s_sub_u32 s4, s20, s14
	s_subb_u32 s5, s21, s15
	s_or_b64 s[20:21], s[20:21], s[6:7]
	s_mov_b32 s21, 0
	s_and_b32 s20, s20, 3
	s_delay_alu instid0(SALU_CYCLE_1) | instskip(SKIP_1) | instid1(SALU_CYCLE_1)
	s_cmp_lg_u64 s[20:21], 0
	s_cselect_b32 s20, -1, 0
	s_or_b32 s2, s2, s20
	s_delay_alu instid0(SALU_CYCLE_1)
	s_and_not1_b32 vcc_lo, exec_lo, s2
	s_mov_b32 s2, -1
	s_cbranch_vccz .LBB61_5
; %bb.1:
	v_dual_mov_b32 v2, 0 :: v_dual_lshlrev_b32 v1, 2, v0
	s_mov_b32 s20, exec_lo
	s_delay_alu instid0(VALU_DEP_1)
	v_cmpx_gt_i64_e64 s[4:5], v[1:2]
	s_cbranch_execz .LBB61_4
; %bb.2:
	s_load_b32 s2, s[0:1], 0xc5c
	s_waitcnt lgkmcnt(0)
	s_lshr_b32 s23, s3, 16
	s_and_b32 s2, s2, 0xffff
	s_delay_alu instid0(SALU_CYCLE_1)
	s_lshl_b32 s22, s2, 2
.LBB61_3:                               ; =>This Inner Loop Header: Depth=1
	v_add_co_u32 v3, vcc_lo, s6, v1
	v_add_co_ci_u32_e32 v4, vcc_lo, s7, v2, vcc_lo
	v_add_co_u32 v5, vcc_lo, s16, v1
	v_add_co_ci_u32_e32 v6, vcc_lo, s17, v2, vcc_lo
	global_load_b32 v7, v[3:4], off
	global_load_b32 v5, v[5:6], off
	v_add_co_u32 v3, vcc_lo, s18, v1
	v_add_co_ci_u32_e32 v4, vcc_lo, s19, v2, vcc_lo
	v_add_co_u32 v1, vcc_lo, s22, v1
	v_add_co_ci_u32_e32 v2, vcc_lo, 0, v2, vcc_lo
	s_delay_alu instid0(VALU_DEP_1) | instskip(SKIP_1) | instid1(VALU_DEP_1)
	v_cmp_le_i64_e32 vcc_lo, s[4:5], v[1:2]
	v_cmp_lt_u64_e64 s2, 0xffff, v[1:2]
	s_or_b32 s2, vcc_lo, s2
	s_delay_alu instid0(SALU_CYCLE_1) | instskip(NEXT) | instid1(SALU_CYCLE_1)
	s_and_b32 s2, exec_lo, s2
	s_or_b32 s21, s2, s21
	s_waitcnt vmcnt(1)
	v_lshrrev_b32_e32 v8, 8, v7
	v_lshrrev_b32_e32 v9, 16, v7
	v_mul_lo_u16 v6, v7, s23
	s_waitcnt vmcnt(0)
	v_lshrrev_b32_e32 v10, 8, v5
	v_lshrrev_b32_e32 v11, 16, v5
	;; [unrolled: 1-line block ×3, first 2 shown]
	v_mul_lo_u16 v8, v8, s23
	v_mul_lo_u16 v9, v9, s23
	v_lshrrev_b32_e32 v12, 24, v5
	v_mul_lo_u16 v5, v6, v5
	v_mul_lo_u16 v7, v7, s23
	v_mul_lo_u16 v8, v8, v10
	v_mul_lo_u16 v9, v9, v11
	s_delay_alu instid0(VALU_DEP_3) | instskip(NEXT) | instid1(VALU_DEP_3)
	v_mul_lo_u16 v6, v7, v12
	v_and_b32_e32 v7, 0xff, v8
	s_delay_alu instid0(VALU_DEP_3) | instskip(NEXT) | instid1(VALU_DEP_3)
	v_and_b32_e32 v8, 0xff, v9
	v_lshlrev_b32_e32 v6, 24, v6
	s_delay_alu instid0(VALU_DEP_3) | instskip(NEXT) | instid1(VALU_DEP_3)
	v_perm_b32 v5, v7, v5, 0x6050400
	v_lshlrev_b32_e32 v7, 16, v8
	s_delay_alu instid0(VALU_DEP_1)
	v_or3_b32 v5, v5, v7, v6
	global_store_b32 v[3:4], v5, off
	s_and_not1_b32 exec_lo, exec_lo, s21
	s_cbranch_execnz .LBB61_3
.LBB61_4:
	s_or_b32 exec_lo, exec_lo, s20
	s_mov_b32 s2, 0
.LBB61_5:
	s_delay_alu instid0(SALU_CYCLE_1)
	s_and_not1_b32 vcc_lo, exec_lo, s2
	s_cbranch_vccnz .LBB61_25
; %bb.6:
	v_cmp_lt_i64_e64 s2, s[4:5], 1
	s_delay_alu instid0(VALU_DEP_1)
	s_and_b32 vcc_lo, exec_lo, s2
	s_cbranch_vccnz .LBB61_25
; %bb.7:
	s_load_b32 s0, s[0:1], 0xc5c
	v_add_co_u32 v21, s1, s14, v0
	s_delay_alu instid0(VALU_DEP_1) | instskip(SKIP_1) | instid1(VALU_DEP_3)
	v_add_co_ci_u32_e64 v22, null, s15, 0, s1
	v_cmp_gt_u64_e64 s1, 0x10000, s[4:5]
	v_add_co_u32 v1, vcc_lo, s8, v21
	s_delay_alu instid0(VALU_DEP_3)
	v_add_co_ci_u32_e32 v2, vcc_lo, s9, v22, vcc_lo
	v_add_co_u32 v3, vcc_lo, s10, v21
	v_add_co_ci_u32_e32 v4, vcc_lo, s11, v22, vcc_lo
	v_add_co_u32 v5, vcc_lo, s12, v21
	v_add_co_ci_u32_e32 v6, vcc_lo, s13, v22, vcc_lo
	s_waitcnt lgkmcnt(0)
	s_and_b32 s0, s0, 0xffff
	s_and_b32 s1, s1, exec_lo
	s_mul_i32 s2, s0, 3
	s_cselect_b32 s7, s5, 0
	s_cselect_b32 s6, s4, 0x10000
	s_lshl_b32 s1, s0, 1
	s_lshl_b32 s16, s0, 2
	s_add_u32 s17, s14, s2
	s_addc_u32 s18, s15, 0
	v_add_co_u32 v11, s17, s17, v0
	s_delay_alu instid0(VALU_DEP_1) | instskip(SKIP_1) | instid1(VALU_DEP_2)
	v_add_co_ci_u32_e64 v12, null, s18, 0, s17
	s_add_u32 s14, s14, s1
	v_add_co_u32 v7, vcc_lo, s8, v11
	s_delay_alu instid0(VALU_DEP_2)
	v_add_co_ci_u32_e32 v8, vcc_lo, s9, v12, vcc_lo
	v_add_co_u32 v9, vcc_lo, s10, v11
	s_addc_u32 s15, s15, 0
	v_add_co_u32 v19, s14, s14, v0
	v_add_co_ci_u32_e32 v10, vcc_lo, s11, v12, vcc_lo
	v_add_co_u32 v11, vcc_lo, s12, v11
	v_add_co_ci_u32_e64 v20, null, s15, 0, s14
	v_add_co_ci_u32_e32 v12, vcc_lo, s13, v12, vcc_lo
	v_add_co_u32 v15, vcc_lo, s8, v19
	s_delay_alu instid0(VALU_DEP_3)
	v_add_co_ci_u32_e32 v16, vcc_lo, s9, v20, vcc_lo
	v_add_co_u32 v17, vcc_lo, s10, v19
	v_add_co_ci_u32_e32 v18, vcc_lo, s11, v20, vcc_lo
	v_add_co_u32 v19, vcc_lo, s12, v19
	;; [unrolled: 2-line block ×3, first 2 shown]
	v_add_co_ci_u32_e32 v28, vcc_lo, 0, v22, vcc_lo
	v_add_co_u32 v13, s2, s2, v0
	s_delay_alu instid0(VALU_DEP_3) | instskip(NEXT) | instid1(VALU_DEP_3)
	v_add_co_u32 v23, vcc_lo, s8, v27
	v_add_co_ci_u32_e32 v24, vcc_lo, s9, v28, vcc_lo
	v_add_co_u32 v25, vcc_lo, s10, v27
	v_add_co_ci_u32_e32 v26, vcc_lo, s11, v28, vcc_lo
	v_add_co_u32 v21, s1, s1, v0
	v_add_co_u32 v27, vcc_lo, s12, v27
	v_add_co_u32 v29, s0, v0, s0
	v_add_co_ci_u32_e64 v14, null, 0, 0, s2
	v_add_co_ci_u32_e64 v22, null, 0, 0, s1
	v_add_co_ci_u32_e32 v28, vcc_lo, s13, v28, vcc_lo
	v_add_co_ci_u32_e64 v30, null, 0, 0, s0
	s_mov_b64 s[8:9], 0
	s_lshr_b32 s10, s3, 16
	s_branch .LBB61_9
.LBB61_8:                               ;   in Loop: Header=BB61_9 Depth=1
	s_or_b32 exec_lo, exec_lo, s0
	s_add_u32 s8, s8, s16
	s_addc_u32 s9, s9, 0
	s_delay_alu instid0(SALU_CYCLE_1) | instskip(SKIP_1) | instid1(VALU_DEP_1)
	v_cmp_ge_i64_e64 s0, s[8:9], s[4:5]
	v_cmp_lt_u64_e64 s1, 0xffff, s[8:9]
	s_or_b32 s0, s0, s1
	s_delay_alu instid0(SALU_CYCLE_1)
	s_and_b32 vcc_lo, exec_lo, s0
	s_cbranch_vccnz .LBB61_25
.LBB61_9:                               ; =>This Inner Loop Header: Depth=1
	s_waitcnt vmcnt(0)
	v_add_co_u32 v33, s0, v0, s8
	s_delay_alu instid0(VALU_DEP_1) | instskip(SKIP_1) | instid1(VALU_DEP_2)
	v_add_co_ci_u32_e64 v34, null, 0, s9, s0
	v_dual_mov_b32 v32, 0 :: v_dual_mov_b32 v31, 0
	v_cmp_gt_u64_e32 vcc_lo, s[6:7], v[33:34]
	v_mov_b32_e32 v33, 0
	s_and_saveexec_b32 s1, vcc_lo
	s_cbranch_execz .LBB61_11
; %bb.10:                               ;   in Loop: Header=BB61_9 Depth=1
	v_add_co_u32 v33, s0, v1, s8
	s_delay_alu instid0(VALU_DEP_1) | instskip(SKIP_1) | instid1(VALU_DEP_1)
	v_add_co_ci_u32_e64 v34, s0, s9, v2, s0
	v_add_co_u32 v35, s0, v3, s8
	v_add_co_ci_u32_e64 v36, s0, s9, v4, s0
	global_load_u8 v31, v[33:34], off
	global_load_u8 v33, v[35:36], off
.LBB61_11:                              ;   in Loop: Header=BB61_9 Depth=1
	s_or_b32 exec_lo, exec_lo, s1
	v_add_co_u32 v34, s0, v29, s8
	s_delay_alu instid0(VALU_DEP_1) | instskip(NEXT) | instid1(VALU_DEP_1)
	v_add_co_ci_u32_e64 v35, s0, s9, v30, s0
	v_cmp_gt_u64_e64 s0, s[6:7], v[34:35]
	s_delay_alu instid0(VALU_DEP_1)
	s_and_saveexec_b32 s2, s0
	s_cbranch_execz .LBB61_13
; %bb.12:                               ;   in Loop: Header=BB61_9 Depth=1
	v_add_co_u32 v34, s1, v23, s8
	s_delay_alu instid0(VALU_DEP_1) | instskip(SKIP_2) | instid1(VALU_DEP_1)
	v_add_co_ci_u32_e64 v35, s1, s9, v24, s1
	global_load_u8 v36, v[34:35], off
	v_add_co_u32 v34, s1, v25, s8
	v_add_co_ci_u32_e64 v35, s1, s9, v26, s1
	global_load_u8 v32, v[34:35], off
	s_waitcnt vmcnt(1)
	v_lshl_or_b32 v31, v36, 8, v31
.LBB61_13:                              ;   in Loop: Header=BB61_9 Depth=1
	s_or_b32 exec_lo, exec_lo, s2
	v_add_co_u32 v34, s1, v21, s8
	s_delay_alu instid0(VALU_DEP_1) | instskip(NEXT) | instid1(VALU_DEP_1)
	v_add_co_ci_u32_e64 v35, s1, s9, v22, s1
	v_cmp_gt_u64_e64 s1, s[6:7], v[34:35]
	v_dual_mov_b32 v34, 0 :: v_dual_mov_b32 v35, 0
	s_delay_alu instid0(VALU_DEP_2)
	s_and_saveexec_b32 s3, s1
	s_cbranch_execz .LBB61_15
; %bb.14:                               ;   in Loop: Header=BB61_9 Depth=1
	v_add_co_u32 v35, s2, v15, s8
	s_delay_alu instid0(VALU_DEP_1) | instskip(SKIP_2) | instid1(VALU_DEP_1)
	v_add_co_ci_u32_e64 v36, s2, s9, v16, s2
	global_load_u8 v37, v[35:36], off
	v_add_co_u32 v35, s2, v17, s8
	v_add_co_ci_u32_e64 v36, s2, s9, v18, s2
	global_load_u8 v35, v[35:36], off
	s_waitcnt vmcnt(1)
	v_lshl_or_b32 v31, v37, 16, v31
.LBB61_15:                              ;   in Loop: Header=BB61_9 Depth=1
	s_or_b32 exec_lo, exec_lo, s3
	v_add_co_u32 v36, s2, v13, s8
	s_delay_alu instid0(VALU_DEP_1) | instskip(NEXT) | instid1(VALU_DEP_1)
	v_add_co_ci_u32_e64 v37, s2, s9, v14, s2
	v_cmp_gt_u64_e64 s2, s[6:7], v[36:37]
	s_delay_alu instid0(VALU_DEP_1)
	s_and_saveexec_b32 s11, s2
	s_cbranch_execnz .LBB61_20
; %bb.16:                               ;   in Loop: Header=BB61_9 Depth=1
	s_or_b32 exec_lo, exec_lo, s11
	s_and_saveexec_b32 s3, vcc_lo
	s_cbranch_execnz .LBB61_21
.LBB61_17:                              ;   in Loop: Header=BB61_9 Depth=1
	s_or_b32 exec_lo, exec_lo, s3
	s_and_saveexec_b32 s3, s0
	s_cbranch_execnz .LBB61_22
.LBB61_18:                              ;   in Loop: Header=BB61_9 Depth=1
	s_or_b32 exec_lo, exec_lo, s3
	s_and_saveexec_b32 s0, s1
	s_cbranch_execnz .LBB61_23
.LBB61_19:                              ;   in Loop: Header=BB61_9 Depth=1
	s_or_b32 exec_lo, exec_lo, s0
	s_and_saveexec_b32 s0, s2
	s_cbranch_execz .LBB61_8
	s_branch .LBB61_24
.LBB61_20:                              ;   in Loop: Header=BB61_9 Depth=1
	v_add_co_u32 v36, s3, v7, s8
	s_delay_alu instid0(VALU_DEP_1) | instskip(SKIP_2) | instid1(VALU_DEP_1)
	v_add_co_ci_u32_e64 v37, s3, s9, v8, s3
	global_load_u8 v38, v[36:37], off
	v_add_co_u32 v36, s3, v9, s8
	v_add_co_ci_u32_e64 v37, s3, s9, v10, s3
	global_load_u8 v34, v[36:37], off
	s_waitcnt vmcnt(1)
	v_lshl_or_b32 v31, v38, 24, v31
	s_or_b32 exec_lo, exec_lo, s11
	s_and_saveexec_b32 s3, vcc_lo
	s_cbranch_execz .LBB61_17
.LBB61_21:                              ;   in Loop: Header=BB61_9 Depth=1
	s_waitcnt vmcnt(0)
	v_mul_lo_u16 v33, v33, s10
	v_add_co_u32 v36, vcc_lo, v5, s8
	v_add_co_ci_u32_e32 v37, vcc_lo, s9, v6, vcc_lo
	s_delay_alu instid0(VALU_DEP_3)
	v_mul_lo_u16 v33, v33, v31
	global_store_b8 v[36:37], v33, off
	s_or_b32 exec_lo, exec_lo, s3
	s_and_saveexec_b32 s3, s0
	s_cbranch_execz .LBB61_18
.LBB61_22:                              ;   in Loop: Header=BB61_9 Depth=1
	s_waitcnt vmcnt(0)
	v_lshrrev_b32_e32 v33, 8, v31
	v_mul_lo_u16 v32, v32, s10
	s_delay_alu instid0(VALU_DEP_1)
	v_mul_lo_u16 v36, v32, v33
	v_add_co_u32 v32, vcc_lo, v27, s8
	v_add_co_ci_u32_e32 v33, vcc_lo, s9, v28, vcc_lo
	global_store_b8 v[32:33], v36, off
	s_or_b32 exec_lo, exec_lo, s3
	s_and_saveexec_b32 s0, s1
	s_cbranch_execz .LBB61_19
.LBB61_23:                              ;   in Loop: Header=BB61_9 Depth=1
	s_waitcnt vmcnt(0)
	v_lshrrev_b32_e32 v32, 16, v31
	v_mul_lo_u16 v33, v35, s10
	s_delay_alu instid0(VALU_DEP_1)
	v_mul_lo_u16 v35, v33, v32
	v_add_co_u32 v32, vcc_lo, v19, s8
	v_add_co_ci_u32_e32 v33, vcc_lo, s9, v20, vcc_lo
	global_store_b8 v[32:33], v35, off
	s_or_b32 exec_lo, exec_lo, s0
	s_and_saveexec_b32 s0, s2
	s_cbranch_execz .LBB61_8
.LBB61_24:                              ;   in Loop: Header=BB61_9 Depth=1
	s_waitcnt vmcnt(1)
	v_lshrrev_b32_e32 v31, 24, v31
	s_waitcnt vmcnt(0)
	v_mul_lo_u16 v32, v34, s10
	s_delay_alu instid0(VALU_DEP_1)
	v_mul_lo_u16 v33, v32, v31
	v_add_co_u32 v31, vcc_lo, v11, s8
	v_add_co_ci_u32_e32 v32, vcc_lo, s9, v12, vcc_lo
	global_store_b8 v[31:32], v33, off
	s_branch .LBB61_8
.LBB61_25:
	s_nop 0
	s_sendmsg sendmsg(MSG_DEALLOC_VGPRS)
	s_endpgm
	.section	.rodata,"a",@progbits
	.p2align	6, 0x0
	.amdhsa_kernel _ZN2at6native12_GLOBAL__N_125multi_tensor_apply_kernelINS1_18TensorListMetadataILi3EEENS1_24BinaryOpListAlphaFunctorIaLi3ELi2ELi2EEEJSt10multipliesIaEaEEEvT_T0_DpT1_
		.amdhsa_group_segment_fixed_size 0
		.amdhsa_private_segment_fixed_size 0
		.amdhsa_kernarg_size 3408
		.amdhsa_user_sgpr_count 15
		.amdhsa_user_sgpr_dispatch_ptr 0
		.amdhsa_user_sgpr_queue_ptr 0
		.amdhsa_user_sgpr_kernarg_segment_ptr 1
		.amdhsa_user_sgpr_dispatch_id 0
		.amdhsa_user_sgpr_private_segment_size 0
		.amdhsa_wavefront_size32 1
		.amdhsa_uses_dynamic_stack 0
		.amdhsa_enable_private_segment 0
		.amdhsa_system_sgpr_workgroup_id_x 1
		.amdhsa_system_sgpr_workgroup_id_y 0
		.amdhsa_system_sgpr_workgroup_id_z 0
		.amdhsa_system_sgpr_workgroup_info 0
		.amdhsa_system_vgpr_workitem_id 0
		.amdhsa_next_free_vgpr 39
		.amdhsa_next_free_sgpr 24
		.amdhsa_reserve_vcc 1
		.amdhsa_float_round_mode_32 0
		.amdhsa_float_round_mode_16_64 0
		.amdhsa_float_denorm_mode_32 3
		.amdhsa_float_denorm_mode_16_64 3
		.amdhsa_dx10_clamp 1
		.amdhsa_ieee_mode 1
		.amdhsa_fp16_overflow 0
		.amdhsa_workgroup_processor_mode 1
		.amdhsa_memory_ordered 1
		.amdhsa_forward_progress 0
		.amdhsa_shared_vgpr_count 0
		.amdhsa_exception_fp_ieee_invalid_op 0
		.amdhsa_exception_fp_denorm_src 0
		.amdhsa_exception_fp_ieee_div_zero 0
		.amdhsa_exception_fp_ieee_overflow 0
		.amdhsa_exception_fp_ieee_underflow 0
		.amdhsa_exception_fp_ieee_inexact 0
		.amdhsa_exception_int_div_zero 0
	.end_amdhsa_kernel
	.section	.text._ZN2at6native12_GLOBAL__N_125multi_tensor_apply_kernelINS1_18TensorListMetadataILi3EEENS1_24BinaryOpListAlphaFunctorIaLi3ELi2ELi2EEEJSt10multipliesIaEaEEEvT_T0_DpT1_,"axG",@progbits,_ZN2at6native12_GLOBAL__N_125multi_tensor_apply_kernelINS1_18TensorListMetadataILi3EEENS1_24BinaryOpListAlphaFunctorIaLi3ELi2ELi2EEEJSt10multipliesIaEaEEEvT_T0_DpT1_,comdat
.Lfunc_end61:
	.size	_ZN2at6native12_GLOBAL__N_125multi_tensor_apply_kernelINS1_18TensorListMetadataILi3EEENS1_24BinaryOpListAlphaFunctorIaLi3ELi2ELi2EEEJSt10multipliesIaEaEEEvT_T0_DpT1_, .Lfunc_end61-_ZN2at6native12_GLOBAL__N_125multi_tensor_apply_kernelINS1_18TensorListMetadataILi3EEENS1_24BinaryOpListAlphaFunctorIaLi3ELi2ELi2EEEJSt10multipliesIaEaEEEvT_T0_DpT1_
                                        ; -- End function
	.section	.AMDGPU.csdata,"",@progbits
; Kernel info:
; codeLenInByte = 1744
; NumSgprs: 26
; NumVgprs: 39
; ScratchSize: 0
; MemoryBound: 0
; FloatMode: 240
; IeeeMode: 1
; LDSByteSize: 0 bytes/workgroup (compile time only)
; SGPRBlocks: 3
; VGPRBlocks: 4
; NumSGPRsForWavesPerEU: 26
; NumVGPRsForWavesPerEU: 39
; Occupancy: 16
; WaveLimiterHint : 0
; COMPUTE_PGM_RSRC2:SCRATCH_EN: 0
; COMPUTE_PGM_RSRC2:USER_SGPR: 15
; COMPUTE_PGM_RSRC2:TRAP_HANDLER: 0
; COMPUTE_PGM_RSRC2:TGID_X_EN: 1
; COMPUTE_PGM_RSRC2:TGID_Y_EN: 0
; COMPUTE_PGM_RSRC2:TGID_Z_EN: 0
; COMPUTE_PGM_RSRC2:TIDIG_COMP_CNT: 0
	.section	.text._ZN2at6native12_GLOBAL__N_125multi_tensor_apply_kernelINS1_18TensorListMetadataILi3EEENS1_24BinaryOpListAlphaFunctorIiLi3ELi2ELi2EEEJSt10multipliesIiEiEEEvT_T0_DpT1_,"axG",@progbits,_ZN2at6native12_GLOBAL__N_125multi_tensor_apply_kernelINS1_18TensorListMetadataILi3EEENS1_24BinaryOpListAlphaFunctorIiLi3ELi2ELi2EEEJSt10multipliesIiEiEEEvT_T0_DpT1_,comdat
	.globl	_ZN2at6native12_GLOBAL__N_125multi_tensor_apply_kernelINS1_18TensorListMetadataILi3EEENS1_24BinaryOpListAlphaFunctorIiLi3ELi2ELi2EEEJSt10multipliesIiEiEEEvT_T0_DpT1_ ; -- Begin function _ZN2at6native12_GLOBAL__N_125multi_tensor_apply_kernelINS1_18TensorListMetadataILi3EEENS1_24BinaryOpListAlphaFunctorIiLi3ELi2ELi2EEEJSt10multipliesIiEiEEEvT_T0_DpT1_
	.p2align	8
	.type	_ZN2at6native12_GLOBAL__N_125multi_tensor_apply_kernelINS1_18TensorListMetadataILi3EEENS1_24BinaryOpListAlphaFunctorIiLi3ELi2ELi2EEEJSt10multipliesIiEiEEEvT_T0_DpT1_,@function
_ZN2at6native12_GLOBAL__N_125multi_tensor_apply_kernelINS1_18TensorListMetadataILi3EEENS1_24BinaryOpListAlphaFunctorIiLi3ELi2ELi2EEEJSt10multipliesIiEiEEEvT_T0_DpT1_: ; @_ZN2at6native12_GLOBAL__N_125multi_tensor_apply_kernelINS1_18TensorListMetadataILi3EEENS1_24BinaryOpListAlphaFunctorIiLi3ELi2ELi2EEEJSt10multipliesIiEiEEEvT_T0_DpT1_
; %bb.0:
	v_mov_b32_e32 v1, s15
	s_add_u32 s2, s0, s15
	s_mul_hi_u32 s3, s15, 3
	s_mul_i32 s15, s15, 3
	s_addc_u32 s4, s1, 0
	global_load_u8 v1, v1, s[0:1] offset:1536
	s_load_b32 s16, s[0:1], 0xc4c
	s_add_u32 s2, s2, s15
	s_addc_u32 s3, s4, s3
	s_mov_b32 s25, 0
	s_load_b32 s2, s[2:3], 0x740
	s_mov_b32 s27, s25
	s_waitcnt vmcnt(0)
	v_readfirstlane_b32 s3, v1
	s_delay_alu instid0(VALU_DEP_1)
	s_lshl_b32 s3, s3, 3
	s_clause 0x3
	s_load_b64 s[10:11], s[0:1], s3 offset:0x0
	s_load_b64 s[12:13], s[0:1], s3 offset:0x180
	;; [unrolled: 1-line block ×4, first 2 shown]
	s_waitcnt lgkmcnt(0)
	s_ashr_i32 s3, s2, 31
	s_delay_alu instid0(SALU_CYCLE_1) | instskip(NEXT) | instid1(SALU_CYCLE_1)
	s_lshl_b64 s[4:5], s[2:3], 18
	s_add_u32 s8, s10, s4
	s_addc_u32 s9, s11, s5
	s_and_b32 s24, s8, 15
	s_add_u32 s17, s12, s4
	s_addc_u32 s18, s13, s5
	s_add_u32 s19, s14, s4
	s_addc_u32 s20, s15, s5
	s_or_b32 s6, s19, s17
	s_delay_alu instid0(SALU_CYCLE_1) | instskip(NEXT) | instid1(SALU_CYCLE_1)
	s_and_b32 s6, s6, 15
	s_cmp_lg_u32 s6, 0
	s_cselect_b32 s21, -1, 0
	s_lshl_b64 s[2:3], s[2:3], 16
	s_delay_alu instid0(SALU_CYCLE_1) | instskip(SKIP_2) | instid1(SALU_CYCLE_1)
	s_sub_u32 s6, s22, s2
	s_subb_u32 s7, s23, s3
	s_and_b32 s26, s22, 3
	s_or_b64 s[2:3], s[24:25], s[26:27]
	s_delay_alu instid0(SALU_CYCLE_1) | instskip(SKIP_1) | instid1(SALU_CYCLE_1)
	s_cmp_lg_u64 s[2:3], 0
	s_cselect_b32 s2, -1, 0
	s_or_b32 s2, s21, s2
	s_delay_alu instid0(SALU_CYCLE_1)
	s_and_not1_b32 vcc_lo, exec_lo, s2
	s_mov_b32 s2, -1
	s_cbranch_vccz .LBB62_5
; %bb.1:
	v_dual_mov_b32 v2, 0 :: v_dual_lshlrev_b32 v1, 2, v0
	s_mov_b32 s21, exec_lo
	s_delay_alu instid0(VALU_DEP_1)
	v_cmpx_gt_i64_e64 s[6:7], v[1:2]
	s_cbranch_execz .LBB62_4
; %bb.2:
	s_load_b32 s2, s[0:1], 0xc5c
	v_lshlrev_b32_e32 v3, 4, v0
	s_mov_b32 s22, 0
	s_waitcnt lgkmcnt(0)
	s_and_b32 s2, s2, 0xffff
	s_delay_alu instid0(SALU_CYCLE_1)
	v_add_lshl_u32 v1, v0, s2, 2
	s_lshl_b32 s23, s2, 2
	s_lshl_b32 s24, s2, 4
.LBB62_3:                               ; =>This Inner Loop Header: Depth=1
	v_add_co_u32 v4, s2, s8, v3
	s_delay_alu instid0(VALU_DEP_1) | instskip(SKIP_1) | instid1(VALU_DEP_1)
	v_add_co_ci_u32_e64 v5, null, s9, 0, s2
	v_add_co_u32 v8, s2, s17, v3
	v_add_co_ci_u32_e64 v9, null, s18, 0, s2
	global_load_b128 v[4:7], v[4:5], off
	v_add_co_u32 v12, s2, s19, v3
	global_load_b128 v[8:11], v[8:9], off
	v_add_co_ci_u32_e64 v13, null, s20, 0, s2
	v_cmp_le_i64_e32 vcc_lo, s[6:7], v[1:2]
	v_cmp_lt_u64_e64 s2, 0xffff, v[1:2]
	v_add_co_u32 v1, s3, v1, s23
	s_delay_alu instid0(VALU_DEP_1) | instskip(NEXT) | instid1(VALU_DEP_3)
	v_add_co_ci_u32_e64 v2, s3, 0, v2, s3
	s_or_b32 s2, vcc_lo, s2
	s_add_u32 s8, s8, s24
	s_addc_u32 s9, s9, 0
	s_add_u32 s19, s19, s24
	s_addc_u32 s20, s20, 0
	;; [unrolled: 2-line block ×3, first 2 shown]
	s_and_b32 s2, exec_lo, s2
	s_delay_alu instid0(SALU_CYCLE_1)
	s_or_b32 s22, s2, s22
	s_waitcnt vmcnt(1)
	v_mul_lo_u32 v4, v4, s16
	v_mul_lo_u32 v5, v5, s16
	;; [unrolled: 1-line block ×4, first 2 shown]
	s_waitcnt vmcnt(0)
	s_delay_alu instid0(VALU_DEP_4) | instskip(NEXT) | instid1(VALU_DEP_4)
	v_mul_lo_u32 v4, v4, v8
	v_mul_lo_u32 v5, v5, v9
	s_delay_alu instid0(VALU_DEP_4) | instskip(NEXT) | instid1(VALU_DEP_4)
	v_mul_lo_u32 v6, v6, v10
	v_mul_lo_u32 v7, v7, v11
	global_store_b128 v[12:13], v[4:7], off
	s_and_not1_b32 exec_lo, exec_lo, s22
	s_cbranch_execnz .LBB62_3
.LBB62_4:
	s_or_b32 exec_lo, exec_lo, s21
	s_mov_b32 s2, 0
.LBB62_5:
	s_delay_alu instid0(SALU_CYCLE_1)
	s_and_not1_b32 vcc_lo, exec_lo, s2
	s_cbranch_vccnz .LBB62_25
; %bb.6:
	v_cmp_lt_i64_e64 s2, s[6:7], 1
	s_delay_alu instid0(VALU_DEP_1)
	s_and_b32 vcc_lo, exec_lo, s2
	s_cbranch_vccnz .LBB62_25
; %bb.7:
	s_load_b32 s0, s[0:1], 0xc5c
	v_dual_mov_b32 v14, 0 :: v_dual_lshlrev_b32 v13, 2, v0
	v_cmp_gt_u64_e64 s1, 0x10000, s[6:7]
	s_delay_alu instid0(VALU_DEP_2) | instskip(NEXT) | instid1(VALU_DEP_1)
	v_add_co_u32 v1, s2, s10, v13
	v_add_co_ci_u32_e64 v2, null, s11, 0, s2
	v_add_co_u32 v3, s2, s12, v13
	s_delay_alu instid0(VALU_DEP_1) | instskip(SKIP_1) | instid1(VALU_DEP_1)
	v_add_co_ci_u32_e64 v4, null, s13, 0, s2
	v_add_co_u32 v5, s2, s14, v13
	v_add_co_ci_u32_e64 v6, null, s15, 0, s2
	s_waitcnt lgkmcnt(0)
	s_and_b32 s0, s0, 0xffff
	s_and_b32 s1, s1, exec_lo
	v_mad_u64_u32 v[11:12], null, s0, 12, v[13:14]
	s_cselect_b32 s9, s7, 0
	s_cselect_b32 s8, s6, 0x10000
	s_mul_i32 s2, s0, 3
	s_lshl_b32 s3, s0, 3
	s_lshl_b32 s1, s0, 1
	v_add_co_u32 v20, s3, s3, v13
	v_add_co_u32 v13, s2, s2, v0
	v_add_co_u32 v7, vcc_lo, s10, v11
	v_add_co_ci_u32_e64 v14, null, 0, 0, s2
	v_add_co_u32 v19, s2, v0, s0
	v_add_co_ci_u32_e32 v8, vcc_lo, s11, v12, vcc_lo
	v_add_co_u32 v9, vcc_lo, s12, v11
	v_add_co_ci_u32_e32 v10, vcc_lo, s13, v12, vcc_lo
	v_add_co_u32 v11, vcc_lo, s14, v11
	v_add_co_ci_u32_e64 v21, null, 0, 0, s3
	v_lshlrev_b32_e32 v29, 2, v19
	v_add_co_ci_u32_e32 v12, vcc_lo, s15, v12, vcc_lo
	v_add_co_u32 v15, vcc_lo, s10, v20
	v_add_co_u32 v23, s1, s1, v0
	v_add_co_ci_u32_e32 v16, vcc_lo, s11, v21, vcc_lo
	v_add_co_ci_u32_e64 v24, null, 0, 0, s1
	v_add_co_u32 v25, s1, s10, v29
	v_add_co_u32 v17, vcc_lo, s12, v20
	v_add_co_ci_u32_e64 v26, null, s11, 0, s1
	v_add_co_u32 v27, s1, s12, v29
	v_add_co_ci_u32_e32 v18, vcc_lo, s13, v21, vcc_lo
	v_add_co_u32 v20, vcc_lo, s14, v20
	v_add_co_ci_u32_e64 v28, null, s13, 0, s1
	v_add_co_u32 v29, s1, s14, v29
	v_add_co_ci_u32_e32 v21, vcc_lo, s15, v21, vcc_lo
	v_add_co_ci_u32_e64 v22, null, 0, 0, s2
	v_add_co_ci_u32_e64 v30, null, s15, 0, s1
	s_lshl_b32 s12, s0, 2
	s_lshl_b32 s13, s0, 4
	s_mov_b64 s[10:11], 0
	s_branch .LBB62_9
.LBB62_8:                               ;   in Loop: Header=BB62_9 Depth=1
	s_or_b32 exec_lo, exec_lo, s0
	v_add_co_u32 v1, vcc_lo, v1, s13
	v_add_co_ci_u32_e32 v2, vcc_lo, 0, v2, vcc_lo
	v_add_co_u32 v3, vcc_lo, v3, s13
	v_add_co_ci_u32_e32 v4, vcc_lo, 0, v4, vcc_lo
	;; [unrolled: 2-line block ×9, first 2 shown]
	s_add_u32 s10, s10, s12
	v_add_co_u32 v25, vcc_lo, v25, s13
	s_addc_u32 s11, s11, 0
	v_add_co_ci_u32_e32 v26, vcc_lo, 0, v26, vcc_lo
	v_cmp_ge_i64_e64 s0, s[10:11], s[6:7]
	v_cmp_lt_u64_e64 s1, 0xffff, s[10:11]
	v_add_co_u32 v27, vcc_lo, v27, s13
	v_add_co_ci_u32_e32 v28, vcc_lo, 0, v28, vcc_lo
	v_add_co_u32 v29, vcc_lo, v29, s13
	v_add_co_ci_u32_e32 v30, vcc_lo, 0, v30, vcc_lo
	s_or_b32 s0, s0, s1
	s_delay_alu instid0(SALU_CYCLE_1)
	s_and_b32 vcc_lo, exec_lo, s0
	s_cbranch_vccnz .LBB62_25
.LBB62_9:                               ; =>This Inner Loop Header: Depth=1
	s_waitcnt vmcnt(1)
	v_add_co_u32 v31, s0, v0, s10
	s_waitcnt vmcnt(0)
	v_add_co_ci_u32_e64 v32, null, 0, s11, s0
	s_delay_alu instid0(VALU_DEP_1)
	v_cmp_gt_u64_e32 vcc_lo, s[8:9], v[31:32]
	v_dual_mov_b32 v31, 0 :: v_dual_mov_b32 v32, 0
	s_and_saveexec_b32 s1, vcc_lo
	s_cbranch_execz .LBB62_11
; %bb.10:                               ;   in Loop: Header=BB62_9 Depth=1
	v_add_co_u32 v31, s0, v1, s4
	s_delay_alu instid0(VALU_DEP_1) | instskip(SKIP_1) | instid1(VALU_DEP_1)
	v_add_co_ci_u32_e64 v32, s0, s5, v2, s0
	v_add_co_u32 v33, s0, v3, s4
	v_add_co_ci_u32_e64 v34, s0, s5, v4, s0
	global_load_b32 v31, v[31:32], off
	global_load_b32 v32, v[33:34], off
.LBB62_11:                              ;   in Loop: Header=BB62_9 Depth=1
	s_or_b32 exec_lo, exec_lo, s1
	v_add_co_u32 v34, s0, v19, s10
	s_delay_alu instid0(VALU_DEP_1) | instskip(SKIP_1) | instid1(VALU_DEP_2)
	v_add_co_ci_u32_e64 v35, s0, s11, v22, s0
	v_mov_b32_e32 v33, 0
	v_cmp_gt_u64_e64 s0, s[8:9], v[34:35]
	v_dual_mov_b32 v34, 0 :: v_dual_mov_b32 v35, 0
	s_delay_alu instid0(VALU_DEP_2)
	s_and_saveexec_b32 s2, s0
	s_cbranch_execz .LBB62_13
; %bb.12:                               ;   in Loop: Header=BB62_9 Depth=1
	v_add_co_u32 v34, s1, v25, s4
	s_delay_alu instid0(VALU_DEP_1) | instskip(SKIP_1) | instid1(VALU_DEP_1)
	v_add_co_ci_u32_e64 v35, s1, s5, v26, s1
	v_add_co_u32 v36, s1, v27, s4
	v_add_co_ci_u32_e64 v37, s1, s5, v28, s1
	global_load_b32 v34, v[34:35], off
	global_load_b32 v35, v[36:37], off
.LBB62_13:                              ;   in Loop: Header=BB62_9 Depth=1
	s_or_b32 exec_lo, exec_lo, s2
	v_add_co_u32 v36, s1, v23, s10
	s_delay_alu instid0(VALU_DEP_1) | instskip(NEXT) | instid1(VALU_DEP_1)
	v_add_co_ci_u32_e64 v37, s1, s11, v24, s1
	v_cmp_gt_u64_e64 s1, s[8:9], v[36:37]
	v_mov_b32_e32 v36, 0
	s_delay_alu instid0(VALU_DEP_2)
	s_and_saveexec_b32 s3, s1
	s_cbranch_execz .LBB62_15
; %bb.14:                               ;   in Loop: Header=BB62_9 Depth=1
	v_add_co_u32 v36, s2, v15, s4
	s_delay_alu instid0(VALU_DEP_1) | instskip(SKIP_1) | instid1(VALU_DEP_1)
	v_add_co_ci_u32_e64 v37, s2, s5, v16, s2
	v_add_co_u32 v38, s2, v17, s4
	v_add_co_ci_u32_e64 v39, s2, s5, v18, s2
	global_load_b32 v33, v[36:37], off
	global_load_b32 v36, v[38:39], off
.LBB62_15:                              ;   in Loop: Header=BB62_9 Depth=1
	s_or_b32 exec_lo, exec_lo, s3
	v_add_co_u32 v37, s2, v13, s10
	s_delay_alu instid0(VALU_DEP_1) | instskip(NEXT) | instid1(VALU_DEP_1)
	v_add_co_ci_u32_e64 v38, s2, s11, v14, s2
	v_cmp_gt_u64_e64 s2, s[8:9], v[37:38]
	v_dual_mov_b32 v37, 0 :: v_dual_mov_b32 v38, 0
	s_delay_alu instid0(VALU_DEP_2)
	s_and_saveexec_b32 s14, s2
	s_cbranch_execnz .LBB62_20
; %bb.16:                               ;   in Loop: Header=BB62_9 Depth=1
	s_or_b32 exec_lo, exec_lo, s14
	s_and_saveexec_b32 s3, vcc_lo
	s_cbranch_execnz .LBB62_21
.LBB62_17:                              ;   in Loop: Header=BB62_9 Depth=1
	s_or_b32 exec_lo, exec_lo, s3
	s_and_saveexec_b32 s3, s0
	s_cbranch_execnz .LBB62_22
.LBB62_18:                              ;   in Loop: Header=BB62_9 Depth=1
	s_or_b32 exec_lo, exec_lo, s3
	s_and_saveexec_b32 s0, s1
	s_cbranch_execnz .LBB62_23
.LBB62_19:                              ;   in Loop: Header=BB62_9 Depth=1
	s_or_b32 exec_lo, exec_lo, s0
	s_and_saveexec_b32 s0, s2
	s_cbranch_execz .LBB62_8
	s_branch .LBB62_24
.LBB62_20:                              ;   in Loop: Header=BB62_9 Depth=1
	v_add_co_u32 v37, s3, v7, s4
	s_delay_alu instid0(VALU_DEP_1) | instskip(SKIP_1) | instid1(VALU_DEP_1)
	v_add_co_ci_u32_e64 v38, s3, s5, v8, s3
	v_add_co_u32 v39, s3, v9, s4
	v_add_co_ci_u32_e64 v40, s3, s5, v10, s3
	global_load_b32 v37, v[37:38], off
	global_load_b32 v38, v[39:40], off
	s_or_b32 exec_lo, exec_lo, s14
	s_and_saveexec_b32 s3, vcc_lo
	s_cbranch_execz .LBB62_17
.LBB62_21:                              ;   in Loop: Header=BB62_9 Depth=1
	s_waitcnt vmcnt(1)
	v_mul_lo_u32 v31, v31, s16
	s_waitcnt vmcnt(0)
	s_delay_alu instid0(VALU_DEP_1)
	v_mul_lo_u32 v39, v31, v32
	v_add_co_u32 v31, vcc_lo, v5, s4
	v_add_co_ci_u32_e32 v32, vcc_lo, s5, v6, vcc_lo
	global_store_b32 v[31:32], v39, off
	s_or_b32 exec_lo, exec_lo, s3
	s_and_saveexec_b32 s3, s0
	s_cbranch_execz .LBB62_18
.LBB62_22:                              ;   in Loop: Header=BB62_9 Depth=1
	s_waitcnt vmcnt(1)
	v_mul_lo_u32 v31, v34, s16
	s_waitcnt vmcnt(0)
	s_delay_alu instid0(VALU_DEP_1)
	v_mul_lo_u32 v34, v31, v35
	v_add_co_u32 v31, vcc_lo, v29, s4
	v_add_co_ci_u32_e32 v32, vcc_lo, s5, v30, vcc_lo
	global_store_b32 v[31:32], v34, off
	s_or_b32 exec_lo, exec_lo, s3
	s_and_saveexec_b32 s0, s1
	s_cbranch_execz .LBB62_19
.LBB62_23:                              ;   in Loop: Header=BB62_9 Depth=1
	s_waitcnt vmcnt(1)
	v_mul_lo_u32 v31, v33, s16
	s_waitcnt vmcnt(0)
	s_delay_alu instid0(VALU_DEP_1)
	v_mul_lo_u32 v33, v31, v36
	v_add_co_u32 v31, vcc_lo, v20, s4
	v_add_co_ci_u32_e32 v32, vcc_lo, s5, v21, vcc_lo
	global_store_b32 v[31:32], v33, off
	s_or_b32 exec_lo, exec_lo, s0
	s_and_saveexec_b32 s0, s2
	s_cbranch_execz .LBB62_8
.LBB62_24:                              ;   in Loop: Header=BB62_9 Depth=1
	s_waitcnt vmcnt(1)
	v_mul_lo_u32 v31, v37, s16
	s_waitcnt vmcnt(0)
	s_delay_alu instid0(VALU_DEP_1)
	v_mul_lo_u32 v33, v31, v38
	v_add_co_u32 v31, vcc_lo, v11, s4
	v_add_co_ci_u32_e32 v32, vcc_lo, s5, v12, vcc_lo
	global_store_b32 v[31:32], v33, off
	s_branch .LBB62_8
.LBB62_25:
	s_nop 0
	s_sendmsg sendmsg(MSG_DEALLOC_VGPRS)
	s_endpgm
	.section	.rodata,"a",@progbits
	.p2align	6, 0x0
	.amdhsa_kernel _ZN2at6native12_GLOBAL__N_125multi_tensor_apply_kernelINS1_18TensorListMetadataILi3EEENS1_24BinaryOpListAlphaFunctorIiLi3ELi2ELi2EEEJSt10multipliesIiEiEEEvT_T0_DpT1_
		.amdhsa_group_segment_fixed_size 0
		.amdhsa_private_segment_fixed_size 0
		.amdhsa_kernarg_size 3408
		.amdhsa_user_sgpr_count 15
		.amdhsa_user_sgpr_dispatch_ptr 0
		.amdhsa_user_sgpr_queue_ptr 0
		.amdhsa_user_sgpr_kernarg_segment_ptr 1
		.amdhsa_user_sgpr_dispatch_id 0
		.amdhsa_user_sgpr_private_segment_size 0
		.amdhsa_wavefront_size32 1
		.amdhsa_uses_dynamic_stack 0
		.amdhsa_enable_private_segment 0
		.amdhsa_system_sgpr_workgroup_id_x 1
		.amdhsa_system_sgpr_workgroup_id_y 0
		.amdhsa_system_sgpr_workgroup_id_z 0
		.amdhsa_system_sgpr_workgroup_info 0
		.amdhsa_system_vgpr_workitem_id 0
		.amdhsa_next_free_vgpr 41
		.amdhsa_next_free_sgpr 28
		.amdhsa_reserve_vcc 1
		.amdhsa_float_round_mode_32 0
		.amdhsa_float_round_mode_16_64 0
		.amdhsa_float_denorm_mode_32 3
		.amdhsa_float_denorm_mode_16_64 3
		.amdhsa_dx10_clamp 1
		.amdhsa_ieee_mode 1
		.amdhsa_fp16_overflow 0
		.amdhsa_workgroup_processor_mode 1
		.amdhsa_memory_ordered 1
		.amdhsa_forward_progress 0
		.amdhsa_shared_vgpr_count 0
		.amdhsa_exception_fp_ieee_invalid_op 0
		.amdhsa_exception_fp_denorm_src 0
		.amdhsa_exception_fp_ieee_div_zero 0
		.amdhsa_exception_fp_ieee_overflow 0
		.amdhsa_exception_fp_ieee_underflow 0
		.amdhsa_exception_fp_ieee_inexact 0
		.amdhsa_exception_int_div_zero 0
	.end_amdhsa_kernel
	.section	.text._ZN2at6native12_GLOBAL__N_125multi_tensor_apply_kernelINS1_18TensorListMetadataILi3EEENS1_24BinaryOpListAlphaFunctorIiLi3ELi2ELi2EEEJSt10multipliesIiEiEEEvT_T0_DpT1_,"axG",@progbits,_ZN2at6native12_GLOBAL__N_125multi_tensor_apply_kernelINS1_18TensorListMetadataILi3EEENS1_24BinaryOpListAlphaFunctorIiLi3ELi2ELi2EEEJSt10multipliesIiEiEEEvT_T0_DpT1_,comdat
.Lfunc_end62:
	.size	_ZN2at6native12_GLOBAL__N_125multi_tensor_apply_kernelINS1_18TensorListMetadataILi3EEENS1_24BinaryOpListAlphaFunctorIiLi3ELi2ELi2EEEJSt10multipliesIiEiEEEvT_T0_DpT1_, .Lfunc_end62-_ZN2at6native12_GLOBAL__N_125multi_tensor_apply_kernelINS1_18TensorListMetadataILi3EEENS1_24BinaryOpListAlphaFunctorIiLi3ELi2ELi2EEEJSt10multipliesIiEiEEEvT_T0_DpT1_
                                        ; -- End function
	.section	.AMDGPU.csdata,"",@progbits
; Kernel info:
; codeLenInByte = 1836
; NumSgprs: 30
; NumVgprs: 41
; ScratchSize: 0
; MemoryBound: 0
; FloatMode: 240
; IeeeMode: 1
; LDSByteSize: 0 bytes/workgroup (compile time only)
; SGPRBlocks: 3
; VGPRBlocks: 5
; NumSGPRsForWavesPerEU: 30
; NumVGPRsForWavesPerEU: 41
; Occupancy: 16
; WaveLimiterHint : 0
; COMPUTE_PGM_RSRC2:SCRATCH_EN: 0
; COMPUTE_PGM_RSRC2:USER_SGPR: 15
; COMPUTE_PGM_RSRC2:TRAP_HANDLER: 0
; COMPUTE_PGM_RSRC2:TGID_X_EN: 1
; COMPUTE_PGM_RSRC2:TGID_Y_EN: 0
; COMPUTE_PGM_RSRC2:TGID_Z_EN: 0
; COMPUTE_PGM_RSRC2:TIDIG_COMP_CNT: 0
	.section	.text._ZN2at6native12_GLOBAL__N_125multi_tensor_apply_kernelINS1_18TensorListMetadataILi3EEENS1_24BinaryOpListAlphaFunctorIlLi3ELi2ELi2EEEJSt10multipliesIlElEEEvT_T0_DpT1_,"axG",@progbits,_ZN2at6native12_GLOBAL__N_125multi_tensor_apply_kernelINS1_18TensorListMetadataILi3EEENS1_24BinaryOpListAlphaFunctorIlLi3ELi2ELi2EEEJSt10multipliesIlElEEEvT_T0_DpT1_,comdat
	.globl	_ZN2at6native12_GLOBAL__N_125multi_tensor_apply_kernelINS1_18TensorListMetadataILi3EEENS1_24BinaryOpListAlphaFunctorIlLi3ELi2ELi2EEEJSt10multipliesIlElEEEvT_T0_DpT1_ ; -- Begin function _ZN2at6native12_GLOBAL__N_125multi_tensor_apply_kernelINS1_18TensorListMetadataILi3EEENS1_24BinaryOpListAlphaFunctorIlLi3ELi2ELi2EEEJSt10multipliesIlElEEEvT_T0_DpT1_
	.p2align	8
	.type	_ZN2at6native12_GLOBAL__N_125multi_tensor_apply_kernelINS1_18TensorListMetadataILi3EEENS1_24BinaryOpListAlphaFunctorIlLi3ELi2ELi2EEEJSt10multipliesIlElEEEvT_T0_DpT1_,@function
_ZN2at6native12_GLOBAL__N_125multi_tensor_apply_kernelINS1_18TensorListMetadataILi3EEENS1_24BinaryOpListAlphaFunctorIlLi3ELi2ELi2EEEJSt10multipliesIlElEEEvT_T0_DpT1_: ; @_ZN2at6native12_GLOBAL__N_125multi_tensor_apply_kernelINS1_18TensorListMetadataILi3EEENS1_24BinaryOpListAlphaFunctorIlLi3ELi2ELi2EEEJSt10multipliesIlElEEEvT_T0_DpT1_
; %bb.0:
	v_mov_b32_e32 v1, s15
	s_add_u32 s2, s0, s15
	s_mul_hi_u32 s3, s15, 3
	s_mul_i32 s15, s15, 3
	s_addc_u32 s4, s1, 0
	global_load_u8 v1, v1, s[0:1] offset:1536
	s_add_u32 s2, s2, s15
	s_addc_u32 s3, s4, s3
	s_mov_b32 s23, 0
	s_load_b32 s2, s[2:3], 0x740
	s_mov_b32 s25, s23
	s_waitcnt vmcnt(0)
	v_readfirstlane_b32 s3, v1
	s_delay_alu instid0(VALU_DEP_1)
	s_lshl_b32 s3, s3, 3
	s_clause 0x3
	s_load_b64 s[12:13], s[0:1], s3 offset:0x0
	s_load_b64 s[14:15], s[0:1], s3 offset:0x180
	;; [unrolled: 1-line block ×4, first 2 shown]
	s_waitcnt lgkmcnt(0)
	s_ashr_i32 s3, s2, 31
	s_delay_alu instid0(SALU_CYCLE_1) | instskip(NEXT) | instid1(SALU_CYCLE_1)
	s_lshl_b64 s[4:5], s[2:3], 19
	s_add_u32 s10, s12, s4
	s_addc_u32 s11, s13, s5
	s_and_b32 s22, s10, 31
	s_add_u32 s18, s14, s4
	s_addc_u32 s19, s15, s5
	s_add_u32 s20, s16, s4
	s_addc_u32 s21, s17, s5
	s_or_b32 s6, s20, s18
	s_delay_alu instid0(SALU_CYCLE_1) | instskip(NEXT) | instid1(SALU_CYCLE_1)
	s_and_b32 s6, s6, 31
	s_cmp_lg_u32 s6, 0
	s_cselect_b32 s26, -1, 0
	s_lshl_b64 s[2:3], s[2:3], 16
	s_delay_alu instid0(SALU_CYCLE_1) | instskip(SKIP_4) | instid1(SALU_CYCLE_1)
	s_sub_u32 s6, s8, s2
	s_subb_u32 s7, s9, s3
	s_and_b32 s24, s8, 3
	s_load_b64 s[8:9], s[0:1], 0xc50
	s_or_b64 s[2:3], s[22:23], s[24:25]
	s_cmp_lg_u64 s[2:3], 0
	s_cselect_b32 s2, -1, 0
	s_delay_alu instid0(SALU_CYCLE_1) | instskip(NEXT) | instid1(SALU_CYCLE_1)
	s_or_b32 s2, s26, s2
	s_and_not1_b32 vcc_lo, exec_lo, s2
	s_mov_b32 s2, -1
	s_cbranch_vccz .LBB63_5
; %bb.1:
	v_dual_mov_b32 v2, 0 :: v_dual_lshlrev_b32 v1, 2, v0
	s_mov_b32 s22, exec_lo
	s_delay_alu instid0(VALU_DEP_1)
	v_cmpx_gt_i64_e64 s[6:7], v[1:2]
	s_cbranch_execz .LBB63_4
; %bb.2:
	s_load_b32 s2, s[0:1], 0xc64
	v_lshlrev_b32_e32 v3, 5, v0
	s_waitcnt lgkmcnt(0)
	s_and_b32 s2, s2, 0xffff
	s_delay_alu instid0(SALU_CYCLE_1)
	v_add_lshl_u32 v1, v0, s2, 2
	s_lshl_b32 s24, s2, 2
	s_lshl_b32 s25, s2, 5
.LBB63_3:                               ; =>This Inner Loop Header: Depth=1
	v_add_co_u32 v8, s2, s10, v3
	s_delay_alu instid0(VALU_DEP_1) | instskip(SKIP_1) | instid1(VALU_DEP_1)
	v_add_co_ci_u32_e64 v9, null, s11, 0, s2
	v_add_co_u32 v16, s2, s18, v3
	v_add_co_ci_u32_e64 v17, null, s19, 0, s2
	s_clause 0x1
	global_load_b128 v[4:7], v[8:9], off
	global_load_b128 v[8:11], v[8:9], off offset:16
	s_clause 0x1
	global_load_b128 v[12:15], v[16:17], off
	global_load_b128 v[16:19], v[16:17], off offset:16
	v_cmp_le_i64_e32 vcc_lo, s[6:7], v[1:2]
	v_cmp_lt_u64_e64 s2, 0xffff, v[1:2]
	v_add_co_u32 v20, s3, s20, v3
	s_delay_alu instid0(VALU_DEP_1) | instskip(SKIP_1) | instid1(VALU_DEP_4)
	v_add_co_ci_u32_e64 v21, null, s21, 0, s3
	v_add_co_u32 v1, s3, v1, s24
	s_or_b32 s2, vcc_lo, s2
	s_add_u32 s10, s10, s25
	s_addc_u32 s11, s11, 0
	s_add_u32 s20, s20, s25
	s_addc_u32 s21, s21, 0
	s_add_u32 s18, s18, s25
	v_add_co_ci_u32_e64 v2, s3, 0, v2, s3
	s_addc_u32 s19, s19, 0
	s_and_b32 s2, exec_lo, s2
	s_delay_alu instid0(SALU_CYCLE_1)
	s_or_b32 s23, s2, s23
	s_waitcnt vmcnt(3)
	v_mul_lo_u32 v5, v5, s8
	v_mul_lo_u32 v30, v4, s9
	v_mad_u64_u32 v[22:23], null, v4, s8, 0
	v_mul_lo_u32 v7, v7, s8
	v_mul_lo_u32 v31, v6, s9
	v_mad_u64_u32 v[24:25], null, v6, s8, 0
	s_waitcnt vmcnt(2)
	v_mul_lo_u32 v9, v9, s8
	v_mul_lo_u32 v32, v8, s9
	v_mad_u64_u32 v[26:27], null, v8, s8, 0
	v_mul_lo_u32 v11, v11, s8
	v_mul_lo_u32 v33, v10, s9
	v_mad_u64_u32 v[28:29], null, v10, s8, 0
	v_add3_u32 v23, v23, v30, v5
	s_waitcnt vmcnt(1)
	v_mul_lo_u32 v13, v22, v13
	v_mad_u64_u32 v[4:5], null, v22, v12, 0
	v_add3_u32 v22, v25, v31, v7
	v_mul_lo_u32 v15, v24, v15
	v_mad_u64_u32 v[6:7], null, v24, v14, 0
	v_add3_u32 v24, v27, v32, v9
	v_add3_u32 v25, v29, v33, v11
	v_mul_lo_u32 v12, v23, v12
	v_mul_lo_u32 v14, v22, v14
	s_waitcnt vmcnt(0)
	v_mul_lo_u32 v17, v26, v17
	v_mad_u64_u32 v[8:9], null, v26, v16, 0
	v_mul_lo_u32 v19, v28, v19
	v_mad_u64_u32 v[10:11], null, v28, v18, 0
	v_mul_lo_u32 v16, v24, v16
	v_mul_lo_u32 v18, v25, v18
	v_add3_u32 v5, v5, v13, v12
	v_add3_u32 v7, v7, v15, v14
	s_delay_alu instid0(VALU_DEP_4) | instskip(NEXT) | instid1(VALU_DEP_4)
	v_add3_u32 v9, v9, v17, v16
	v_add3_u32 v11, v11, v19, v18
	s_clause 0x1
	global_store_b128 v[20:21], v[4:7], off
	global_store_b128 v[20:21], v[8:11], off offset:16
	s_and_not1_b32 exec_lo, exec_lo, s23
	s_cbranch_execnz .LBB63_3
.LBB63_4:
	s_or_b32 exec_lo, exec_lo, s22
	s_mov_b32 s2, 0
.LBB63_5:
	s_delay_alu instid0(SALU_CYCLE_1)
	s_and_not1_b32 vcc_lo, exec_lo, s2
	s_cbranch_vccnz .LBB63_25
; %bb.6:
	v_cmp_lt_i64_e64 s2, s[6:7], 1
	s_delay_alu instid0(VALU_DEP_1)
	s_and_b32 vcc_lo, exec_lo, s2
	s_cbranch_vccnz .LBB63_25
; %bb.7:
	s_load_b32 s0, s[0:1], 0xc64
	v_dual_mov_b32 v2, 0 :: v_dual_lshlrev_b32 v1, 3, v0
	v_cmp_gt_u64_e64 s1, 0x10000, s[6:7]
	s_delay_alu instid0(VALU_DEP_2) | instskip(NEXT) | instid1(VALU_DEP_1)
	v_add_co_u32 v17, s2, s12, v1
	v_add_co_ci_u32_e64 v18, null, s13, 0, s2
	v_add_co_u32 v19, s2, s14, v1
	s_delay_alu instid0(VALU_DEP_1) | instskip(SKIP_1) | instid1(VALU_DEP_1)
	v_add_co_ci_u32_e64 v20, null, s15, 0, s2
	v_add_co_u32 v21, s2, s16, v1
	v_add_co_ci_u32_e64 v22, null, s17, 0, s2
	s_waitcnt lgkmcnt(0)
	s_and_b32 s0, s0, 0xffff
	s_and_b32 s1, s1, exec_lo
	v_mad_u64_u32 v[3:4], null, s0, 24, v[1:2]
	s_cselect_b32 s11, s7, 0
	s_cselect_b32 s10, s6, 0x10000
	s_lshl_b32 s3, s0, 4
	s_mul_i32 s2, s0, 3
	v_add_co_u32 v1, s3, s3, v1
	s_delay_alu instid0(VALU_DEP_2) | instskip(NEXT) | instid1(VALU_DEP_3)
	v_add_co_u32 v23, vcc_lo, s12, v3
	v_add_co_ci_u32_e32 v24, vcc_lo, s13, v4, vcc_lo
	v_add_co_u32 v25, vcc_lo, s14, v3
	v_add_co_ci_u32_e32 v26, vcc_lo, s15, v4, vcc_lo
	v_add_co_u32 v27, vcc_lo, s16, v3
	v_add_co_ci_u32_e64 v2, null, 0, 0, s3
	v_add_co_ci_u32_e32 v28, vcc_lo, s17, v4, vcc_lo
	v_add_co_u32 v29, s2, s2, v0
	v_add_co_u32 v31, vcc_lo, s12, v1
	v_add_co_ci_u32_e64 v30, null, 0, 0, s2
	v_add_co_u32 v35, s2, v0, s0
	v_add_co_ci_u32_e32 v32, vcc_lo, s13, v2, vcc_lo
	v_add_co_u32 v33, vcc_lo, s14, v1
	v_add_co_ci_u32_e32 v34, vcc_lo, s15, v2, vcc_lo
	v_add_co_u32 v36, vcc_lo, s16, v1
	v_lshlrev_b32_e32 v1, 3, v35
	s_lshl_b32 s1, s0, 1
	v_add_co_ci_u32_e32 v37, vcc_lo, s17, v2, vcc_lo
	v_add_co_u32 v39, s1, s1, v0
	s_delay_alu instid0(VALU_DEP_1) | instskip(SKIP_1) | instid1(VALU_DEP_1)
	v_add_co_ci_u32_e64 v40, null, 0, 0, s1
	v_add_co_u32 v41, s1, s12, v1
	v_add_co_ci_u32_e64 v42, null, s13, 0, s1
	v_add_co_u32 v43, s1, s14, v1
	s_delay_alu instid0(VALU_DEP_1)
	v_add_co_ci_u32_e64 v44, null, s15, 0, s1
	v_add_co_u32 v45, s1, s16, v1
	v_add_co_ci_u32_e64 v38, null, 0, 0, s2
	v_add_co_ci_u32_e64 v46, null, s17, 0, s1
	s_lshl_b32 s14, s0, 2
	s_lshl_b32 s15, s0, 5
	s_mov_b64 s[12:13], 0
	s_branch .LBB63_9
.LBB63_8:                               ;   in Loop: Header=BB63_9 Depth=1
	s_or_b32 exec_lo, exec_lo, s0
	v_add_co_u32 v17, vcc_lo, v17, s15
	v_add_co_ci_u32_e32 v18, vcc_lo, 0, v18, vcc_lo
	v_add_co_u32 v19, vcc_lo, v19, s15
	v_add_co_ci_u32_e32 v20, vcc_lo, 0, v20, vcc_lo
	v_add_co_u32 v21, vcc_lo, v21, s15
	v_add_co_ci_u32_e32 v22, vcc_lo, 0, v22, vcc_lo
	v_add_co_u32 v23, vcc_lo, v23, s15
	v_add_co_ci_u32_e32 v24, vcc_lo, 0, v24, vcc_lo
	v_add_co_u32 v25, vcc_lo, v25, s15
	v_add_co_ci_u32_e32 v26, vcc_lo, 0, v26, vcc_lo
	v_add_co_u32 v27, vcc_lo, v27, s15
	v_add_co_ci_u32_e32 v28, vcc_lo, 0, v28, vcc_lo
	v_add_co_u32 v31, vcc_lo, v31, s15
	v_add_co_ci_u32_e32 v32, vcc_lo, 0, v32, vcc_lo
	v_add_co_u32 v33, vcc_lo, v33, s15
	v_add_co_ci_u32_e32 v34, vcc_lo, 0, v34, vcc_lo
	v_add_co_u32 v36, vcc_lo, v36, s15
	v_add_co_ci_u32_e32 v37, vcc_lo, 0, v37, vcc_lo
	s_add_u32 s12, s12, s14
	v_add_co_u32 v41, vcc_lo, v41, s15
	s_addc_u32 s13, s13, 0
	v_add_co_ci_u32_e32 v42, vcc_lo, 0, v42, vcc_lo
	v_cmp_ge_i64_e64 s0, s[12:13], s[6:7]
	v_cmp_lt_u64_e64 s1, 0xffff, s[12:13]
	v_add_co_u32 v43, vcc_lo, v43, s15
	v_add_co_ci_u32_e32 v44, vcc_lo, 0, v44, vcc_lo
	v_add_co_u32 v45, vcc_lo, v45, s15
	v_add_co_ci_u32_e32 v46, vcc_lo, 0, v46, vcc_lo
	s_or_b32 s0, s0, s1
	s_delay_alu instid0(SALU_CYCLE_1)
	s_and_b32 vcc_lo, exec_lo, s0
	s_cbranch_vccnz .LBB63_25
.LBB63_9:                               ; =>This Inner Loop Header: Depth=1
	s_waitcnt vmcnt(1)
	v_add_co_u32 v3, s0, v0, s12
	s_delay_alu instid0(VALU_DEP_1) | instskip(SKIP_2) | instid1(VALU_DEP_3)
	v_add_co_ci_u32_e64 v4, null, 0, s13, s0
	v_mov_b32_e32 v1, 0
	v_mov_b32_e32 v2, 0
	v_cmp_gt_u64_e32 vcc_lo, s[10:11], v[3:4]
	s_delay_alu instid0(VALU_DEP_2)
	v_dual_mov_b32 v8, v2 :: v_dual_mov_b32 v7, v1
	s_waitcnt vmcnt(0)
	v_dual_mov_b32 v6, v2 :: v_dual_mov_b32 v5, v1
	s_and_saveexec_b32 s1, vcc_lo
	s_cbranch_execz .LBB63_11
; %bb.10:                               ;   in Loop: Header=BB63_9 Depth=1
	v_add_co_u32 v3, s0, v17, s4
	s_delay_alu instid0(VALU_DEP_1) | instskip(SKIP_1) | instid1(VALU_DEP_1)
	v_add_co_ci_u32_e64 v4, s0, s5, v18, s0
	v_add_co_u32 v5, s0, v19, s4
	v_add_co_ci_u32_e64 v6, s0, s5, v20, s0
	global_load_b64 v[7:8], v[3:4], off
	global_load_b64 v[5:6], v[5:6], off
.LBB63_11:                              ;   in Loop: Header=BB63_9 Depth=1
	s_or_b32 exec_lo, exec_lo, s1
	v_add_co_u32 v3, s0, v35, s12
	s_delay_alu instid0(VALU_DEP_1) | instskip(SKIP_1) | instid1(VALU_DEP_2)
	v_add_co_ci_u32_e64 v4, s0, s13, v38, s0
	v_dual_mov_b32 v10, v2 :: v_dual_mov_b32 v9, v1
	v_cmp_gt_u64_e64 s0, s[10:11], v[3:4]
	s_delay_alu instid0(VALU_DEP_1)
	s_and_saveexec_b32 s2, s0
	s_cbranch_execz .LBB63_13
; %bb.12:                               ;   in Loop: Header=BB63_9 Depth=1
	v_add_co_u32 v1, s1, v41, s4
	s_delay_alu instid0(VALU_DEP_1) | instskip(SKIP_1) | instid1(VALU_DEP_1)
	v_add_co_ci_u32_e64 v2, s1, s5, v42, s1
	v_add_co_u32 v3, s1, v43, s4
	v_add_co_ci_u32_e64 v4, s1, s5, v44, s1
	global_load_b64 v[1:2], v[1:2], off
	global_load_b64 v[9:10], v[3:4], off
.LBB63_13:                              ;   in Loop: Header=BB63_9 Depth=1
	s_or_b32 exec_lo, exec_lo, s2
	v_add_co_u32 v11, s1, v39, s12
	s_delay_alu instid0(VALU_DEP_1) | instskip(SKIP_2) | instid1(VALU_DEP_3)
	v_add_co_ci_u32_e64 v12, s1, s13, v40, s1
	v_mov_b32_e32 v3, 0
	v_mov_b32_e32 v4, 0
	v_cmp_gt_u64_e64 s1, s[10:11], v[11:12]
	s_delay_alu instid0(VALU_DEP_2) | instskip(SKIP_1) | instid1(VALU_DEP_3)
	v_dual_mov_b32 v14, v4 :: v_dual_mov_b32 v13, v3
	v_dual_mov_b32 v12, v4 :: v_dual_mov_b32 v11, v3
	s_and_saveexec_b32 s3, s1
	s_cbranch_execz .LBB63_15
; %bb.14:                               ;   in Loop: Header=BB63_9 Depth=1
	v_add_co_u32 v11, s2, v31, s4
	s_delay_alu instid0(VALU_DEP_1) | instskip(SKIP_1) | instid1(VALU_DEP_1)
	v_add_co_ci_u32_e64 v12, s2, s5, v32, s2
	v_add_co_u32 v15, s2, v33, s4
	v_add_co_ci_u32_e64 v16, s2, s5, v34, s2
	global_load_b64 v[13:14], v[11:12], off
	global_load_b64 v[11:12], v[15:16], off
.LBB63_15:                              ;   in Loop: Header=BB63_9 Depth=1
	s_or_b32 exec_lo, exec_lo, s3
	v_add_co_u32 v15, s2, v29, s12
	s_delay_alu instid0(VALU_DEP_1) | instskip(NEXT) | instid1(VALU_DEP_1)
	v_add_co_ci_u32_e64 v16, s2, s13, v30, s2
	v_cmp_gt_u64_e64 s2, s[10:11], v[15:16]
	v_dual_mov_b32 v16, v4 :: v_dual_mov_b32 v15, v3
	s_delay_alu instid0(VALU_DEP_2)
	s_and_saveexec_b32 s16, s2
	s_cbranch_execnz .LBB63_20
; %bb.16:                               ;   in Loop: Header=BB63_9 Depth=1
	s_or_b32 exec_lo, exec_lo, s16
	s_and_saveexec_b32 s3, vcc_lo
	s_cbranch_execnz .LBB63_21
.LBB63_17:                              ;   in Loop: Header=BB63_9 Depth=1
	s_or_b32 exec_lo, exec_lo, s3
	s_and_saveexec_b32 s3, s0
	s_cbranch_execnz .LBB63_22
.LBB63_18:                              ;   in Loop: Header=BB63_9 Depth=1
	s_or_b32 exec_lo, exec_lo, s3
	s_and_saveexec_b32 s0, s1
	s_cbranch_execnz .LBB63_23
.LBB63_19:                              ;   in Loop: Header=BB63_9 Depth=1
	s_or_b32 exec_lo, exec_lo, s0
	s_and_saveexec_b32 s0, s2
	s_cbranch_execz .LBB63_8
	s_branch .LBB63_24
.LBB63_20:                              ;   in Loop: Header=BB63_9 Depth=1
	v_add_co_u32 v3, s3, v23, s4
	s_delay_alu instid0(VALU_DEP_1) | instskip(SKIP_1) | instid1(VALU_DEP_1)
	v_add_co_ci_u32_e64 v4, s3, s5, v24, s3
	v_add_co_u32 v15, s3, v25, s4
	v_add_co_ci_u32_e64 v16, s3, s5, v26, s3
	global_load_b64 v[3:4], v[3:4], off
	global_load_b64 v[15:16], v[15:16], off
	s_or_b32 exec_lo, exec_lo, s16
	s_and_saveexec_b32 s3, vcc_lo
	s_cbranch_execz .LBB63_17
.LBB63_21:                              ;   in Loop: Header=BB63_9 Depth=1
	s_waitcnt vmcnt(1)
	v_mul_lo_u32 v8, v8, s8
	v_mul_lo_u32 v49, v7, s9
	v_mad_u64_u32 v[47:48], null, v7, s8, 0
	s_delay_alu instid0(VALU_DEP_1) | instskip(SKIP_1) | instid1(VALU_DEP_2)
	v_add3_u32 v8, v48, v49, v8
	s_waitcnt vmcnt(0)
	v_mul_lo_u32 v48, v47, v6
	v_mad_u64_u32 v[6:7], null, v47, v5, 0
	v_add_co_u32 v47, vcc_lo, v21, s4
	v_mul_lo_u32 v5, v8, v5
	s_delay_alu instid0(VALU_DEP_1)
	v_add3_u32 v7, v7, v48, v5
	v_add_co_ci_u32_e32 v48, vcc_lo, s5, v22, vcc_lo
	global_store_b64 v[47:48], v[6:7], off
	s_or_b32 exec_lo, exec_lo, s3
	s_and_saveexec_b32 s3, s0
	s_cbranch_execz .LBB63_18
.LBB63_22:                              ;   in Loop: Header=BB63_9 Depth=1
	s_waitcnt vmcnt(1)
	v_mul_lo_u32 v2, v2, s8
	v_mul_lo_u32 v7, v1, s9
	s_waitcnt vmcnt(0)
	v_mad_u64_u32 v[5:6], null, v1, s8, 0
	s_delay_alu instid0(VALU_DEP_1) | instskip(NEXT) | instid1(VALU_DEP_2)
	v_add3_u32 v6, v6, v7, v2
	v_mul_lo_u32 v7, v5, v10
	v_mad_u64_u32 v[1:2], null, v5, v9, 0
	s_delay_alu instid0(VALU_DEP_3) | instskip(NEXT) | instid1(VALU_DEP_1)
	v_mul_lo_u32 v5, v6, v9
	v_add3_u32 v2, v2, v7, v5
	v_add_co_u32 v5, vcc_lo, v45, s4
	v_add_co_ci_u32_e32 v6, vcc_lo, s5, v46, vcc_lo
	global_store_b64 v[5:6], v[1:2], off
	s_or_b32 exec_lo, exec_lo, s3
	s_and_saveexec_b32 s0, s1
	s_cbranch_execz .LBB63_19
.LBB63_23:                              ;   in Loop: Header=BB63_9 Depth=1
	s_waitcnt vmcnt(0)
	v_mul_lo_u32 v5, v14, s8
	v_mul_lo_u32 v6, v13, s9
	v_mad_u64_u32 v[1:2], null, v13, s8, 0
	s_delay_alu instid0(VALU_DEP_1) | instskip(NEXT) | instid1(VALU_DEP_2)
	v_add3_u32 v2, v2, v6, v5
	v_mul_lo_u32 v7, v1, v12
	v_mad_u64_u32 v[5:6], null, v1, v11, 0
	s_delay_alu instid0(VALU_DEP_3) | instskip(NEXT) | instid1(VALU_DEP_1)
	v_mul_lo_u32 v1, v2, v11
	v_add3_u32 v6, v6, v7, v1
	v_add_co_u32 v1, vcc_lo, v36, s4
	v_add_co_ci_u32_e32 v2, vcc_lo, s5, v37, vcc_lo
	global_store_b64 v[1:2], v[5:6], off
	s_or_b32 exec_lo, exec_lo, s0
	s_and_saveexec_b32 s0, s2
	s_cbranch_execz .LBB63_8
.LBB63_24:                              ;   in Loop: Header=BB63_9 Depth=1
	s_waitcnt vmcnt(1)
	v_mul_lo_u32 v4, v4, s8
	s_waitcnt vmcnt(0)
	v_mul_lo_u32 v5, v3, s9
	v_mad_u64_u32 v[1:2], null, v3, s8, 0
	s_delay_alu instid0(VALU_DEP_1) | instskip(NEXT) | instid1(VALU_DEP_2)
	v_add3_u32 v4, v2, v5, v4
	v_mul_lo_u32 v5, v1, v16
	v_mad_u64_u32 v[2:3], null, v1, v15, 0
	s_delay_alu instid0(VALU_DEP_3) | instskip(SKIP_1) | instid1(VALU_DEP_2)
	v_mul_lo_u32 v1, v4, v15
	v_add_co_u32 v4, vcc_lo, v27, s4
	v_add3_u32 v3, v3, v5, v1
	v_add_co_ci_u32_e32 v5, vcc_lo, s5, v28, vcc_lo
	global_store_b64 v[4:5], v[2:3], off
	s_branch .LBB63_8
.LBB63_25:
	s_nop 0
	s_sendmsg sendmsg(MSG_DEALLOC_VGPRS)
	s_endpgm
	.section	.rodata,"a",@progbits
	.p2align	6, 0x0
	.amdhsa_kernel _ZN2at6native12_GLOBAL__N_125multi_tensor_apply_kernelINS1_18TensorListMetadataILi3EEENS1_24BinaryOpListAlphaFunctorIlLi3ELi2ELi2EEEJSt10multipliesIlElEEEvT_T0_DpT1_
		.amdhsa_group_segment_fixed_size 0
		.amdhsa_private_segment_fixed_size 0
		.amdhsa_kernarg_size 3416
		.amdhsa_user_sgpr_count 15
		.amdhsa_user_sgpr_dispatch_ptr 0
		.amdhsa_user_sgpr_queue_ptr 0
		.amdhsa_user_sgpr_kernarg_segment_ptr 1
		.amdhsa_user_sgpr_dispatch_id 0
		.amdhsa_user_sgpr_private_segment_size 0
		.amdhsa_wavefront_size32 1
		.amdhsa_uses_dynamic_stack 0
		.amdhsa_enable_private_segment 0
		.amdhsa_system_sgpr_workgroup_id_x 1
		.amdhsa_system_sgpr_workgroup_id_y 0
		.amdhsa_system_sgpr_workgroup_id_z 0
		.amdhsa_system_sgpr_workgroup_info 0
		.amdhsa_system_vgpr_workitem_id 0
		.amdhsa_next_free_vgpr 50
		.amdhsa_next_free_sgpr 27
		.amdhsa_reserve_vcc 1
		.amdhsa_float_round_mode_32 0
		.amdhsa_float_round_mode_16_64 0
		.amdhsa_float_denorm_mode_32 3
		.amdhsa_float_denorm_mode_16_64 3
		.amdhsa_dx10_clamp 1
		.amdhsa_ieee_mode 1
		.amdhsa_fp16_overflow 0
		.amdhsa_workgroup_processor_mode 1
		.amdhsa_memory_ordered 1
		.amdhsa_forward_progress 0
		.amdhsa_shared_vgpr_count 0
		.amdhsa_exception_fp_ieee_invalid_op 0
		.amdhsa_exception_fp_denorm_src 0
		.amdhsa_exception_fp_ieee_div_zero 0
		.amdhsa_exception_fp_ieee_overflow 0
		.amdhsa_exception_fp_ieee_underflow 0
		.amdhsa_exception_fp_ieee_inexact 0
		.amdhsa_exception_int_div_zero 0
	.end_amdhsa_kernel
	.section	.text._ZN2at6native12_GLOBAL__N_125multi_tensor_apply_kernelINS1_18TensorListMetadataILi3EEENS1_24BinaryOpListAlphaFunctorIlLi3ELi2ELi2EEEJSt10multipliesIlElEEEvT_T0_DpT1_,"axG",@progbits,_ZN2at6native12_GLOBAL__N_125multi_tensor_apply_kernelINS1_18TensorListMetadataILi3EEENS1_24BinaryOpListAlphaFunctorIlLi3ELi2ELi2EEEJSt10multipliesIlElEEEvT_T0_DpT1_,comdat
.Lfunc_end63:
	.size	_ZN2at6native12_GLOBAL__N_125multi_tensor_apply_kernelINS1_18TensorListMetadataILi3EEENS1_24BinaryOpListAlphaFunctorIlLi3ELi2ELi2EEEJSt10multipliesIlElEEEvT_T0_DpT1_, .Lfunc_end63-_ZN2at6native12_GLOBAL__N_125multi_tensor_apply_kernelINS1_18TensorListMetadataILi3EEENS1_24BinaryOpListAlphaFunctorIlLi3ELi2ELi2EEEJSt10multipliesIlElEEEvT_T0_DpT1_
                                        ; -- End function
	.section	.AMDGPU.csdata,"",@progbits
; Kernel info:
; codeLenInByte = 2312
; NumSgprs: 29
; NumVgprs: 50
; ScratchSize: 0
; MemoryBound: 0
; FloatMode: 240
; IeeeMode: 1
; LDSByteSize: 0 bytes/workgroup (compile time only)
; SGPRBlocks: 3
; VGPRBlocks: 6
; NumSGPRsForWavesPerEU: 29
; NumVGPRsForWavesPerEU: 50
; Occupancy: 16
; WaveLimiterHint : 0
; COMPUTE_PGM_RSRC2:SCRATCH_EN: 0
; COMPUTE_PGM_RSRC2:USER_SGPR: 15
; COMPUTE_PGM_RSRC2:TRAP_HANDLER: 0
; COMPUTE_PGM_RSRC2:TGID_X_EN: 1
; COMPUTE_PGM_RSRC2:TGID_Y_EN: 0
; COMPUTE_PGM_RSRC2:TGID_Z_EN: 0
; COMPUTE_PGM_RSRC2:TIDIG_COMP_CNT: 0
	.section	.text._ZN2at6native12_GLOBAL__N_125multi_tensor_apply_kernelINS1_18TensorListMetadataILi3EEENS1_24BinaryOpListAlphaFunctorIsLi3ELi2ELi2EEEJSt10multipliesIsEsEEEvT_T0_DpT1_,"axG",@progbits,_ZN2at6native12_GLOBAL__N_125multi_tensor_apply_kernelINS1_18TensorListMetadataILi3EEENS1_24BinaryOpListAlphaFunctorIsLi3ELi2ELi2EEEJSt10multipliesIsEsEEEvT_T0_DpT1_,comdat
	.globl	_ZN2at6native12_GLOBAL__N_125multi_tensor_apply_kernelINS1_18TensorListMetadataILi3EEENS1_24BinaryOpListAlphaFunctorIsLi3ELi2ELi2EEEJSt10multipliesIsEsEEEvT_T0_DpT1_ ; -- Begin function _ZN2at6native12_GLOBAL__N_125multi_tensor_apply_kernelINS1_18TensorListMetadataILi3EEENS1_24BinaryOpListAlphaFunctorIsLi3ELi2ELi2EEEJSt10multipliesIsEsEEEvT_T0_DpT1_
	.p2align	8
	.type	_ZN2at6native12_GLOBAL__N_125multi_tensor_apply_kernelINS1_18TensorListMetadataILi3EEENS1_24BinaryOpListAlphaFunctorIsLi3ELi2ELi2EEEJSt10multipliesIsEsEEEvT_T0_DpT1_,@function
_ZN2at6native12_GLOBAL__N_125multi_tensor_apply_kernelINS1_18TensorListMetadataILi3EEENS1_24BinaryOpListAlphaFunctorIsLi3ELi2ELi2EEEJSt10multipliesIsEsEEEvT_T0_DpT1_: ; @_ZN2at6native12_GLOBAL__N_125multi_tensor_apply_kernelINS1_18TensorListMetadataILi3EEENS1_24BinaryOpListAlphaFunctorIsLi3ELi2ELi2EEEJSt10multipliesIsEsEEEvT_T0_DpT1_
; %bb.0:
	v_mov_b32_e32 v1, s15
	s_mul_i32 s4, s15, 3
	s_mul_hi_u32 s3, s15, 3
	s_mov_b32 s19, 0
	s_load_b32 s2, s[0:1], 0xc48
	global_load_u8 v1, v1, s[0:1] offset:1536
	s_mov_b32 s21, s19
	s_waitcnt lgkmcnt(0)
	s_lshr_b32 s16, s2, 16
	s_add_u32 s2, s0, s15
	s_addc_u32 s5, s1, 0
	s_add_u32 s2, s2, s4
	s_addc_u32 s3, s5, s3
	s_load_b32 s2, s[2:3], 0x740
	s_waitcnt vmcnt(0)
	v_readfirstlane_b32 s4, v1
	s_delay_alu instid0(VALU_DEP_1)
	s_lshl_b32 s3, s4, 3
	s_clause 0x3
	s_load_b64 s[12:13], s[0:1], s3 offset:0x180
	s_load_b64 s[10:11], s[0:1], s3 offset:0x300
	;; [unrolled: 1-line block ×4, first 2 shown]
	s_waitcnt lgkmcnt(0)
	s_ashr_i32 s3, s2, 31
	s_delay_alu instid0(SALU_CYCLE_1) | instskip(NEXT) | instid1(SALU_CYCLE_1)
	s_lshl_b64 s[4:5], s[2:3], 17
	s_add_u32 s6, s12, s4
	s_delay_alu instid0(SALU_CYCLE_1) | instskip(SKIP_2) | instid1(SALU_CYCLE_1)
	s_or_b32 s6, s10, s6
	s_and_b32 s18, s14, 7
	s_and_b32 s6, s6, 7
	s_cmp_lg_u32 s6, 0
	s_cselect_b32 s17, -1, 0
	s_lshl_b64 s[2:3], s[2:3], 16
	s_delay_alu instid0(SALU_CYCLE_1) | instskip(SKIP_2) | instid1(SALU_CYCLE_1)
	s_sub_u32 s6, s8, s2
	s_subb_u32 s7, s9, s3
	s_and_b32 s20, s8, 3
	s_or_b64 s[2:3], s[18:19], s[20:21]
	s_delay_alu instid0(SALU_CYCLE_1) | instskip(SKIP_1) | instid1(SALU_CYCLE_1)
	s_cmp_lg_u64 s[2:3], 0
	s_cselect_b32 s2, -1, 0
	s_or_b32 s2, s17, s2
	s_delay_alu instid0(SALU_CYCLE_1)
	s_and_not1_b32 vcc_lo, exec_lo, s2
	s_mov_b32 s2, -1
	s_cbranch_vccz .LBB64_5
; %bb.1:
	v_dual_mov_b32 v2, 0 :: v_dual_lshlrev_b32 v1, 2, v0
	s_mov_b32 s8, exec_lo
	s_delay_alu instid0(VALU_DEP_1)
	v_cmpx_gt_i64_e64 s[6:7], v[1:2]
	s_cbranch_execz .LBB64_4
; %bb.2:
	s_load_b32 s2, s[0:1], 0xc5c
	v_lshlrev_b32_e32 v1, 3, v0
	s_mov_b32 s9, 0
	s_delay_alu instid0(VALU_DEP_1) | instskip(NEXT) | instid1(VALU_DEP_1)
	v_add_co_u32 v3, s3, s4, v1
	v_add_co_ci_u32_e64 v4, null, s5, 0, s3
	s_waitcnt lgkmcnt(0)
	s_and_b32 s2, s2, 0xffff
	s_delay_alu instid0(SALU_CYCLE_1)
	v_add_lshl_u32 v1, v0, s2, 2
	s_lshl_b32 s17, s2, 3
	s_lshl_b32 s18, s2, 2
.LBB64_3:                               ; =>This Inner Loop Header: Depth=1
	v_add_co_u32 v5, vcc_lo, s14, v3
	v_add_co_ci_u32_e32 v6, vcc_lo, s15, v4, vcc_lo
	v_add_co_u32 v7, vcc_lo, s12, v3
	v_add_co_ci_u32_e32 v8, vcc_lo, s13, v4, vcc_lo
	v_add_co_u32 v9, vcc_lo, s10, v3
	global_load_b64 v[5:6], v[5:6], off
	global_load_b64 v[7:8], v[7:8], off
	v_add_co_ci_u32_e32 v10, vcc_lo, s11, v4, vcc_lo
	v_cmp_le_i64_e32 vcc_lo, s[6:7], v[1:2]
	v_cmp_lt_u64_e64 s2, 0xffff, v[1:2]
	v_add_co_u32 v3, s3, v3, s17
	s_delay_alu instid0(VALU_DEP_1) | instskip(SKIP_1) | instid1(VALU_DEP_4)
	v_add_co_ci_u32_e64 v4, s3, 0, v4, s3
	v_add_co_u32 v1, s3, v1, s18
	s_or_b32 s2, vcc_lo, s2
	v_add_co_ci_u32_e64 v2, s3, 0, v2, s3
	s_and_b32 s2, exec_lo, s2
	s_delay_alu instid0(SALU_CYCLE_1)
	s_or_b32 s9, s2, s9
	s_waitcnt vmcnt(1)
	v_lshrrev_b32_e32 v11, 16, v5
	v_mul_lo_u16 v5, v5, s16
	s_waitcnt vmcnt(0)
	v_lshrrev_b32_e32 v12, 16, v7
	v_mul_lo_u16 v13, v6, s16
	v_lshrrev_b32_e32 v6, 16, v6
	v_mul_lo_u16 v11, v11, s16
	;; [unrolled: 2-line block ×3, first 2 shown]
	v_mul_lo_u16 v8, v13, v8
	v_mul_lo_u16 v6, v6, s16
	;; [unrolled: 1-line block ×3, first 2 shown]
	s_delay_alu instid0(VALU_DEP_4) | instskip(NEXT) | instid1(VALU_DEP_4)
	v_and_b32_e32 v5, 0xffff, v5
	v_and_b32_e32 v8, 0xffff, v8
	s_delay_alu instid0(VALU_DEP_4) | instskip(NEXT) | instid1(VALU_DEP_4)
	v_mul_lo_u16 v6, v6, v14
	v_lshlrev_b32_e32 v7, 16, v7
	s_delay_alu instid0(VALU_DEP_2) | instskip(NEXT) | instid1(VALU_DEP_2)
	v_lshlrev_b32_e32 v6, 16, v6
	v_or_b32_e32 v5, v7, v5
	s_delay_alu instid0(VALU_DEP_2) | instskip(NEXT) | instid1(VALU_DEP_2)
	v_or3_b32 v6, 0, v8, v6
	v_or3_b32 v5, v5, 0, 0
	global_store_b64 v[9:10], v[5:6], off
	s_and_not1_b32 exec_lo, exec_lo, s9
	s_cbranch_execnz .LBB64_3
.LBB64_4:
	s_or_b32 exec_lo, exec_lo, s8
	s_mov_b32 s2, 0
.LBB64_5:
	s_delay_alu instid0(SALU_CYCLE_1)
	s_and_not1_b32 vcc_lo, exec_lo, s2
	s_cbranch_vccnz .LBB64_25
; %bb.6:
	v_cmp_lt_i64_e64 s2, s[6:7], 1
	s_delay_alu instid0(VALU_DEP_1)
	s_and_b32 vcc_lo, exec_lo, s2
	s_cbranch_vccnz .LBB64_25
; %bb.7:
	s_load_b32 s0, s[0:1], 0xc5c
	v_dual_mov_b32 v2, 0 :: v_dual_lshlrev_b32 v1, 1, v0
	v_cmp_gt_u64_e64 s1, 0x10000, s[6:7]
	s_delay_alu instid0(VALU_DEP_2) | instskip(NEXT) | instid1(VALU_DEP_1)
	v_add_co_u32 v3, s2, s14, v1
	v_add_co_ci_u32_e64 v4, null, s15, 0, s2
	v_add_co_u32 v5, s2, s12, v1
	s_delay_alu instid0(VALU_DEP_1) | instskip(SKIP_1) | instid1(VALU_DEP_1)
	v_add_co_ci_u32_e64 v6, null, s13, 0, s2
	v_add_co_u32 v7, s2, s10, v1
	v_add_co_ci_u32_e64 v8, null, s11, 0, s2
	s_waitcnt lgkmcnt(0)
	s_and_b32 s0, s0, 0xffff
	s_and_b32 s1, s1, exec_lo
	v_mad_u64_u32 v[13:14], null, s0, 6, v[1:2]
	s_cselect_b32 s9, s7, 0
	s_cselect_b32 s8, s6, 0x10000
	s_lshl_b32 s17, s0, 2
	s_mul_i32 s2, s0, 3
	v_add_co_u32 v1, s3, s17, v1
	s_delay_alu instid0(VALU_DEP_2) | instskip(NEXT) | instid1(VALU_DEP_3)
	v_add_co_u32 v9, vcc_lo, s14, v13
	v_add_co_ci_u32_e32 v10, vcc_lo, s15, v14, vcc_lo
	v_add_co_u32 v11, vcc_lo, s12, v13
	v_add_co_ci_u32_e32 v12, vcc_lo, s13, v14, vcc_lo
	v_add_co_u32 v13, vcc_lo, s10, v13
	v_add_co_ci_u32_e64 v2, null, 0, 0, s3
	v_add_co_ci_u32_e32 v14, vcc_lo, s11, v14, vcc_lo
	v_add_co_u32 v15, s2, s2, v0
	v_add_co_u32 v17, vcc_lo, s14, v1
	v_add_co_ci_u32_e64 v16, null, 0, 0, s2
	v_add_co_u32 v21, s2, v0, s0
	v_add_co_ci_u32_e32 v18, vcc_lo, s15, v2, vcc_lo
	v_add_co_u32 v19, vcc_lo, s12, v1
	v_add_co_ci_u32_e32 v20, vcc_lo, s13, v2, vcc_lo
	v_add_co_u32 v22, vcc_lo, s10, v1
	v_lshlrev_b32_e32 v1, 1, v21
	s_lshl_b32 s1, s0, 1
	v_add_co_ci_u32_e32 v23, vcc_lo, s11, v2, vcc_lo
	v_add_co_u32 v25, s1, s1, v0
	s_delay_alu instid0(VALU_DEP_1) | instskip(SKIP_1) | instid1(VALU_DEP_1)
	v_add_co_ci_u32_e64 v26, null, 0, 0, s1
	v_add_co_u32 v27, s1, s14, v1
	v_add_co_ci_u32_e64 v28, null, s15, 0, s1
	v_add_co_u32 v29, s1, s12, v1
	s_delay_alu instid0(VALU_DEP_1)
	v_add_co_ci_u32_e64 v30, null, s13, 0, s1
	v_add_co_u32 v31, s1, s10, v1
	v_add_co_ci_u32_e64 v24, null, 0, 0, s2
	v_add_co_ci_u32_e64 v32, null, s11, 0, s1
	s_mov_b32 s12, 0
	s_lshl_b32 s13, s0, 3
	s_mov_b64 s[10:11], 0
	s_branch .LBB64_9
.LBB64_8:                               ;   in Loop: Header=BB64_9 Depth=1
	s_or_b32 exec_lo, exec_lo, s0
	v_add_co_u32 v3, vcc_lo, v3, s13
	v_add_co_ci_u32_e32 v4, vcc_lo, 0, v4, vcc_lo
	v_add_co_u32 v5, vcc_lo, v5, s13
	v_add_co_ci_u32_e32 v6, vcc_lo, 0, v6, vcc_lo
	;; [unrolled: 2-line block ×9, first 2 shown]
	s_add_u32 s10, s10, s17
	v_add_co_u32 v27, vcc_lo, v27, s13
	s_addc_u32 s11, s11, 0
	v_add_co_ci_u32_e32 v28, vcc_lo, 0, v28, vcc_lo
	v_cmp_ge_i64_e64 s0, s[10:11], s[6:7]
	v_cmp_lt_u64_e64 s1, 0xffff, s[10:11]
	v_add_co_u32 v29, vcc_lo, v29, s13
	v_add_co_ci_u32_e32 v30, vcc_lo, 0, v30, vcc_lo
	v_add_co_u32 v31, vcc_lo, v31, s13
	v_add_co_ci_u32_e32 v32, vcc_lo, 0, v32, vcc_lo
	s_or_b32 s0, s0, s1
	s_delay_alu instid0(SALU_CYCLE_1)
	s_and_b32 vcc_lo, exec_lo, s0
	s_cbranch_vccnz .LBB64_25
.LBB64_9:                               ; =>This Inner Loop Header: Depth=1
	v_add_co_u32 v1, s0, v0, s10
	s_delay_alu instid0(VALU_DEP_1) | instskip(SKIP_2) | instid1(VALU_DEP_2)
	v_add_co_ci_u32_e64 v2, null, 0, s11, s0
	s_waitcnt vmcnt(0)
	v_mov_b32_e32 v33, 0
	v_cmp_gt_u64_e32 vcc_lo, s[8:9], v[1:2]
	v_mov_b32_e32 v1, 0
	v_mov_b32_e32 v2, 0
	s_and_saveexec_b32 s1, vcc_lo
	s_cbranch_execz .LBB64_11
; %bb.10:                               ;   in Loop: Header=BB64_9 Depth=1
	v_add_co_u32 v1, s0, v3, s4
	s_delay_alu instid0(VALU_DEP_1) | instskip(SKIP_2) | instid1(VALU_DEP_1)
	v_add_co_ci_u32_e64 v2, s0, s5, v4, s0
	global_load_u16 v34, v[1:2], off
	v_add_co_u32 v1, s0, v5, s4
	v_add_co_ci_u32_e64 v2, s0, s5, v6, s0
	global_load_u16 v33, v[1:2], off
	s_waitcnt vmcnt(1)
	v_dual_mov_b32 v2, s12 :: v_dual_and_b32 v1, 0xffff, v34
.LBB64_11:                              ;   in Loop: Header=BB64_9 Depth=1
	s_or_b32 exec_lo, exec_lo, s1
	v_add_co_u32 v34, s0, v21, s10
	s_delay_alu instid0(VALU_DEP_1) | instskip(NEXT) | instid1(VALU_DEP_1)
	v_add_co_ci_u32_e64 v35, s0, s11, v24, s0
	v_cmp_gt_u64_e64 s0, s[8:9], v[34:35]
	v_dual_mov_b32 v34, 0 :: v_dual_mov_b32 v35, 0
	s_delay_alu instid0(VALU_DEP_2)
	s_and_saveexec_b32 s2, s0
	s_cbranch_execz .LBB64_13
; %bb.12:                               ;   in Loop: Header=BB64_9 Depth=1
	v_add_co_u32 v35, s1, v27, s4
	s_delay_alu instid0(VALU_DEP_1) | instskip(SKIP_2) | instid1(VALU_DEP_1)
	v_add_co_ci_u32_e64 v36, s1, s5, v28, s1
	global_load_u16 v37, v[35:36], off
	v_add_co_u32 v35, s1, v29, s4
	v_add_co_ci_u32_e64 v36, s1, s5, v30, s1
	global_load_u16 v35, v[35:36], off
	s_waitcnt vmcnt(1)
	v_lshl_or_b32 v1, v37, 16, v1
.LBB64_13:                              ;   in Loop: Header=BB64_9 Depth=1
	s_or_b32 exec_lo, exec_lo, s2
	v_add_co_u32 v36, s1, v25, s10
	s_delay_alu instid0(VALU_DEP_1) | instskip(NEXT) | instid1(VALU_DEP_1)
	v_add_co_ci_u32_e64 v37, s1, s11, v26, s1
	v_cmp_gt_u64_e64 s1, s[8:9], v[36:37]
	s_delay_alu instid0(VALU_DEP_1)
	s_and_saveexec_b32 s3, s1
	s_cbranch_execz .LBB64_15
; %bb.14:                               ;   in Loop: Header=BB64_9 Depth=1
	v_add_co_u32 v36, s2, v17, s4
	s_delay_alu instid0(VALU_DEP_1) | instskip(SKIP_2) | instid1(VALU_DEP_1)
	v_add_co_ci_u32_e64 v37, s2, s5, v18, s2
	global_load_u16 v38, v[36:37], off
	v_add_co_u32 v36, s2, v19, s4
	v_add_co_ci_u32_e64 v37, s2, s5, v20, s2
	global_load_u16 v34, v[36:37], off
	s_waitcnt vmcnt(1)
	v_or_b32_e32 v2, v38, v2
.LBB64_15:                              ;   in Loop: Header=BB64_9 Depth=1
	s_or_b32 exec_lo, exec_lo, s3
	v_add_co_u32 v36, s2, v15, s10
	s_delay_alu instid0(VALU_DEP_1) | instskip(NEXT) | instid1(VALU_DEP_1)
	v_add_co_ci_u32_e64 v37, s2, s11, v16, s2
	v_cmp_gt_u64_e64 s2, s[8:9], v[36:37]
	v_mov_b32_e32 v36, 0
	s_delay_alu instid0(VALU_DEP_2)
	s_and_saveexec_b32 s14, s2
	s_cbranch_execnz .LBB64_20
; %bb.16:                               ;   in Loop: Header=BB64_9 Depth=1
	s_or_b32 exec_lo, exec_lo, s14
	s_and_saveexec_b32 s3, vcc_lo
	s_cbranch_execnz .LBB64_21
.LBB64_17:                              ;   in Loop: Header=BB64_9 Depth=1
	s_or_b32 exec_lo, exec_lo, s3
	s_and_saveexec_b32 s3, s0
	s_cbranch_execnz .LBB64_22
.LBB64_18:                              ;   in Loop: Header=BB64_9 Depth=1
	s_or_b32 exec_lo, exec_lo, s3
	s_and_saveexec_b32 s0, s1
	s_cbranch_execnz .LBB64_23
.LBB64_19:                              ;   in Loop: Header=BB64_9 Depth=1
	s_or_b32 exec_lo, exec_lo, s0
	s_and_saveexec_b32 s0, s2
	s_cbranch_execz .LBB64_8
	s_branch .LBB64_24
.LBB64_20:                              ;   in Loop: Header=BB64_9 Depth=1
	v_add_co_u32 v36, s3, v9, s4
	s_delay_alu instid0(VALU_DEP_1) | instskip(SKIP_3) | instid1(VALU_DEP_1)
	v_add_co_ci_u32_e64 v37, s3, s5, v10, s3
	v_mov_b32_e32 v38, 0
	global_load_d16_hi_b16 v38, v[36:37], off
	v_add_co_u32 v36, s3, v11, s4
	v_add_co_ci_u32_e64 v37, s3, s5, v12, s3
	global_load_u16 v36, v[36:37], off
	s_waitcnt vmcnt(1)
	v_or_b32_e32 v2, v38, v2
	s_or_b32 exec_lo, exec_lo, s14
	s_and_saveexec_b32 s3, vcc_lo
	s_cbranch_execz .LBB64_17
.LBB64_21:                              ;   in Loop: Header=BB64_9 Depth=1
	s_waitcnt vmcnt(0)
	v_mul_lo_u16 v33, v33, s16
	v_add_co_u32 v37, vcc_lo, v7, s4
	v_add_co_ci_u32_e32 v38, vcc_lo, s5, v8, vcc_lo
	s_delay_alu instid0(VALU_DEP_3)
	v_mul_lo_u16 v33, v33, v1
	global_store_b16 v[37:38], v33, off
	s_or_b32 exec_lo, exec_lo, s3
	s_and_saveexec_b32 s3, s0
	s_cbranch_execz .LBB64_18
.LBB64_22:                              ;   in Loop: Header=BB64_9 Depth=1
	v_lshrrev_b32_e32 v1, 16, v1
	s_waitcnt vmcnt(0)
	v_mul_lo_u16 v33, v35, s16
	v_add_co_u32 v37, vcc_lo, v31, s4
	v_add_co_ci_u32_e32 v38, vcc_lo, s5, v32, vcc_lo
	s_delay_alu instid0(VALU_DEP_3)
	v_mul_lo_u16 v1, v33, v1
	global_store_b16 v[37:38], v1, off
	s_or_b32 exec_lo, exec_lo, s3
	s_and_saveexec_b32 s0, s1
	s_cbranch_execz .LBB64_19
.LBB64_23:                              ;   in Loop: Header=BB64_9 Depth=1
	s_waitcnt vmcnt(0)
	v_mul_lo_u16 v1, v34, s16
	v_add_co_u32 v33, vcc_lo, v22, s4
	v_add_co_ci_u32_e32 v34, vcc_lo, s5, v23, vcc_lo
	s_delay_alu instid0(VALU_DEP_3)
	v_mul_lo_u16 v1, v1, v2
	global_store_b16 v[33:34], v1, off
	s_or_b32 exec_lo, exec_lo, s0
	s_and_saveexec_b32 s0, s2
	s_cbranch_execz .LBB64_8
.LBB64_24:                              ;   in Loop: Header=BB64_9 Depth=1
	v_lshrrev_b32_e32 v1, 16, v2
	s_waitcnt vmcnt(0)
	v_mul_lo_u16 v2, v36, s16
	s_delay_alu instid0(VALU_DEP_1)
	v_mul_lo_u16 v33, v2, v1
	v_add_co_u32 v1, vcc_lo, v13, s4
	v_add_co_ci_u32_e32 v2, vcc_lo, s5, v14, vcc_lo
	global_store_b16 v[1:2], v33, off
	s_branch .LBB64_8
.LBB64_25:
	s_nop 0
	s_sendmsg sendmsg(MSG_DEALLOC_VGPRS)
	s_endpgm
	.section	.rodata,"a",@progbits
	.p2align	6, 0x0
	.amdhsa_kernel _ZN2at6native12_GLOBAL__N_125multi_tensor_apply_kernelINS1_18TensorListMetadataILi3EEENS1_24BinaryOpListAlphaFunctorIsLi3ELi2ELi2EEEJSt10multipliesIsEsEEEvT_T0_DpT1_
		.amdhsa_group_segment_fixed_size 0
		.amdhsa_private_segment_fixed_size 0
		.amdhsa_kernarg_size 3408
		.amdhsa_user_sgpr_count 15
		.amdhsa_user_sgpr_dispatch_ptr 0
		.amdhsa_user_sgpr_queue_ptr 0
		.amdhsa_user_sgpr_kernarg_segment_ptr 1
		.amdhsa_user_sgpr_dispatch_id 0
		.amdhsa_user_sgpr_private_segment_size 0
		.amdhsa_wavefront_size32 1
		.amdhsa_uses_dynamic_stack 0
		.amdhsa_enable_private_segment 0
		.amdhsa_system_sgpr_workgroup_id_x 1
		.amdhsa_system_sgpr_workgroup_id_y 0
		.amdhsa_system_sgpr_workgroup_id_z 0
		.amdhsa_system_sgpr_workgroup_info 0
		.amdhsa_system_vgpr_workitem_id 0
		.amdhsa_next_free_vgpr 39
		.amdhsa_next_free_sgpr 22
		.amdhsa_reserve_vcc 1
		.amdhsa_float_round_mode_32 0
		.amdhsa_float_round_mode_16_64 0
		.amdhsa_float_denorm_mode_32 3
		.amdhsa_float_denorm_mode_16_64 3
		.amdhsa_dx10_clamp 1
		.amdhsa_ieee_mode 1
		.amdhsa_fp16_overflow 0
		.amdhsa_workgroup_processor_mode 1
		.amdhsa_memory_ordered 1
		.amdhsa_forward_progress 0
		.amdhsa_shared_vgpr_count 0
		.amdhsa_exception_fp_ieee_invalid_op 0
		.amdhsa_exception_fp_denorm_src 0
		.amdhsa_exception_fp_ieee_div_zero 0
		.amdhsa_exception_fp_ieee_overflow 0
		.amdhsa_exception_fp_ieee_underflow 0
		.amdhsa_exception_fp_ieee_inexact 0
		.amdhsa_exception_int_div_zero 0
	.end_amdhsa_kernel
	.section	.text._ZN2at6native12_GLOBAL__N_125multi_tensor_apply_kernelINS1_18TensorListMetadataILi3EEENS1_24BinaryOpListAlphaFunctorIsLi3ELi2ELi2EEEJSt10multipliesIsEsEEEvT_T0_DpT1_,"axG",@progbits,_ZN2at6native12_GLOBAL__N_125multi_tensor_apply_kernelINS1_18TensorListMetadataILi3EEENS1_24BinaryOpListAlphaFunctorIsLi3ELi2ELi2EEEJSt10multipliesIsEsEEEvT_T0_DpT1_,comdat
.Lfunc_end64:
	.size	_ZN2at6native12_GLOBAL__N_125multi_tensor_apply_kernelINS1_18TensorListMetadataILi3EEENS1_24BinaryOpListAlphaFunctorIsLi3ELi2ELi2EEEJSt10multipliesIsEsEEEvT_T0_DpT1_, .Lfunc_end64-_ZN2at6native12_GLOBAL__N_125multi_tensor_apply_kernelINS1_18TensorListMetadataILi3EEENS1_24BinaryOpListAlphaFunctorIsLi3ELi2ELi2EEEJSt10multipliesIsEsEEEvT_T0_DpT1_
                                        ; -- End function
	.section	.AMDGPU.csdata,"",@progbits
; Kernel info:
; codeLenInByte = 1928
; NumSgprs: 24
; NumVgprs: 39
; ScratchSize: 0
; MemoryBound: 0
; FloatMode: 240
; IeeeMode: 1
; LDSByteSize: 0 bytes/workgroup (compile time only)
; SGPRBlocks: 2
; VGPRBlocks: 4
; NumSGPRsForWavesPerEU: 24
; NumVGPRsForWavesPerEU: 39
; Occupancy: 16
; WaveLimiterHint : 0
; COMPUTE_PGM_RSRC2:SCRATCH_EN: 0
; COMPUTE_PGM_RSRC2:USER_SGPR: 15
; COMPUTE_PGM_RSRC2:TRAP_HANDLER: 0
; COMPUTE_PGM_RSRC2:TGID_X_EN: 1
; COMPUTE_PGM_RSRC2:TGID_Y_EN: 0
; COMPUTE_PGM_RSRC2:TGID_Z_EN: 0
; COMPUTE_PGM_RSRC2:TIDIG_COMP_CNT: 0
	.section	.text._ZN2at6native12_GLOBAL__N_125multi_tensor_apply_kernelINS1_18TensorListMetadataILi3EEENS1_24BinaryOpListAlphaFunctorIdLi3ELi2ELi2EEEJSt10multipliesIdEdEEEvT_T0_DpT1_,"axG",@progbits,_ZN2at6native12_GLOBAL__N_125multi_tensor_apply_kernelINS1_18TensorListMetadataILi3EEENS1_24BinaryOpListAlphaFunctorIdLi3ELi2ELi2EEEJSt10multipliesIdEdEEEvT_T0_DpT1_,comdat
	.globl	_ZN2at6native12_GLOBAL__N_125multi_tensor_apply_kernelINS1_18TensorListMetadataILi3EEENS1_24BinaryOpListAlphaFunctorIdLi3ELi2ELi2EEEJSt10multipliesIdEdEEEvT_T0_DpT1_ ; -- Begin function _ZN2at6native12_GLOBAL__N_125multi_tensor_apply_kernelINS1_18TensorListMetadataILi3EEENS1_24BinaryOpListAlphaFunctorIdLi3ELi2ELi2EEEJSt10multipliesIdEdEEEvT_T0_DpT1_
	.p2align	8
	.type	_ZN2at6native12_GLOBAL__N_125multi_tensor_apply_kernelINS1_18TensorListMetadataILi3EEENS1_24BinaryOpListAlphaFunctorIdLi3ELi2ELi2EEEJSt10multipliesIdEdEEEvT_T0_DpT1_,@function
_ZN2at6native12_GLOBAL__N_125multi_tensor_apply_kernelINS1_18TensorListMetadataILi3EEENS1_24BinaryOpListAlphaFunctorIdLi3ELi2ELi2EEEJSt10multipliesIdEdEEEvT_T0_DpT1_: ; @_ZN2at6native12_GLOBAL__N_125multi_tensor_apply_kernelINS1_18TensorListMetadataILi3EEENS1_24BinaryOpListAlphaFunctorIdLi3ELi2ELi2EEEJSt10multipliesIdEdEEEvT_T0_DpT1_
; %bb.0:
	v_mov_b32_e32 v1, s15
	s_add_u32 s2, s0, s15
	s_mul_hi_u32 s3, s15, 3
	s_mul_i32 s15, s15, 3
	s_addc_u32 s4, s1, 0
	global_load_u8 v1, v1, s[0:1] offset:1536
	s_add_u32 s2, s2, s15
	s_addc_u32 s3, s4, s3
	s_mov_b32 s23, 0
	s_load_b32 s2, s[2:3], 0x740
	s_mov_b32 s25, s23
	s_waitcnt vmcnt(0)
	v_readfirstlane_b32 s3, v1
	s_delay_alu instid0(VALU_DEP_1)
	s_lshl_b32 s3, s3, 3
	s_clause 0x3
	s_load_b64 s[12:13], s[0:1], s3 offset:0x0
	s_load_b64 s[14:15], s[0:1], s3 offset:0x180
	;; [unrolled: 1-line block ×4, first 2 shown]
	s_waitcnt lgkmcnt(0)
	s_ashr_i32 s3, s2, 31
	s_delay_alu instid0(SALU_CYCLE_1) | instskip(NEXT) | instid1(SALU_CYCLE_1)
	s_lshl_b64 s[4:5], s[2:3], 19
	s_add_u32 s10, s12, s4
	s_addc_u32 s11, s13, s5
	s_and_b32 s22, s10, 31
	s_add_u32 s18, s14, s4
	s_addc_u32 s19, s15, s5
	s_add_u32 s20, s16, s4
	s_addc_u32 s21, s17, s5
	s_or_b32 s6, s20, s18
	s_delay_alu instid0(SALU_CYCLE_1) | instskip(NEXT) | instid1(SALU_CYCLE_1)
	s_and_b32 s6, s6, 31
	s_cmp_lg_u32 s6, 0
	s_cselect_b32 s26, -1, 0
	s_lshl_b64 s[2:3], s[2:3], 16
	s_delay_alu instid0(SALU_CYCLE_1) | instskip(SKIP_4) | instid1(SALU_CYCLE_1)
	s_sub_u32 s6, s8, s2
	s_subb_u32 s7, s9, s3
	s_and_b32 s24, s8, 3
	s_load_b64 s[8:9], s[0:1], 0xc50
	s_or_b64 s[2:3], s[22:23], s[24:25]
	s_cmp_lg_u64 s[2:3], 0
	s_cselect_b32 s2, -1, 0
	s_delay_alu instid0(SALU_CYCLE_1) | instskip(NEXT) | instid1(SALU_CYCLE_1)
	s_or_b32 s2, s26, s2
	s_and_not1_b32 vcc_lo, exec_lo, s2
	s_mov_b32 s2, -1
	s_cbranch_vccz .LBB65_5
; %bb.1:
	v_dual_mov_b32 v2, 0 :: v_dual_lshlrev_b32 v1, 2, v0
	s_mov_b32 s22, exec_lo
	s_delay_alu instid0(VALU_DEP_1)
	v_cmpx_gt_i64_e64 s[6:7], v[1:2]
	s_cbranch_execz .LBB65_4
; %bb.2:
	s_load_b32 s2, s[0:1], 0xc64
	v_lshlrev_b32_e32 v3, 5, v0
	s_waitcnt lgkmcnt(0)
	s_and_b32 s2, s2, 0xffff
	s_delay_alu instid0(SALU_CYCLE_1)
	v_add_lshl_u32 v1, v0, s2, 2
	s_lshl_b32 s24, s2, 2
	s_lshl_b32 s25, s2, 5
.LBB65_3:                               ; =>This Inner Loop Header: Depth=1
	v_add_co_u32 v8, s2, s18, v3
	s_delay_alu instid0(VALU_DEP_1) | instskip(SKIP_1) | instid1(VALU_DEP_1)
	v_add_co_ci_u32_e64 v9, null, s19, 0, s2
	v_add_co_u32 v16, s2, s10, v3
	v_add_co_ci_u32_e64 v17, null, s11, 0, s2
	s_clause 0x1
	global_load_b128 v[4:7], v[8:9], off
	global_load_b128 v[8:11], v[8:9], off offset:16
	s_clause 0x1
	global_load_b128 v[12:15], v[16:17], off
	global_load_b128 v[16:19], v[16:17], off offset:16
	v_cmp_le_i64_e32 vcc_lo, s[6:7], v[1:2]
	v_cmp_lt_u64_e64 s2, 0xffff, v[1:2]
	s_delay_alu instid0(VALU_DEP_1)
	s_or_b32 s2, vcc_lo, s2
	s_add_u32 s10, s10, s25
	s_addc_u32 s11, s11, 0
	s_waitcnt vmcnt(3)
	v_mul_f64 v[4:5], v[4:5], s[8:9]
	v_mul_f64 v[6:7], v[6:7], s[8:9]
	s_waitcnt vmcnt(2)
	v_mul_f64 v[8:9], v[8:9], s[8:9]
	v_mul_f64 v[10:11], v[10:11], s[8:9]
	s_waitcnt vmcnt(1)
	s_delay_alu instid0(VALU_DEP_4) | instskip(NEXT) | instid1(VALU_DEP_4)
	v_mul_f64 v[4:5], v[12:13], v[4:5]
	v_mul_f64 v[6:7], v[14:15], v[6:7]
	s_waitcnt vmcnt(0)
	s_delay_alu instid0(VALU_DEP_4) | instskip(NEXT) | instid1(VALU_DEP_4)
	v_mul_f64 v[8:9], v[16:17], v[8:9]
	v_mul_f64 v[10:11], v[18:19], v[10:11]
	v_add_co_u32 v12, s3, s20, v3
	s_add_u32 s20, s20, s25
	v_add_co_ci_u32_e64 v13, null, s21, 0, s3
	v_add_co_u32 v1, s3, v1, s24
	s_addc_u32 s21, s21, 0
	s_add_u32 s18, s18, s25
	v_add_co_ci_u32_e64 v2, s3, 0, v2, s3
	s_addc_u32 s19, s19, 0
	s_and_b32 s2, exec_lo, s2
	s_clause 0x1
	global_store_b128 v[12:13], v[4:7], off
	global_store_b128 v[12:13], v[8:11], off offset:16
	s_or_b32 s23, s2, s23
	s_delay_alu instid0(SALU_CYCLE_1)
	s_and_not1_b32 exec_lo, exec_lo, s23
	s_cbranch_execnz .LBB65_3
.LBB65_4:
	s_or_b32 exec_lo, exec_lo, s22
	s_mov_b32 s2, 0
.LBB65_5:
	s_delay_alu instid0(SALU_CYCLE_1)
	s_and_not1_b32 vcc_lo, exec_lo, s2
	s_cbranch_vccnz .LBB65_25
; %bb.6:
	v_cmp_lt_i64_e64 s2, s[6:7], 1
	s_delay_alu instid0(VALU_DEP_1)
	s_and_b32 vcc_lo, exec_lo, s2
	s_cbranch_vccnz .LBB65_25
; %bb.7:
	s_load_b32 s0, s[0:1], 0xc64
	v_dual_mov_b32 v2, 0 :: v_dual_lshlrev_b32 v1, 3, v0
	v_cmp_gt_u64_e64 s1, 0x10000, s[6:7]
	s_delay_alu instid0(VALU_DEP_2) | instskip(NEXT) | instid1(VALU_DEP_1)
	v_add_co_u32 v17, s2, s12, v1
	v_add_co_ci_u32_e64 v18, null, s13, 0, s2
	v_add_co_u32 v19, s2, s14, v1
	s_delay_alu instid0(VALU_DEP_1) | instskip(SKIP_1) | instid1(VALU_DEP_1)
	v_add_co_ci_u32_e64 v20, null, s15, 0, s2
	v_add_co_u32 v21, s2, s16, v1
	v_add_co_ci_u32_e64 v22, null, s17, 0, s2
	s_waitcnt lgkmcnt(0)
	s_and_b32 s0, s0, 0xffff
	s_and_b32 s1, s1, exec_lo
	v_mad_u64_u32 v[3:4], null, s0, 24, v[1:2]
	s_cselect_b32 s11, s7, 0
	s_cselect_b32 s10, s6, 0x10000
	s_lshl_b32 s3, s0, 4
	s_mul_i32 s2, s0, 3
	v_add_co_u32 v1, s3, s3, v1
	s_delay_alu instid0(VALU_DEP_2) | instskip(NEXT) | instid1(VALU_DEP_3)
	v_add_co_u32 v23, vcc_lo, s12, v3
	v_add_co_ci_u32_e32 v24, vcc_lo, s13, v4, vcc_lo
	v_add_co_u32 v25, vcc_lo, s14, v3
	v_add_co_ci_u32_e32 v26, vcc_lo, s15, v4, vcc_lo
	v_add_co_u32 v27, vcc_lo, s16, v3
	v_add_co_ci_u32_e64 v2, null, 0, 0, s3
	v_add_co_ci_u32_e32 v28, vcc_lo, s17, v4, vcc_lo
	v_add_co_u32 v29, s2, s2, v0
	v_add_co_u32 v31, vcc_lo, s12, v1
	v_add_co_ci_u32_e64 v30, null, 0, 0, s2
	v_add_co_u32 v35, s2, v0, s0
	v_add_co_ci_u32_e32 v32, vcc_lo, s13, v2, vcc_lo
	v_add_co_u32 v33, vcc_lo, s14, v1
	v_add_co_ci_u32_e32 v34, vcc_lo, s15, v2, vcc_lo
	v_add_co_u32 v36, vcc_lo, s16, v1
	v_lshlrev_b32_e32 v1, 3, v35
	s_lshl_b32 s1, s0, 1
	v_add_co_ci_u32_e32 v37, vcc_lo, s17, v2, vcc_lo
	v_add_co_u32 v39, s1, s1, v0
	s_delay_alu instid0(VALU_DEP_1) | instskip(SKIP_1) | instid1(VALU_DEP_1)
	v_add_co_ci_u32_e64 v40, null, 0, 0, s1
	v_add_co_u32 v41, s1, s12, v1
	v_add_co_ci_u32_e64 v42, null, s13, 0, s1
	v_add_co_u32 v43, s1, s14, v1
	s_delay_alu instid0(VALU_DEP_1)
	v_add_co_ci_u32_e64 v44, null, s15, 0, s1
	v_add_co_u32 v45, s1, s16, v1
	v_add_co_ci_u32_e64 v38, null, 0, 0, s2
	v_add_co_ci_u32_e64 v46, null, s17, 0, s1
	s_lshl_b32 s14, s0, 2
	s_lshl_b32 s15, s0, 5
	s_mov_b64 s[12:13], 0
	s_branch .LBB65_9
.LBB65_8:                               ;   in Loop: Header=BB65_9 Depth=1
	s_or_b32 exec_lo, exec_lo, s0
	v_add_co_u32 v17, vcc_lo, v17, s15
	v_add_co_ci_u32_e32 v18, vcc_lo, 0, v18, vcc_lo
	v_add_co_u32 v19, vcc_lo, v19, s15
	v_add_co_ci_u32_e32 v20, vcc_lo, 0, v20, vcc_lo
	v_add_co_u32 v21, vcc_lo, v21, s15
	v_add_co_ci_u32_e32 v22, vcc_lo, 0, v22, vcc_lo
	v_add_co_u32 v23, vcc_lo, v23, s15
	v_add_co_ci_u32_e32 v24, vcc_lo, 0, v24, vcc_lo
	v_add_co_u32 v25, vcc_lo, v25, s15
	v_add_co_ci_u32_e32 v26, vcc_lo, 0, v26, vcc_lo
	v_add_co_u32 v27, vcc_lo, v27, s15
	v_add_co_ci_u32_e32 v28, vcc_lo, 0, v28, vcc_lo
	v_add_co_u32 v31, vcc_lo, v31, s15
	v_add_co_ci_u32_e32 v32, vcc_lo, 0, v32, vcc_lo
	v_add_co_u32 v33, vcc_lo, v33, s15
	v_add_co_ci_u32_e32 v34, vcc_lo, 0, v34, vcc_lo
	v_add_co_u32 v36, vcc_lo, v36, s15
	v_add_co_ci_u32_e32 v37, vcc_lo, 0, v37, vcc_lo
	s_add_u32 s12, s12, s14
	v_add_co_u32 v41, vcc_lo, v41, s15
	s_addc_u32 s13, s13, 0
	v_add_co_ci_u32_e32 v42, vcc_lo, 0, v42, vcc_lo
	v_cmp_ge_i64_e64 s0, s[12:13], s[6:7]
	v_cmp_lt_u64_e64 s1, 0xffff, s[12:13]
	v_add_co_u32 v43, vcc_lo, v43, s15
	v_add_co_ci_u32_e32 v44, vcc_lo, 0, v44, vcc_lo
	v_add_co_u32 v45, vcc_lo, v45, s15
	v_add_co_ci_u32_e32 v46, vcc_lo, 0, v46, vcc_lo
	s_or_b32 s0, s0, s1
	s_delay_alu instid0(SALU_CYCLE_1)
	s_and_b32 vcc_lo, exec_lo, s0
	s_cbranch_vccnz .LBB65_25
.LBB65_9:                               ; =>This Inner Loop Header: Depth=1
	s_waitcnt vmcnt(1)
	v_add_co_u32 v3, s0, v0, s12
	s_delay_alu instid0(VALU_DEP_1) | instskip(SKIP_2) | instid1(VALU_DEP_3)
	v_add_co_ci_u32_e64 v4, null, 0, s13, s0
	v_mov_b32_e32 v1, 0
	v_mov_b32_e32 v2, 0
	v_cmp_gt_u64_e32 vcc_lo, s[10:11], v[3:4]
	s_delay_alu instid0(VALU_DEP_2)
	v_dual_mov_b32 v4, v2 :: v_dual_mov_b32 v3, v1
	s_waitcnt vmcnt(0)
	v_dual_mov_b32 v6, v2 :: v_dual_mov_b32 v5, v1
	s_and_saveexec_b32 s1, vcc_lo
	s_cbranch_execz .LBB65_11
; %bb.10:                               ;   in Loop: Header=BB65_9 Depth=1
	v_add_co_u32 v3, s0, v17, s4
	s_delay_alu instid0(VALU_DEP_1) | instskip(SKIP_1) | instid1(VALU_DEP_1)
	v_add_co_ci_u32_e64 v4, s0, s5, v18, s0
	v_add_co_u32 v5, s0, v19, s4
	v_add_co_ci_u32_e64 v6, s0, s5, v20, s0
	global_load_b64 v[3:4], v[3:4], off
	global_load_b64 v[5:6], v[5:6], off
.LBB65_11:                              ;   in Loop: Header=BB65_9 Depth=1
	s_or_b32 exec_lo, exec_lo, s1
	v_add_co_u32 v7, s0, v35, s12
	s_delay_alu instid0(VALU_DEP_1) | instskip(SKIP_1) | instid1(VALU_DEP_2)
	v_add_co_ci_u32_e64 v8, s0, s13, v38, s0
	v_dual_mov_b32 v10, v2 :: v_dual_mov_b32 v9, v1
	v_cmp_gt_u64_e64 s0, s[10:11], v[7:8]
	s_delay_alu instid0(VALU_DEP_1)
	s_and_saveexec_b32 s2, s0
	s_cbranch_execz .LBB65_13
; %bb.12:                               ;   in Loop: Header=BB65_9 Depth=1
	v_add_co_u32 v1, s1, v41, s4
	s_delay_alu instid0(VALU_DEP_1) | instskip(SKIP_1) | instid1(VALU_DEP_1)
	v_add_co_ci_u32_e64 v2, s1, s5, v42, s1
	v_add_co_u32 v7, s1, v43, s4
	v_add_co_ci_u32_e64 v8, s1, s5, v44, s1
	global_load_b64 v[1:2], v[1:2], off
	global_load_b64 v[9:10], v[7:8], off
.LBB65_13:                              ;   in Loop: Header=BB65_9 Depth=1
	s_or_b32 exec_lo, exec_lo, s2
	v_add_co_u32 v11, s1, v39, s12
	s_delay_alu instid0(VALU_DEP_1) | instskip(SKIP_2) | instid1(VALU_DEP_3)
	v_add_co_ci_u32_e64 v12, s1, s13, v40, s1
	v_mov_b32_e32 v7, 0
	v_mov_b32_e32 v8, 0
	v_cmp_gt_u64_e64 s1, s[10:11], v[11:12]
	s_delay_alu instid0(VALU_DEP_2) | instskip(SKIP_1) | instid1(VALU_DEP_3)
	v_dual_mov_b32 v12, v8 :: v_dual_mov_b32 v11, v7
	v_dual_mov_b32 v14, v8 :: v_dual_mov_b32 v13, v7
	s_and_saveexec_b32 s3, s1
	s_cbranch_execz .LBB65_15
; %bb.14:                               ;   in Loop: Header=BB65_9 Depth=1
	v_add_co_u32 v11, s2, v31, s4
	s_delay_alu instid0(VALU_DEP_1) | instskip(SKIP_1) | instid1(VALU_DEP_1)
	v_add_co_ci_u32_e64 v12, s2, s5, v32, s2
	v_add_co_u32 v13, s2, v33, s4
	v_add_co_ci_u32_e64 v14, s2, s5, v34, s2
	global_load_b64 v[11:12], v[11:12], off
	global_load_b64 v[13:14], v[13:14], off
.LBB65_15:                              ;   in Loop: Header=BB65_9 Depth=1
	s_or_b32 exec_lo, exec_lo, s3
	v_add_co_u32 v15, s2, v29, s12
	s_delay_alu instid0(VALU_DEP_1) | instskip(NEXT) | instid1(VALU_DEP_1)
	v_add_co_ci_u32_e64 v16, s2, s13, v30, s2
	v_cmp_gt_u64_e64 s2, s[10:11], v[15:16]
	v_dual_mov_b32 v16, v8 :: v_dual_mov_b32 v15, v7
	s_delay_alu instid0(VALU_DEP_2)
	s_and_saveexec_b32 s16, s2
	s_cbranch_execnz .LBB65_20
; %bb.16:                               ;   in Loop: Header=BB65_9 Depth=1
	s_or_b32 exec_lo, exec_lo, s16
	s_and_saveexec_b32 s3, vcc_lo
	s_cbranch_execnz .LBB65_21
.LBB65_17:                              ;   in Loop: Header=BB65_9 Depth=1
	s_or_b32 exec_lo, exec_lo, s3
	s_and_saveexec_b32 s3, s0
	s_cbranch_execnz .LBB65_22
.LBB65_18:                              ;   in Loop: Header=BB65_9 Depth=1
	s_or_b32 exec_lo, exec_lo, s3
	s_and_saveexec_b32 s0, s1
	s_cbranch_execnz .LBB65_23
.LBB65_19:                              ;   in Loop: Header=BB65_9 Depth=1
	s_or_b32 exec_lo, exec_lo, s0
	s_and_saveexec_b32 s0, s2
	s_cbranch_execz .LBB65_8
	s_branch .LBB65_24
.LBB65_20:                              ;   in Loop: Header=BB65_9 Depth=1
	v_add_co_u32 v7, s3, v23, s4
	s_delay_alu instid0(VALU_DEP_1) | instskip(SKIP_1) | instid1(VALU_DEP_1)
	v_add_co_ci_u32_e64 v8, s3, s5, v24, s3
	v_add_co_u32 v15, s3, v25, s4
	v_add_co_ci_u32_e64 v16, s3, s5, v26, s3
	global_load_b64 v[7:8], v[7:8], off
	global_load_b64 v[15:16], v[15:16], off
	s_or_b32 exec_lo, exec_lo, s16
	s_and_saveexec_b32 s3, vcc_lo
	s_cbranch_execz .LBB65_17
.LBB65_21:                              ;   in Loop: Header=BB65_9 Depth=1
	s_waitcnt vmcnt(0)
	v_mul_f64 v[5:6], v[5:6], s[8:9]
	s_delay_alu instid0(VALU_DEP_1)
	v_mul_f64 v[3:4], v[3:4], v[5:6]
	v_add_co_u32 v5, vcc_lo, v21, s4
	v_add_co_ci_u32_e32 v6, vcc_lo, s5, v22, vcc_lo
	global_store_b64 v[5:6], v[3:4], off
	s_or_b32 exec_lo, exec_lo, s3
	s_and_saveexec_b32 s3, s0
	s_cbranch_execz .LBB65_18
.LBB65_22:                              ;   in Loop: Header=BB65_9 Depth=1
	s_waitcnt vmcnt(0)
	v_mul_f64 v[3:4], v[9:10], s[8:9]
	s_delay_alu instid0(VALU_DEP_1)
	v_mul_f64 v[1:2], v[1:2], v[3:4]
	v_add_co_u32 v3, vcc_lo, v45, s4
	v_add_co_ci_u32_e32 v4, vcc_lo, s5, v46, vcc_lo
	global_store_b64 v[3:4], v[1:2], off
	s_or_b32 exec_lo, exec_lo, s3
	s_and_saveexec_b32 s0, s1
	s_cbranch_execz .LBB65_19
.LBB65_23:                              ;   in Loop: Header=BB65_9 Depth=1
	s_waitcnt vmcnt(0)
	v_mul_f64 v[1:2], v[13:14], s[8:9]
	v_add_co_u32 v3, vcc_lo, v36, s4
	v_add_co_ci_u32_e32 v4, vcc_lo, s5, v37, vcc_lo
	s_delay_alu instid0(VALU_DEP_3)
	v_mul_f64 v[1:2], v[11:12], v[1:2]
	global_store_b64 v[3:4], v[1:2], off
	s_or_b32 exec_lo, exec_lo, s0
	s_and_saveexec_b32 s0, s2
	s_cbranch_execz .LBB65_8
.LBB65_24:                              ;   in Loop: Header=BB65_9 Depth=1
	s_waitcnt vmcnt(0)
	v_mul_f64 v[1:2], v[15:16], s[8:9]
	v_add_co_u32 v3, vcc_lo, v27, s4
	v_add_co_ci_u32_e32 v4, vcc_lo, s5, v28, vcc_lo
	s_delay_alu instid0(VALU_DEP_3)
	v_mul_f64 v[1:2], v[7:8], v[1:2]
	global_store_b64 v[3:4], v[1:2], off
	s_branch .LBB65_8
.LBB65_25:
	s_nop 0
	s_sendmsg sendmsg(MSG_DEALLOC_VGPRS)
	s_endpgm
	.section	.rodata,"a",@progbits
	.p2align	6, 0x0
	.amdhsa_kernel _ZN2at6native12_GLOBAL__N_125multi_tensor_apply_kernelINS1_18TensorListMetadataILi3EEENS1_24BinaryOpListAlphaFunctorIdLi3ELi2ELi2EEEJSt10multipliesIdEdEEEvT_T0_DpT1_
		.amdhsa_group_segment_fixed_size 0
		.amdhsa_private_segment_fixed_size 0
		.amdhsa_kernarg_size 3416
		.amdhsa_user_sgpr_count 15
		.amdhsa_user_sgpr_dispatch_ptr 0
		.amdhsa_user_sgpr_queue_ptr 0
		.amdhsa_user_sgpr_kernarg_segment_ptr 1
		.amdhsa_user_sgpr_dispatch_id 0
		.amdhsa_user_sgpr_private_segment_size 0
		.amdhsa_wavefront_size32 1
		.amdhsa_uses_dynamic_stack 0
		.amdhsa_enable_private_segment 0
		.amdhsa_system_sgpr_workgroup_id_x 1
		.amdhsa_system_sgpr_workgroup_id_y 0
		.amdhsa_system_sgpr_workgroup_id_z 0
		.amdhsa_system_sgpr_workgroup_info 0
		.amdhsa_system_vgpr_workitem_id 0
		.amdhsa_next_free_vgpr 47
		.amdhsa_next_free_sgpr 27
		.amdhsa_reserve_vcc 1
		.amdhsa_float_round_mode_32 0
		.amdhsa_float_round_mode_16_64 0
		.amdhsa_float_denorm_mode_32 3
		.amdhsa_float_denorm_mode_16_64 3
		.amdhsa_dx10_clamp 1
		.amdhsa_ieee_mode 1
		.amdhsa_fp16_overflow 0
		.amdhsa_workgroup_processor_mode 1
		.amdhsa_memory_ordered 1
		.amdhsa_forward_progress 0
		.amdhsa_shared_vgpr_count 0
		.amdhsa_exception_fp_ieee_invalid_op 0
		.amdhsa_exception_fp_denorm_src 0
		.amdhsa_exception_fp_ieee_div_zero 0
		.amdhsa_exception_fp_ieee_overflow 0
		.amdhsa_exception_fp_ieee_underflow 0
		.amdhsa_exception_fp_ieee_inexact 0
		.amdhsa_exception_int_div_zero 0
	.end_amdhsa_kernel
	.section	.text._ZN2at6native12_GLOBAL__N_125multi_tensor_apply_kernelINS1_18TensorListMetadataILi3EEENS1_24BinaryOpListAlphaFunctorIdLi3ELi2ELi2EEEJSt10multipliesIdEdEEEvT_T0_DpT1_,"axG",@progbits,_ZN2at6native12_GLOBAL__N_125multi_tensor_apply_kernelINS1_18TensorListMetadataILi3EEENS1_24BinaryOpListAlphaFunctorIdLi3ELi2ELi2EEEJSt10multipliesIdEdEEEvT_T0_DpT1_,comdat
.Lfunc_end65:
	.size	_ZN2at6native12_GLOBAL__N_125multi_tensor_apply_kernelINS1_18TensorListMetadataILi3EEENS1_24BinaryOpListAlphaFunctorIdLi3ELi2ELi2EEEJSt10multipliesIdEdEEEvT_T0_DpT1_, .Lfunc_end65-_ZN2at6native12_GLOBAL__N_125multi_tensor_apply_kernelINS1_18TensorListMetadataILi3EEENS1_24BinaryOpListAlphaFunctorIdLi3ELi2ELi2EEEJSt10multipliesIdEdEEEvT_T0_DpT1_
                                        ; -- End function
	.section	.AMDGPU.csdata,"",@progbits
; Kernel info:
; codeLenInByte = 1904
; NumSgprs: 29
; NumVgprs: 47
; ScratchSize: 0
; MemoryBound: 0
; FloatMode: 240
; IeeeMode: 1
; LDSByteSize: 0 bytes/workgroup (compile time only)
; SGPRBlocks: 3
; VGPRBlocks: 5
; NumSGPRsForWavesPerEU: 29
; NumVGPRsForWavesPerEU: 47
; Occupancy: 16
; WaveLimiterHint : 0
; COMPUTE_PGM_RSRC2:SCRATCH_EN: 0
; COMPUTE_PGM_RSRC2:USER_SGPR: 15
; COMPUTE_PGM_RSRC2:TRAP_HANDLER: 0
; COMPUTE_PGM_RSRC2:TGID_X_EN: 1
; COMPUTE_PGM_RSRC2:TGID_Y_EN: 0
; COMPUTE_PGM_RSRC2:TGID_Z_EN: 0
; COMPUTE_PGM_RSRC2:TIDIG_COMP_CNT: 0
	.section	.text._ZN2at6native12_GLOBAL__N_125multi_tensor_apply_kernelINS1_18TensorListMetadataILi3EEENS1_24BinaryOpListAlphaFunctorIfLi3ELi2ELi2EEEJSt10multipliesIfEfEEEvT_T0_DpT1_,"axG",@progbits,_ZN2at6native12_GLOBAL__N_125multi_tensor_apply_kernelINS1_18TensorListMetadataILi3EEENS1_24BinaryOpListAlphaFunctorIfLi3ELi2ELi2EEEJSt10multipliesIfEfEEEvT_T0_DpT1_,comdat
	.globl	_ZN2at6native12_GLOBAL__N_125multi_tensor_apply_kernelINS1_18TensorListMetadataILi3EEENS1_24BinaryOpListAlphaFunctorIfLi3ELi2ELi2EEEJSt10multipliesIfEfEEEvT_T0_DpT1_ ; -- Begin function _ZN2at6native12_GLOBAL__N_125multi_tensor_apply_kernelINS1_18TensorListMetadataILi3EEENS1_24BinaryOpListAlphaFunctorIfLi3ELi2ELi2EEEJSt10multipliesIfEfEEEvT_T0_DpT1_
	.p2align	8
	.type	_ZN2at6native12_GLOBAL__N_125multi_tensor_apply_kernelINS1_18TensorListMetadataILi3EEENS1_24BinaryOpListAlphaFunctorIfLi3ELi2ELi2EEEJSt10multipliesIfEfEEEvT_T0_DpT1_,@function
_ZN2at6native12_GLOBAL__N_125multi_tensor_apply_kernelINS1_18TensorListMetadataILi3EEENS1_24BinaryOpListAlphaFunctorIfLi3ELi2ELi2EEEJSt10multipliesIfEfEEEvT_T0_DpT1_: ; @_ZN2at6native12_GLOBAL__N_125multi_tensor_apply_kernelINS1_18TensorListMetadataILi3EEENS1_24BinaryOpListAlphaFunctorIfLi3ELi2ELi2EEEJSt10multipliesIfEfEEEvT_T0_DpT1_
; %bb.0:
	v_mov_b32_e32 v1, s15
	s_add_u32 s2, s0, s15
	s_mul_hi_u32 s3, s15, 3
	s_mul_i32 s15, s15, 3
	s_addc_u32 s4, s1, 0
	global_load_u8 v1, v1, s[0:1] offset:1536
	s_load_b32 s16, s[0:1], 0xc4c
	s_add_u32 s2, s2, s15
	s_addc_u32 s3, s4, s3
	s_mov_b32 s25, 0
	s_load_b32 s2, s[2:3], 0x740
	s_mov_b32 s27, s25
	s_waitcnt vmcnt(0)
	v_readfirstlane_b32 s3, v1
	s_delay_alu instid0(VALU_DEP_1)
	s_lshl_b32 s3, s3, 3
	s_clause 0x3
	s_load_b64 s[10:11], s[0:1], s3 offset:0x0
	s_load_b64 s[12:13], s[0:1], s3 offset:0x180
	;; [unrolled: 1-line block ×4, first 2 shown]
	s_waitcnt lgkmcnt(0)
	s_ashr_i32 s3, s2, 31
	s_delay_alu instid0(SALU_CYCLE_1) | instskip(NEXT) | instid1(SALU_CYCLE_1)
	s_lshl_b64 s[4:5], s[2:3], 18
	s_add_u32 s8, s10, s4
	s_addc_u32 s9, s11, s5
	s_and_b32 s24, s8, 15
	s_add_u32 s17, s12, s4
	s_addc_u32 s18, s13, s5
	s_add_u32 s19, s14, s4
	s_addc_u32 s20, s15, s5
	s_or_b32 s6, s19, s17
	s_delay_alu instid0(SALU_CYCLE_1) | instskip(NEXT) | instid1(SALU_CYCLE_1)
	s_and_b32 s6, s6, 15
	s_cmp_lg_u32 s6, 0
	s_cselect_b32 s21, -1, 0
	s_lshl_b64 s[2:3], s[2:3], 16
	s_delay_alu instid0(SALU_CYCLE_1) | instskip(SKIP_2) | instid1(SALU_CYCLE_1)
	s_sub_u32 s6, s22, s2
	s_subb_u32 s7, s23, s3
	s_and_b32 s26, s22, 3
	s_or_b64 s[2:3], s[24:25], s[26:27]
	s_delay_alu instid0(SALU_CYCLE_1) | instskip(SKIP_1) | instid1(SALU_CYCLE_1)
	s_cmp_lg_u64 s[2:3], 0
	s_cselect_b32 s2, -1, 0
	s_or_b32 s2, s21, s2
	s_delay_alu instid0(SALU_CYCLE_1)
	s_and_not1_b32 vcc_lo, exec_lo, s2
	s_mov_b32 s2, -1
	s_cbranch_vccz .LBB66_5
; %bb.1:
	v_dual_mov_b32 v2, 0 :: v_dual_lshlrev_b32 v1, 2, v0
	s_mov_b32 s21, exec_lo
	s_delay_alu instid0(VALU_DEP_1)
	v_cmpx_gt_i64_e64 s[6:7], v[1:2]
	s_cbranch_execz .LBB66_4
; %bb.2:
	s_load_b32 s2, s[0:1], 0xc5c
	v_lshlrev_b32_e32 v3, 4, v0
	s_mov_b32 s22, 0
	s_waitcnt lgkmcnt(0)
	s_and_b32 s2, s2, 0xffff
	s_delay_alu instid0(SALU_CYCLE_1)
	v_add_lshl_u32 v1, v0, s2, 2
	s_lshl_b32 s23, s2, 2
	s_lshl_b32 s24, s2, 4
	s_set_inst_prefetch_distance 0x1
	.p2align	6
.LBB66_3:                               ; =>This Inner Loop Header: Depth=1
	v_add_co_u32 v4, s2, s17, v3
	s_delay_alu instid0(VALU_DEP_1) | instskip(SKIP_1) | instid1(VALU_DEP_1)
	v_add_co_ci_u32_e64 v5, null, s18, 0, s2
	v_add_co_u32 v8, s2, s8, v3
	v_add_co_ci_u32_e64 v9, null, s9, 0, s2
	global_load_b128 v[4:7], v[4:5], off
	global_load_b128 v[8:11], v[8:9], off
	v_cmp_le_i64_e32 vcc_lo, s[6:7], v[1:2]
	v_cmp_lt_u64_e64 s2, 0xffff, v[1:2]
	v_add_co_u32 v12, s3, s19, v3
	s_delay_alu instid0(VALU_DEP_1) | instskip(SKIP_1) | instid1(VALU_DEP_4)
	v_add_co_ci_u32_e64 v13, null, s20, 0, s3
	v_add_co_u32 v1, s3, v1, s23
	s_or_b32 s2, vcc_lo, s2
	s_add_u32 s8, s8, s24
	s_addc_u32 s9, s9, 0
	s_add_u32 s19, s19, s24
	s_addc_u32 s20, s20, 0
	s_add_u32 s17, s17, s24
	v_add_co_ci_u32_e64 v2, s3, 0, v2, s3
	s_addc_u32 s18, s18, 0
	s_and_b32 s2, exec_lo, s2
	s_delay_alu instid0(SALU_CYCLE_1) | instskip(SKIP_4) | instid1(VALU_DEP_2)
	s_or_b32 s22, s2, s22
	s_waitcnt vmcnt(1)
	v_dual_mul_f32 v4, s16, v4 :: v_dual_mul_f32 v5, s16, v5
	v_dual_mul_f32 v6, s16, v6 :: v_dual_mul_f32 v7, s16, v7
	s_waitcnt vmcnt(0)
	v_dual_mul_f32 v4, v8, v4 :: v_dual_mul_f32 v5, v9, v5
	s_delay_alu instid0(VALU_DEP_2)
	v_dual_mul_f32 v6, v10, v6 :: v_dual_mul_f32 v7, v11, v7
	global_store_b128 v[12:13], v[4:7], off
	s_and_not1_b32 exec_lo, exec_lo, s22
	s_cbranch_execnz .LBB66_3
.LBB66_4:
	s_set_inst_prefetch_distance 0x2
	s_or_b32 exec_lo, exec_lo, s21
	s_mov_b32 s2, 0
.LBB66_5:
	s_delay_alu instid0(SALU_CYCLE_1)
	s_and_not1_b32 vcc_lo, exec_lo, s2
	s_cbranch_vccnz .LBB66_25
; %bb.6:
	v_cmp_lt_i64_e64 s2, s[6:7], 1
	s_delay_alu instid0(VALU_DEP_1)
	s_and_b32 vcc_lo, exec_lo, s2
	s_cbranch_vccnz .LBB66_25
; %bb.7:
	s_load_b32 s0, s[0:1], 0xc5c
	v_dual_mov_b32 v14, 0 :: v_dual_lshlrev_b32 v13, 2, v0
	v_cmp_gt_u64_e64 s1, 0x10000, s[6:7]
	s_delay_alu instid0(VALU_DEP_2) | instskip(NEXT) | instid1(VALU_DEP_1)
	v_add_co_u32 v1, s2, s10, v13
	v_add_co_ci_u32_e64 v2, null, s11, 0, s2
	v_add_co_u32 v3, s2, s12, v13
	s_delay_alu instid0(VALU_DEP_1) | instskip(SKIP_1) | instid1(VALU_DEP_1)
	v_add_co_ci_u32_e64 v4, null, s13, 0, s2
	v_add_co_u32 v5, s2, s14, v13
	v_add_co_ci_u32_e64 v6, null, s15, 0, s2
	s_waitcnt lgkmcnt(0)
	s_and_b32 s0, s0, 0xffff
	s_and_b32 s1, s1, exec_lo
	v_mad_u64_u32 v[11:12], null, s0, 12, v[13:14]
	s_cselect_b32 s9, s7, 0
	s_cselect_b32 s8, s6, 0x10000
	s_mul_i32 s2, s0, 3
	s_lshl_b32 s3, s0, 3
	s_lshl_b32 s1, s0, 1
	v_add_co_u32 v20, s3, s3, v13
	v_add_co_u32 v13, s2, s2, v0
	v_add_co_u32 v7, vcc_lo, s10, v11
	v_add_co_ci_u32_e64 v14, null, 0, 0, s2
	v_add_co_u32 v19, s2, v0, s0
	v_add_co_ci_u32_e32 v8, vcc_lo, s11, v12, vcc_lo
	v_add_co_u32 v9, vcc_lo, s12, v11
	v_add_co_ci_u32_e32 v10, vcc_lo, s13, v12, vcc_lo
	v_add_co_u32 v11, vcc_lo, s14, v11
	v_add_co_ci_u32_e64 v21, null, 0, 0, s3
	v_lshlrev_b32_e32 v29, 2, v19
	v_add_co_ci_u32_e32 v12, vcc_lo, s15, v12, vcc_lo
	v_add_co_u32 v15, vcc_lo, s10, v20
	v_add_co_u32 v23, s1, s1, v0
	v_add_co_ci_u32_e32 v16, vcc_lo, s11, v21, vcc_lo
	v_add_co_ci_u32_e64 v24, null, 0, 0, s1
	v_add_co_u32 v25, s1, s10, v29
	v_add_co_u32 v17, vcc_lo, s12, v20
	v_add_co_ci_u32_e64 v26, null, s11, 0, s1
	v_add_co_u32 v27, s1, s12, v29
	v_add_co_ci_u32_e32 v18, vcc_lo, s13, v21, vcc_lo
	v_add_co_u32 v20, vcc_lo, s14, v20
	v_add_co_ci_u32_e64 v28, null, s13, 0, s1
	v_add_co_u32 v29, s1, s14, v29
	v_add_co_ci_u32_e32 v21, vcc_lo, s15, v21, vcc_lo
	v_add_co_ci_u32_e64 v22, null, 0, 0, s2
	v_add_co_ci_u32_e64 v30, null, s15, 0, s1
	s_lshl_b32 s12, s0, 2
	s_lshl_b32 s13, s0, 4
	s_mov_b64 s[10:11], 0
	s_branch .LBB66_9
.LBB66_8:                               ;   in Loop: Header=BB66_9 Depth=1
	s_or_b32 exec_lo, exec_lo, s0
	v_add_co_u32 v1, vcc_lo, v1, s13
	v_add_co_ci_u32_e32 v2, vcc_lo, 0, v2, vcc_lo
	v_add_co_u32 v3, vcc_lo, v3, s13
	v_add_co_ci_u32_e32 v4, vcc_lo, 0, v4, vcc_lo
	;; [unrolled: 2-line block ×9, first 2 shown]
	s_add_u32 s10, s10, s12
	v_add_co_u32 v25, vcc_lo, v25, s13
	s_addc_u32 s11, s11, 0
	v_add_co_ci_u32_e32 v26, vcc_lo, 0, v26, vcc_lo
	v_cmp_ge_i64_e64 s0, s[10:11], s[6:7]
	v_cmp_lt_u64_e64 s1, 0xffff, s[10:11]
	v_add_co_u32 v27, vcc_lo, v27, s13
	v_add_co_ci_u32_e32 v28, vcc_lo, 0, v28, vcc_lo
	v_add_co_u32 v29, vcc_lo, v29, s13
	v_add_co_ci_u32_e32 v30, vcc_lo, 0, v30, vcc_lo
	s_or_b32 s0, s0, s1
	s_delay_alu instid0(SALU_CYCLE_1)
	s_and_b32 vcc_lo, exec_lo, s0
	s_cbranch_vccnz .LBB66_25
.LBB66_9:                               ; =>This Inner Loop Header: Depth=1
	s_waitcnt vmcnt(1)
	v_add_co_u32 v31, s0, v0, s10
	s_waitcnt vmcnt(0)
	v_add_co_ci_u32_e64 v32, null, 0, s11, s0
	s_delay_alu instid0(VALU_DEP_1)
	v_cmp_gt_u64_e32 vcc_lo, s[8:9], v[31:32]
	v_dual_mov_b32 v31, 0 :: v_dual_mov_b32 v32, 0
	s_and_saveexec_b32 s1, vcc_lo
	s_cbranch_execz .LBB66_11
; %bb.10:                               ;   in Loop: Header=BB66_9 Depth=1
	v_add_co_u32 v31, s0, v1, s4
	s_delay_alu instid0(VALU_DEP_1) | instskip(SKIP_1) | instid1(VALU_DEP_1)
	v_add_co_ci_u32_e64 v32, s0, s5, v2, s0
	v_add_co_u32 v33, s0, v3, s4
	v_add_co_ci_u32_e64 v34, s0, s5, v4, s0
	global_load_b32 v31, v[31:32], off
	global_load_b32 v32, v[33:34], off
.LBB66_11:                              ;   in Loop: Header=BB66_9 Depth=1
	s_or_b32 exec_lo, exec_lo, s1
	v_add_co_u32 v34, s0, v19, s10
	s_delay_alu instid0(VALU_DEP_1) | instskip(SKIP_1) | instid1(VALU_DEP_2)
	v_add_co_ci_u32_e64 v35, s0, s11, v22, s0
	v_mov_b32_e32 v33, 0
	v_cmp_gt_u64_e64 s0, s[8:9], v[34:35]
	v_dual_mov_b32 v34, 0 :: v_dual_mov_b32 v35, 0
	s_delay_alu instid0(VALU_DEP_2)
	s_and_saveexec_b32 s2, s0
	s_cbranch_execz .LBB66_13
; %bb.12:                               ;   in Loop: Header=BB66_9 Depth=1
	v_add_co_u32 v34, s1, v25, s4
	s_delay_alu instid0(VALU_DEP_1) | instskip(SKIP_1) | instid1(VALU_DEP_1)
	v_add_co_ci_u32_e64 v35, s1, s5, v26, s1
	v_add_co_u32 v36, s1, v27, s4
	v_add_co_ci_u32_e64 v37, s1, s5, v28, s1
	global_load_b32 v34, v[34:35], off
	global_load_b32 v35, v[36:37], off
.LBB66_13:                              ;   in Loop: Header=BB66_9 Depth=1
	s_or_b32 exec_lo, exec_lo, s2
	v_add_co_u32 v36, s1, v23, s10
	s_delay_alu instid0(VALU_DEP_1) | instskip(NEXT) | instid1(VALU_DEP_1)
	v_add_co_ci_u32_e64 v37, s1, s11, v24, s1
	v_cmp_gt_u64_e64 s1, s[8:9], v[36:37]
	v_mov_b32_e32 v36, 0
	s_delay_alu instid0(VALU_DEP_2)
	s_and_saveexec_b32 s3, s1
	s_cbranch_execz .LBB66_15
; %bb.14:                               ;   in Loop: Header=BB66_9 Depth=1
	v_add_co_u32 v36, s2, v15, s4
	s_delay_alu instid0(VALU_DEP_1) | instskip(SKIP_1) | instid1(VALU_DEP_1)
	v_add_co_ci_u32_e64 v37, s2, s5, v16, s2
	v_add_co_u32 v38, s2, v17, s4
	v_add_co_ci_u32_e64 v39, s2, s5, v18, s2
	global_load_b32 v33, v[36:37], off
	global_load_b32 v36, v[38:39], off
.LBB66_15:                              ;   in Loop: Header=BB66_9 Depth=1
	s_or_b32 exec_lo, exec_lo, s3
	v_add_co_u32 v37, s2, v13, s10
	s_delay_alu instid0(VALU_DEP_1) | instskip(NEXT) | instid1(VALU_DEP_1)
	v_add_co_ci_u32_e64 v38, s2, s11, v14, s2
	v_cmp_gt_u64_e64 s2, s[8:9], v[37:38]
	v_dual_mov_b32 v37, 0 :: v_dual_mov_b32 v38, 0
	s_delay_alu instid0(VALU_DEP_2)
	s_and_saveexec_b32 s14, s2
	s_cbranch_execnz .LBB66_20
; %bb.16:                               ;   in Loop: Header=BB66_9 Depth=1
	s_or_b32 exec_lo, exec_lo, s14
	s_and_saveexec_b32 s3, vcc_lo
	s_cbranch_execnz .LBB66_21
.LBB66_17:                              ;   in Loop: Header=BB66_9 Depth=1
	s_or_b32 exec_lo, exec_lo, s3
	s_and_saveexec_b32 s3, s0
	s_cbranch_execnz .LBB66_22
.LBB66_18:                              ;   in Loop: Header=BB66_9 Depth=1
	s_or_b32 exec_lo, exec_lo, s3
	s_and_saveexec_b32 s0, s1
	s_cbranch_execnz .LBB66_23
.LBB66_19:                              ;   in Loop: Header=BB66_9 Depth=1
	s_or_b32 exec_lo, exec_lo, s0
	s_and_saveexec_b32 s0, s2
	s_cbranch_execz .LBB66_8
	s_branch .LBB66_24
.LBB66_20:                              ;   in Loop: Header=BB66_9 Depth=1
	v_add_co_u32 v37, s3, v7, s4
	s_delay_alu instid0(VALU_DEP_1) | instskip(SKIP_1) | instid1(VALU_DEP_1)
	v_add_co_ci_u32_e64 v38, s3, s5, v8, s3
	v_add_co_u32 v39, s3, v9, s4
	v_add_co_ci_u32_e64 v40, s3, s5, v10, s3
	global_load_b32 v37, v[37:38], off
	global_load_b32 v38, v[39:40], off
	s_or_b32 exec_lo, exec_lo, s14
	s_and_saveexec_b32 s3, vcc_lo
	s_cbranch_execz .LBB66_17
.LBB66_21:                              ;   in Loop: Header=BB66_9 Depth=1
	s_waitcnt vmcnt(0)
	v_mul_f32_e32 v32, s16, v32
	v_add_co_u32 v39, vcc_lo, v5, s4
	v_add_co_ci_u32_e32 v40, vcc_lo, s5, v6, vcc_lo
	s_delay_alu instid0(VALU_DEP_3)
	v_mul_f32_e32 v31, v31, v32
	global_store_b32 v[39:40], v31, off
	s_or_b32 exec_lo, exec_lo, s3
	s_and_saveexec_b32 s3, s0
	s_cbranch_execz .LBB66_18
.LBB66_22:                              ;   in Loop: Header=BB66_9 Depth=1
	s_waitcnt vmcnt(0)
	v_mul_f32_e32 v31, s16, v35
	s_delay_alu instid0(VALU_DEP_1)
	v_mul_f32_e32 v34, v34, v31
	v_add_co_u32 v31, vcc_lo, v29, s4
	v_add_co_ci_u32_e32 v32, vcc_lo, s5, v30, vcc_lo
	global_store_b32 v[31:32], v34, off
	s_or_b32 exec_lo, exec_lo, s3
	s_and_saveexec_b32 s0, s1
	s_cbranch_execz .LBB66_19
.LBB66_23:                              ;   in Loop: Header=BB66_9 Depth=1
	s_waitcnt vmcnt(0)
	v_mul_f32_e32 v31, s16, v36
	s_delay_alu instid0(VALU_DEP_1)
	v_mul_f32_e32 v33, v33, v31
	v_add_co_u32 v31, vcc_lo, v20, s4
	v_add_co_ci_u32_e32 v32, vcc_lo, s5, v21, vcc_lo
	global_store_b32 v[31:32], v33, off
	s_or_b32 exec_lo, exec_lo, s0
	s_and_saveexec_b32 s0, s2
	s_cbranch_execz .LBB66_8
.LBB66_24:                              ;   in Loop: Header=BB66_9 Depth=1
	s_waitcnt vmcnt(0)
	v_mul_f32_e32 v31, s16, v38
	s_delay_alu instid0(VALU_DEP_1)
	v_mul_f32_e32 v33, v37, v31
	v_add_co_u32 v31, vcc_lo, v11, s4
	v_add_co_ci_u32_e32 v32, vcc_lo, s5, v12, vcc_lo
	global_store_b32 v[31:32], v33, off
	s_branch .LBB66_8
.LBB66_25:
	s_nop 0
	s_sendmsg sendmsg(MSG_DEALLOC_VGPRS)
	s_endpgm
	.section	.rodata,"a",@progbits
	.p2align	6, 0x0
	.amdhsa_kernel _ZN2at6native12_GLOBAL__N_125multi_tensor_apply_kernelINS1_18TensorListMetadataILi3EEENS1_24BinaryOpListAlphaFunctorIfLi3ELi2ELi2EEEJSt10multipliesIfEfEEEvT_T0_DpT1_
		.amdhsa_group_segment_fixed_size 0
		.amdhsa_private_segment_fixed_size 0
		.amdhsa_kernarg_size 3408
		.amdhsa_user_sgpr_count 15
		.amdhsa_user_sgpr_dispatch_ptr 0
		.amdhsa_user_sgpr_queue_ptr 0
		.amdhsa_user_sgpr_kernarg_segment_ptr 1
		.amdhsa_user_sgpr_dispatch_id 0
		.amdhsa_user_sgpr_private_segment_size 0
		.amdhsa_wavefront_size32 1
		.amdhsa_uses_dynamic_stack 0
		.amdhsa_enable_private_segment 0
		.amdhsa_system_sgpr_workgroup_id_x 1
		.amdhsa_system_sgpr_workgroup_id_y 0
		.amdhsa_system_sgpr_workgroup_id_z 0
		.amdhsa_system_sgpr_workgroup_info 0
		.amdhsa_system_vgpr_workitem_id 0
		.amdhsa_next_free_vgpr 41
		.amdhsa_next_free_sgpr 28
		.amdhsa_reserve_vcc 1
		.amdhsa_float_round_mode_32 0
		.amdhsa_float_round_mode_16_64 0
		.amdhsa_float_denorm_mode_32 3
		.amdhsa_float_denorm_mode_16_64 3
		.amdhsa_dx10_clamp 1
		.amdhsa_ieee_mode 1
		.amdhsa_fp16_overflow 0
		.amdhsa_workgroup_processor_mode 1
		.amdhsa_memory_ordered 1
		.amdhsa_forward_progress 0
		.amdhsa_shared_vgpr_count 0
		.amdhsa_exception_fp_ieee_invalid_op 0
		.amdhsa_exception_fp_denorm_src 0
		.amdhsa_exception_fp_ieee_div_zero 0
		.amdhsa_exception_fp_ieee_overflow 0
		.amdhsa_exception_fp_ieee_underflow 0
		.amdhsa_exception_fp_ieee_inexact 0
		.amdhsa_exception_int_div_zero 0
	.end_amdhsa_kernel
	.section	.text._ZN2at6native12_GLOBAL__N_125multi_tensor_apply_kernelINS1_18TensorListMetadataILi3EEENS1_24BinaryOpListAlphaFunctorIfLi3ELi2ELi2EEEJSt10multipliesIfEfEEEvT_T0_DpT1_,"axG",@progbits,_ZN2at6native12_GLOBAL__N_125multi_tensor_apply_kernelINS1_18TensorListMetadataILi3EEENS1_24BinaryOpListAlphaFunctorIfLi3ELi2ELi2EEEJSt10multipliesIfEfEEEvT_T0_DpT1_,comdat
.Lfunc_end66:
	.size	_ZN2at6native12_GLOBAL__N_125multi_tensor_apply_kernelINS1_18TensorListMetadataILi3EEENS1_24BinaryOpListAlphaFunctorIfLi3ELi2ELi2EEEJSt10multipliesIfEfEEEvT_T0_DpT1_, .Lfunc_end66-_ZN2at6native12_GLOBAL__N_125multi_tensor_apply_kernelINS1_18TensorListMetadataILi3EEENS1_24BinaryOpListAlphaFunctorIfLi3ELi2ELi2EEEJSt10multipliesIfEfEEEvT_T0_DpT1_
                                        ; -- End function
	.section	.AMDGPU.csdata,"",@progbits
; Kernel info:
; codeLenInByte = 1760
; NumSgprs: 30
; NumVgprs: 41
; ScratchSize: 0
; MemoryBound: 0
; FloatMode: 240
; IeeeMode: 1
; LDSByteSize: 0 bytes/workgroup (compile time only)
; SGPRBlocks: 3
; VGPRBlocks: 5
; NumSGPRsForWavesPerEU: 30
; NumVGPRsForWavesPerEU: 41
; Occupancy: 16
; WaveLimiterHint : 0
; COMPUTE_PGM_RSRC2:SCRATCH_EN: 0
; COMPUTE_PGM_RSRC2:USER_SGPR: 15
; COMPUTE_PGM_RSRC2:TRAP_HANDLER: 0
; COMPUTE_PGM_RSRC2:TGID_X_EN: 1
; COMPUTE_PGM_RSRC2:TGID_Y_EN: 0
; COMPUTE_PGM_RSRC2:TGID_Z_EN: 0
; COMPUTE_PGM_RSRC2:TIDIG_COMP_CNT: 0
	.section	.text._ZN2at6native12_GLOBAL__N_125multi_tensor_apply_kernelINS1_18TensorListMetadataILi3EEENS1_24BinaryOpListAlphaFunctorIN3c107complexIdEELi3ELi2ELi2EEEJSt10multipliesIS8_ES8_EEEvT_T0_DpT1_,"axG",@progbits,_ZN2at6native12_GLOBAL__N_125multi_tensor_apply_kernelINS1_18TensorListMetadataILi3EEENS1_24BinaryOpListAlphaFunctorIN3c107complexIdEELi3ELi2ELi2EEEJSt10multipliesIS8_ES8_EEEvT_T0_DpT1_,comdat
	.globl	_ZN2at6native12_GLOBAL__N_125multi_tensor_apply_kernelINS1_18TensorListMetadataILi3EEENS1_24BinaryOpListAlphaFunctorIN3c107complexIdEELi3ELi2ELi2EEEJSt10multipliesIS8_ES8_EEEvT_T0_DpT1_ ; -- Begin function _ZN2at6native12_GLOBAL__N_125multi_tensor_apply_kernelINS1_18TensorListMetadataILi3EEENS1_24BinaryOpListAlphaFunctorIN3c107complexIdEELi3ELi2ELi2EEEJSt10multipliesIS8_ES8_EEEvT_T0_DpT1_
	.p2align	8
	.type	_ZN2at6native12_GLOBAL__N_125multi_tensor_apply_kernelINS1_18TensorListMetadataILi3EEENS1_24BinaryOpListAlphaFunctorIN3c107complexIdEELi3ELi2ELi2EEEJSt10multipliesIS8_ES8_EEEvT_T0_DpT1_,@function
_ZN2at6native12_GLOBAL__N_125multi_tensor_apply_kernelINS1_18TensorListMetadataILi3EEENS1_24BinaryOpListAlphaFunctorIN3c107complexIdEELi3ELi2ELi2EEEJSt10multipliesIS8_ES8_EEEvT_T0_DpT1_: ; @_ZN2at6native12_GLOBAL__N_125multi_tensor_apply_kernelINS1_18TensorListMetadataILi3EEENS1_24BinaryOpListAlphaFunctorIN3c107complexIdEELi3ELi2ELi2EEEJSt10multipliesIS8_ES8_EEEvT_T0_DpT1_
; %bb.0:
	v_mov_b32_e32 v1, s15
	s_add_u32 s2, s0, s15
	s_mul_hi_u32 s3, s15, 3
	s_mul_i32 s15, s15, 3
	s_addc_u32 s4, s1, 0
	global_load_u8 v1, v1, s[0:1] offset:1536
	s_add_u32 s2, s2, s15
	s_addc_u32 s3, s4, s3
	s_mov_b32 s25, 0
	s_load_b32 s2, s[2:3], 0x740
	s_mov_b32 s27, s25
	s_waitcnt vmcnt(0)
	v_readfirstlane_b32 s3, v1
	s_delay_alu instid0(VALU_DEP_1)
	s_lshl_b32 s3, s3, 3
	s_clause 0x3
	s_load_b64 s[16:17], s[0:1], s3 offset:0x0
	s_load_b64 s[18:19], s[0:1], s3 offset:0x180
	;; [unrolled: 1-line block ×4, first 2 shown]
	s_waitcnt lgkmcnt(0)
	s_ashr_i32 s3, s2, 31
	s_delay_alu instid0(SALU_CYCLE_1) | instskip(NEXT) | instid1(SALU_CYCLE_1)
	s_lshl_b64 s[8:9], s[2:3], 20
	s_add_u32 s12, s16, s8
	s_addc_u32 s13, s17, s9
	s_add_u32 s14, s18, s8
	s_addc_u32 s15, s19, s9
	s_add_u32 s22, s20, s8
	s_addc_u32 s23, s21, s9
	s_or_b32 s6, s22, s14
	s_lshl_b64 s[2:3], s[2:3], 16
	s_and_b32 s6, s6, 63
	s_and_b32 s24, s12, 63
	s_cmp_lg_u32 s6, 0
	s_cselect_b32 s28, -1, 0
	s_sub_u32 s10, s4, s2
	s_subb_u32 s11, s5, s3
	s_and_b32 s26, s4, 3
	s_load_b128 s[4:7], s[0:1], 0xc50
	s_or_b64 s[2:3], s[24:25], s[26:27]
	s_delay_alu instid0(SALU_CYCLE_1) | instskip(SKIP_1) | instid1(SALU_CYCLE_1)
	s_cmp_lg_u64 s[2:3], 0
	s_cselect_b32 s2, -1, 0
	s_or_b32 s2, s28, s2
	s_delay_alu instid0(SALU_CYCLE_1)
	s_and_not1_b32 vcc_lo, exec_lo, s2
	s_mov_b32 s2, -1
	s_cbranch_vccz .LBB67_5
; %bb.1:
	v_dual_mov_b32 v2, 0 :: v_dual_lshlrev_b32 v1, 2, v0
	s_mov_b32 s24, exec_lo
	s_delay_alu instid0(VALU_DEP_1)
	v_cmpx_gt_i64_e64 s[10:11], v[1:2]
	s_cbranch_execz .LBB67_4
; %bb.2:
	s_load_b32 s2, s[0:1], 0xc6c
	v_lshlrev_b32_e32 v3, 6, v0
	s_waitcnt lgkmcnt(0)
	s_and_b32 s2, s2, 0xffff
	s_delay_alu instid0(SALU_CYCLE_1)
	v_add_lshl_u32 v1, v0, s2, 2
	s_lshl_b32 s26, s2, 2
	s_lshl_b32 s27, s2, 6
.LBB67_3:                               ; =>This Inner Loop Header: Depth=1
	v_add_co_u32 v16, s2, s14, v3
	s_delay_alu instid0(VALU_DEP_1) | instskip(SKIP_1) | instid1(VALU_DEP_1)
	v_add_co_ci_u32_e64 v17, null, s15, 0, s2
	v_add_co_u32 v32, s2, s12, v3
	v_add_co_ci_u32_e64 v33, null, s13, 0, s2
	s_clause 0x3
	global_load_b128 v[4:7], v[16:17], off
	global_load_b128 v[8:11], v[16:17], off offset:16
	global_load_b128 v[12:15], v[16:17], off offset:32
	;; [unrolled: 1-line block ×3, first 2 shown]
	s_clause 0x3
	global_load_b128 v[20:23], v[32:33], off
	global_load_b128 v[24:27], v[32:33], off offset:16
	global_load_b128 v[28:31], v[32:33], off offset:32
	;; [unrolled: 1-line block ×3, first 2 shown]
	v_cmp_le_i64_e32 vcc_lo, s[10:11], v[1:2]
	v_cmp_lt_u64_e64 s2, 0xffff, v[1:2]
	s_delay_alu instid0(VALU_DEP_1)
	s_or_b32 s2, vcc_lo, s2
	s_add_u32 s12, s12, s27
	s_addc_u32 s13, s13, 0
	s_waitcnt vmcnt(7)
	v_mul_f64 v[36:37], s[4:5], v[6:7]
	s_waitcnt vmcnt(6)
	v_mul_f64 v[38:39], s[4:5], v[10:11]
	;; [unrolled: 2-line block ×4, first 2 shown]
	v_mul_f64 v[6:7], s[6:7], v[6:7]
	v_mul_f64 v[10:11], s[6:7], v[10:11]
	;; [unrolled: 1-line block ×4, first 2 shown]
	v_fma_f64 v[36:37], s[6:7], v[4:5], v[36:37]
	v_fma_f64 v[38:39], s[6:7], v[8:9], v[38:39]
	;; [unrolled: 1-line block ×4, first 2 shown]
	v_fma_f64 v[6:7], s[4:5], v[4:5], -v[6:7]
	v_fma_f64 v[10:11], s[4:5], v[8:9], -v[10:11]
	;; [unrolled: 1-line block ×4, first 2 shown]
	s_waitcnt vmcnt(3)
	v_mul_f64 v[4:5], v[22:23], v[36:37]
	v_mul_f64 v[8:9], v[20:21], v[36:37]
	s_waitcnt vmcnt(2)
	v_mul_f64 v[12:13], v[26:27], v[38:39]
	v_mul_f64 v[16:17], v[24:25], v[38:39]
	;; [unrolled: 3-line block ×4, first 2 shown]
	v_fma_f64 v[4:5], v[20:21], v[6:7], -v[4:5]
	v_fma_f64 v[6:7], v[22:23], v[6:7], v[8:9]
	v_fma_f64 v[8:9], v[24:25], v[10:11], -v[12:13]
	v_fma_f64 v[10:11], v[26:27], v[10:11], v[16:17]
	;; [unrolled: 2-line block ×4, first 2 shown]
	v_add_co_u32 v20, s3, s22, v3
	s_add_u32 s22, s22, s27
	v_add_co_ci_u32_e64 v21, null, s23, 0, s3
	v_add_co_u32 v1, s3, v1, s26
	s_addc_u32 s23, s23, 0
	s_add_u32 s14, s14, s27
	v_add_co_ci_u32_e64 v2, s3, 0, v2, s3
	s_addc_u32 s15, s15, 0
	s_and_b32 s2, exec_lo, s2
	s_clause 0x3
	global_store_b128 v[20:21], v[4:7], off
	global_store_b128 v[20:21], v[8:11], off offset:16
	global_store_b128 v[20:21], v[12:15], off offset:32
	;; [unrolled: 1-line block ×3, first 2 shown]
	s_or_b32 s25, s2, s25
	s_delay_alu instid0(SALU_CYCLE_1)
	s_and_not1_b32 exec_lo, exec_lo, s25
	s_cbranch_execnz .LBB67_3
.LBB67_4:
	s_or_b32 exec_lo, exec_lo, s24
	s_mov_b32 s2, 0
.LBB67_5:
	s_delay_alu instid0(SALU_CYCLE_1)
	s_and_not1_b32 vcc_lo, exec_lo, s2
	s_cbranch_vccnz .LBB67_25
; %bb.6:
	v_cmp_lt_i64_e64 s2, s[10:11], 1
	s_delay_alu instid0(VALU_DEP_1)
	s_and_b32 vcc_lo, exec_lo, s2
	s_cbranch_vccnz .LBB67_25
; %bb.7:
	s_load_b32 s0, s[0:1], 0xc6c
	v_dual_mov_b32 v1, 0 :: v_dual_lshlrev_b32 v6, 4, v0
	v_cmp_gt_u64_e64 s1, 0x10000, s[10:11]
	s_mov_b32 s13, 0
	s_delay_alu instid0(VALU_DEP_2) | instskip(NEXT) | instid1(VALU_DEP_3)
	v_or_b32_e32 v2, 8, v6
	v_mov_b32_e32 v3, v1
	s_delay_alu instid0(VALU_DEP_2) | instskip(NEXT) | instid1(VALU_DEP_1)
	v_add_co_u32 v34, s2, s18, v2
	v_add_co_ci_u32_e64 v35, null, s19, 0, s2
	v_add_co_u32 v36, s2, s16, v2
	s_delay_alu instid0(VALU_DEP_1)
	v_add_co_ci_u32_e64 v37, null, s17, 0, s2
	s_waitcnt lgkmcnt(0)
	s_and_b32 s22, s0, 0xffff
	s_and_b32 s0, s1, exec_lo
	v_add_lshl_u32 v7, v0, s22, 4
	v_mad_u64_u32 v[4:5], null, s22, 48, v[2:3]
	s_cselect_b32 s15, s11, 0
	s_cselect_b32 s14, s10, 0x10000
	s_delay_alu instid0(VALU_DEP_2) | instskip(NEXT) | instid1(VALU_DEP_1)
	v_add_co_u32 v38, s0, s20, v7
	v_add_co_ci_u32_e64 v39, null, s21, 0, s0
	v_add_co_u32 v40, s0, s20, v2
	s_delay_alu instid0(VALU_DEP_1) | instskip(SKIP_1) | instid1(VALU_DEP_1)
	v_add_co_ci_u32_e64 v41, null, s21, 0, s0
	v_add_co_u32 v42, s0, s16, v7
	v_add_co_ci_u32_e64 v43, null, s17, 0, s0
	v_add_co_u32 v46, s0, s18, v7
	v_add_co_u32 v44, vcc_lo, s18, v4
	v_add_co_ci_u32_e64 v47, null, s19, 0, s0
	s_lshl_b32 s0, s22, 5
	v_add_co_ci_u32_e32 v45, vcc_lo, s19, v5, vcc_lo
	v_add_co_u32 v2, s0, s0, v6
	v_add_co_u32 v48, vcc_lo, s16, v4
	v_add_co_ci_u32_e32 v49, vcc_lo, s17, v5, vcc_lo
	v_add_co_u32 v50, vcc_lo, s20, v4
	v_add_co_ci_u32_e64 v3, null, 0, 0, s0
	v_or_b32_e32 v4, 8, v2
	v_add_co_ci_u32_e32 v51, vcc_lo, s21, v5, vcc_lo
	v_add_co_u32 v52, vcc_lo, s20, v2
	s_delay_alu instid0(VALU_DEP_4) | instskip(NEXT) | instid1(VALU_DEP_4)
	v_add_co_ci_u32_e32 v53, vcc_lo, s21, v3, vcc_lo
	v_add_co_u32 v54, vcc_lo, s18, v4
	v_add_co_ci_u32_e32 v55, vcc_lo, s19, v3, vcc_lo
	v_add_co_u32 v56, vcc_lo, s16, v4
	v_add_co_ci_u32_e32 v57, vcc_lo, s17, v3, vcc_lo
	s_lshl_b32 s12, s22, 2
	s_lshl_b32 s23, s22, 1
	s_mul_i32 s24, s22, 3
	s_lshl_b32 s18, s22, 6
	s_mov_b64 s[16:17], s[12:13]
	s_branch .LBB67_9
.LBB67_8:                               ;   in Loop: Header=BB67_9 Depth=1
	s_or_b32 exec_lo, exec_lo, s0
	v_add_co_u32 v0, vcc_lo, v0, s12
	v_add_co_ci_u32_e32 v1, vcc_lo, 0, v1, vcc_lo
	v_add_co_u32 v34, vcc_lo, v34, s18
	v_add_co_ci_u32_e32 v35, vcc_lo, 0, v35, vcc_lo
	;; [unrolled: 2-line block ×11, first 2 shown]
	v_cmp_ge_i64_e64 s0, s[16:17], s[10:11]
	v_cmp_lt_u64_e64 s1, 0xffff, s[16:17]
	v_add_co_u32 v54, vcc_lo, v54, s18
	v_add_co_ci_u32_e32 v55, vcc_lo, 0, v55, vcc_lo
	v_add_co_u32 v56, vcc_lo, v56, s18
	v_add_co_ci_u32_e32 v57, vcc_lo, 0, v57, vcc_lo
	s_or_b32 s0, s0, s1
	s_add_u32 s16, s16, s12
	s_addc_u32 s17, s17, 0
	s_and_b32 vcc_lo, exec_lo, s0
	s_cbranch_vccnz .LBB67_25
.LBB67_9:                               ; =>This Inner Loop Header: Depth=1
	s_waitcnt vmcnt(0)
	v_mov_b32_e32 v4, 0
	v_mov_b32_e32 v5, 0
	v_cmp_gt_u64_e32 vcc_lo, s[14:15], v[0:1]
	s_delay_alu instid0(VALU_DEP_2)
	v_dual_mov_b32 v13, v5 :: v_dual_mov_b32 v12, v4
	v_dual_mov_b32 v11, v5 :: v_dual_mov_b32 v10, v4
	;; [unrolled: 1-line block ×4, first 2 shown]
	s_and_saveexec_b32 s1, vcc_lo
	s_cbranch_execz .LBB67_11
; %bb.10:                               ;   in Loop: Header=BB67_9 Depth=1
	v_add_co_u32 v2, s0, v36, s8
	s_delay_alu instid0(VALU_DEP_1) | instskip(SKIP_1) | instid1(VALU_DEP_1)
	v_add_co_ci_u32_e64 v3, s0, s9, v37, s0
	v_add_co_u32 v10, s0, v34, s8
	v_add_co_ci_u32_e64 v11, s0, s9, v35, s0
	global_load_b128 v[6:9], v[2:3], off offset:-8
	global_load_b128 v[10:13], v[10:11], off offset:-8
.LBB67_11:                              ;   in Loop: Header=BB67_9 Depth=1
	s_or_b32 exec_lo, exec_lo, s1
	v_add_co_u32 v14, s0, s22, v0
	s_delay_alu instid0(VALU_DEP_1) | instskip(SKIP_2) | instid1(VALU_DEP_3)
	v_add_co_ci_u32_e64 v15, s0, 0, v1, s0
	v_dual_mov_b32 v2, v4 :: v_dual_mov_b32 v3, v5
	v_dual_mov_b32 v17, v5 :: v_dual_mov_b32 v16, v4
	v_cmp_gt_u64_e64 s0, s[14:15], v[14:15]
	v_dual_mov_b32 v15, v5 :: v_dual_mov_b32 v14, v4
	s_delay_alu instid0(VALU_DEP_2)
	s_and_saveexec_b32 s2, s0
	s_cbranch_execz .LBB67_13
; %bb.12:                               ;   in Loop: Header=BB67_9 Depth=1
	v_add_co_u32 v2, s1, v42, s8
	s_delay_alu instid0(VALU_DEP_1) | instskip(SKIP_1) | instid1(VALU_DEP_1)
	v_add_co_ci_u32_e64 v3, s1, s9, v43, s1
	v_add_co_u32 v4, s1, v46, s8
	v_add_co_ci_u32_e64 v5, s1, s9, v47, s1
	global_load_b128 v[14:17], v[2:3], off
	global_load_b128 v[2:5], v[4:5], off
.LBB67_13:                              ;   in Loop: Header=BB67_9 Depth=1
	s_or_b32 exec_lo, exec_lo, s2
	v_add_co_u32 v18, s1, s23, v0
	s_delay_alu instid0(VALU_DEP_1) | instskip(SKIP_2) | instid1(VALU_DEP_3)
	v_add_co_ci_u32_e64 v19, s1, 0, v1, s1
	v_mov_b32_e32 v20, 0
	v_mov_b32_e32 v21, 0
	v_cmp_gt_u64_e64 s1, s[14:15], v[18:19]
	s_delay_alu instid0(VALU_DEP_2)
	v_dual_mov_b32 v29, v21 :: v_dual_mov_b32 v28, v20
	v_dual_mov_b32 v27, v21 :: v_dual_mov_b32 v26, v20
	;; [unrolled: 1-line block ×4, first 2 shown]
	s_and_saveexec_b32 s3, s1
	s_cbranch_execz .LBB67_15
; %bb.14:                               ;   in Loop: Header=BB67_9 Depth=1
	v_add_co_u32 v18, s2, v56, s8
	s_delay_alu instid0(VALU_DEP_1) | instskip(SKIP_1) | instid1(VALU_DEP_1)
	v_add_co_ci_u32_e64 v19, s2, s9, v57, s2
	v_add_co_u32 v26, s2, v54, s8
	v_add_co_ci_u32_e64 v27, s2, s9, v55, s2
	global_load_b128 v[22:25], v[18:19], off offset:-8
	global_load_b128 v[26:29], v[26:27], off offset:-8
.LBB67_15:                              ;   in Loop: Header=BB67_9 Depth=1
	s_or_b32 exec_lo, exec_lo, s3
	v_add_co_u32 v30, s2, s24, v0
	s_delay_alu instid0(VALU_DEP_1) | instskip(SKIP_2) | instid1(VALU_DEP_3)
	v_add_co_ci_u32_e64 v31, s2, 0, v1, s2
	v_dual_mov_b32 v18, v20 :: v_dual_mov_b32 v19, v21
	v_dual_mov_b32 v33, v21 :: v_dual_mov_b32 v32, v20
	v_cmp_gt_u64_e64 s2, s[14:15], v[30:31]
	v_dual_mov_b32 v31, v21 :: v_dual_mov_b32 v30, v20
	s_delay_alu instid0(VALU_DEP_2)
	s_and_saveexec_b32 s13, s2
	s_cbranch_execnz .LBB67_20
; %bb.16:                               ;   in Loop: Header=BB67_9 Depth=1
	s_or_b32 exec_lo, exec_lo, s13
	s_and_saveexec_b32 s3, vcc_lo
	s_cbranch_execnz .LBB67_21
.LBB67_17:                              ;   in Loop: Header=BB67_9 Depth=1
	s_or_b32 exec_lo, exec_lo, s3
	s_and_saveexec_b32 s3, s0
	s_cbranch_execnz .LBB67_22
.LBB67_18:                              ;   in Loop: Header=BB67_9 Depth=1
	s_or_b32 exec_lo, exec_lo, s3
	s_and_saveexec_b32 s0, s1
	s_cbranch_execnz .LBB67_23
.LBB67_19:                              ;   in Loop: Header=BB67_9 Depth=1
	s_or_b32 exec_lo, exec_lo, s0
	s_and_saveexec_b32 s0, s2
	s_cbranch_execz .LBB67_8
	s_branch .LBB67_24
.LBB67_20:                              ;   in Loop: Header=BB67_9 Depth=1
	v_add_co_u32 v18, s3, v48, s8
	s_delay_alu instid0(VALU_DEP_1) | instskip(SKIP_1) | instid1(VALU_DEP_1)
	v_add_co_ci_u32_e64 v19, s3, s9, v49, s3
	v_add_co_u32 v20, s3, v44, s8
	v_add_co_ci_u32_e64 v21, s3, s9, v45, s3
	global_load_b128 v[30:33], v[18:19], off offset:-8
	global_load_b128 v[18:21], v[20:21], off offset:-8
	s_or_b32 exec_lo, exec_lo, s13
	s_and_saveexec_b32 s3, vcc_lo
	s_cbranch_execz .LBB67_17
.LBB67_21:                              ;   in Loop: Header=BB67_9 Depth=1
	s_waitcnt vmcnt(0)
	v_mul_f64 v[58:59], s[6:7], v[10:11]
	v_mul_f64 v[60:61], s[6:7], v[12:13]
	s_delay_alu instid0(VALU_DEP_2) | instskip(NEXT) | instid1(VALU_DEP_2)
	v_fma_f64 v[12:13], s[4:5], v[12:13], v[58:59]
	v_fma_f64 v[10:11], s[4:5], v[10:11], -v[60:61]
	s_delay_alu instid0(VALU_DEP_2) | instskip(SKIP_1) | instid1(VALU_DEP_2)
	v_mul_f64 v[58:59], v[6:7], v[12:13]
	v_mul_f64 v[12:13], v[8:9], v[12:13]
	v_fma_f64 v[8:9], v[8:9], v[10:11], v[58:59]
	s_delay_alu instid0(VALU_DEP_2)
	v_fma_f64 v[6:7], v[6:7], v[10:11], -v[12:13]
	v_add_co_u32 v10, vcc_lo, v40, s8
	v_add_co_ci_u32_e32 v11, vcc_lo, s9, v41, vcc_lo
	global_store_b128 v[10:11], v[6:9], off offset:-8
	s_or_b32 exec_lo, exec_lo, s3
	s_and_saveexec_b32 s3, s0
	s_cbranch_execz .LBB67_18
.LBB67_22:                              ;   in Loop: Header=BB67_9 Depth=1
	s_waitcnt vmcnt(0)
	v_mul_f64 v[6:7], s[6:7], v[2:3]
	v_mul_f64 v[8:9], s[6:7], v[4:5]
	s_delay_alu instid0(VALU_DEP_2) | instskip(NEXT) | instid1(VALU_DEP_2)
	v_fma_f64 v[4:5], s[4:5], v[4:5], v[6:7]
	v_fma_f64 v[6:7], s[4:5], v[2:3], -v[8:9]
	s_delay_alu instid0(VALU_DEP_2) | instskip(SKIP_1) | instid1(VALU_DEP_2)
	v_mul_f64 v[2:3], v[16:17], v[4:5]
	v_mul_f64 v[4:5], v[14:15], v[4:5]
	v_fma_f64 v[2:3], v[14:15], v[6:7], -v[2:3]
	s_delay_alu instid0(VALU_DEP_2)
	v_fma_f64 v[4:5], v[16:17], v[6:7], v[4:5]
	v_add_co_u32 v6, vcc_lo, v38, s8
	v_add_co_ci_u32_e32 v7, vcc_lo, s9, v39, vcc_lo
	global_store_b128 v[6:7], v[2:5], off
	s_or_b32 exec_lo, exec_lo, s3
	s_and_saveexec_b32 s0, s1
	s_cbranch_execz .LBB67_19
.LBB67_23:                              ;   in Loop: Header=BB67_9 Depth=1
	s_waitcnt vmcnt(0)
	v_mul_f64 v[2:3], s[6:7], v[26:27]
	v_mul_f64 v[4:5], s[6:7], v[28:29]
	s_delay_alu instid0(VALU_DEP_2) | instskip(NEXT) | instid1(VALU_DEP_2)
	v_fma_f64 v[2:3], s[4:5], v[28:29], v[2:3]
	v_fma_f64 v[4:5], s[4:5], v[26:27], -v[4:5]
	s_delay_alu instid0(VALU_DEP_2) | instskip(SKIP_1) | instid1(VALU_DEP_2)
	v_mul_f64 v[6:7], v[24:25], v[2:3]
	v_mul_f64 v[8:9], v[22:23], v[2:3]
	v_fma_f64 v[2:3], v[22:23], v[4:5], -v[6:7]
	s_delay_alu instid0(VALU_DEP_2)
	v_fma_f64 v[4:5], v[24:25], v[4:5], v[8:9]
	v_add_co_u32 v6, vcc_lo, v52, s8
	v_add_co_ci_u32_e32 v7, vcc_lo, s9, v53, vcc_lo
	global_store_b128 v[6:7], v[2:5], off
	s_or_b32 exec_lo, exec_lo, s0
	s_and_saveexec_b32 s0, s2
	s_cbranch_execz .LBB67_8
.LBB67_24:                              ;   in Loop: Header=BB67_9 Depth=1
	s_waitcnt vmcnt(0)
	v_mul_f64 v[2:3], s[6:7], v[18:19]
	v_mul_f64 v[4:5], s[6:7], v[20:21]
	s_delay_alu instid0(VALU_DEP_2) | instskip(NEXT) | instid1(VALU_DEP_2)
	v_fma_f64 v[2:3], s[4:5], v[20:21], v[2:3]
	v_fma_f64 v[4:5], s[4:5], v[18:19], -v[4:5]
	s_delay_alu instid0(VALU_DEP_2) | instskip(SKIP_1) | instid1(VALU_DEP_2)
	v_mul_f64 v[6:7], v[32:33], v[2:3]
	v_mul_f64 v[8:9], v[30:31], v[2:3]
	v_fma_f64 v[2:3], v[30:31], v[4:5], -v[6:7]
	s_delay_alu instid0(VALU_DEP_2)
	v_fma_f64 v[4:5], v[32:33], v[4:5], v[8:9]
	v_add_co_u32 v6, vcc_lo, v50, s8
	v_add_co_ci_u32_e32 v7, vcc_lo, s9, v51, vcc_lo
	global_store_b128 v[6:7], v[2:5], off offset:-8
	s_branch .LBB67_8
.LBB67_25:
	s_nop 0
	s_sendmsg sendmsg(MSG_DEALLOC_VGPRS)
	s_endpgm
	.section	.rodata,"a",@progbits
	.p2align	6, 0x0
	.amdhsa_kernel _ZN2at6native12_GLOBAL__N_125multi_tensor_apply_kernelINS1_18TensorListMetadataILi3EEENS1_24BinaryOpListAlphaFunctorIN3c107complexIdEELi3ELi2ELi2EEEJSt10multipliesIS8_ES8_EEEvT_T0_DpT1_
		.amdhsa_group_segment_fixed_size 0
		.amdhsa_private_segment_fixed_size 0
		.amdhsa_kernarg_size 3424
		.amdhsa_user_sgpr_count 15
		.amdhsa_user_sgpr_dispatch_ptr 0
		.amdhsa_user_sgpr_queue_ptr 0
		.amdhsa_user_sgpr_kernarg_segment_ptr 1
		.amdhsa_user_sgpr_dispatch_id 0
		.amdhsa_user_sgpr_private_segment_size 0
		.amdhsa_wavefront_size32 1
		.amdhsa_uses_dynamic_stack 0
		.amdhsa_enable_private_segment 0
		.amdhsa_system_sgpr_workgroup_id_x 1
		.amdhsa_system_sgpr_workgroup_id_y 0
		.amdhsa_system_sgpr_workgroup_id_z 0
		.amdhsa_system_sgpr_workgroup_info 0
		.amdhsa_system_vgpr_workitem_id 0
		.amdhsa_next_free_vgpr 62
		.amdhsa_next_free_sgpr 29
		.amdhsa_reserve_vcc 1
		.amdhsa_float_round_mode_32 0
		.amdhsa_float_round_mode_16_64 0
		.amdhsa_float_denorm_mode_32 3
		.amdhsa_float_denorm_mode_16_64 3
		.amdhsa_dx10_clamp 1
		.amdhsa_ieee_mode 1
		.amdhsa_fp16_overflow 0
		.amdhsa_workgroup_processor_mode 1
		.amdhsa_memory_ordered 1
		.amdhsa_forward_progress 0
		.amdhsa_shared_vgpr_count 0
		.amdhsa_exception_fp_ieee_invalid_op 0
		.amdhsa_exception_fp_denorm_src 0
		.amdhsa_exception_fp_ieee_div_zero 0
		.amdhsa_exception_fp_ieee_overflow 0
		.amdhsa_exception_fp_ieee_underflow 0
		.amdhsa_exception_fp_ieee_inexact 0
		.amdhsa_exception_int_div_zero 0
	.end_amdhsa_kernel
	.section	.text._ZN2at6native12_GLOBAL__N_125multi_tensor_apply_kernelINS1_18TensorListMetadataILi3EEENS1_24BinaryOpListAlphaFunctorIN3c107complexIdEELi3ELi2ELi2EEEJSt10multipliesIS8_ES8_EEEvT_T0_DpT1_,"axG",@progbits,_ZN2at6native12_GLOBAL__N_125multi_tensor_apply_kernelINS1_18TensorListMetadataILi3EEENS1_24BinaryOpListAlphaFunctorIN3c107complexIdEELi3ELi2ELi2EEEJSt10multipliesIS8_ES8_EEEvT_T0_DpT1_,comdat
.Lfunc_end67:
	.size	_ZN2at6native12_GLOBAL__N_125multi_tensor_apply_kernelINS1_18TensorListMetadataILi3EEENS1_24BinaryOpListAlphaFunctorIN3c107complexIdEELi3ELi2ELi2EEEJSt10multipliesIS8_ES8_EEEvT_T0_DpT1_, .Lfunc_end67-_ZN2at6native12_GLOBAL__N_125multi_tensor_apply_kernelINS1_18TensorListMetadataILi3EEENS1_24BinaryOpListAlphaFunctorIN3c107complexIdEELi3ELi2ELi2EEEJSt10multipliesIS8_ES8_EEEvT_T0_DpT1_
                                        ; -- End function
	.section	.AMDGPU.csdata,"",@progbits
; Kernel info:
; codeLenInByte = 2396
; NumSgprs: 31
; NumVgprs: 62
; ScratchSize: 0
; MemoryBound: 1
; FloatMode: 240
; IeeeMode: 1
; LDSByteSize: 0 bytes/workgroup (compile time only)
; SGPRBlocks: 3
; VGPRBlocks: 7
; NumSGPRsForWavesPerEU: 31
; NumVGPRsForWavesPerEU: 62
; Occupancy: 16
; WaveLimiterHint : 0
; COMPUTE_PGM_RSRC2:SCRATCH_EN: 0
; COMPUTE_PGM_RSRC2:USER_SGPR: 15
; COMPUTE_PGM_RSRC2:TRAP_HANDLER: 0
; COMPUTE_PGM_RSRC2:TGID_X_EN: 1
; COMPUTE_PGM_RSRC2:TGID_Y_EN: 0
; COMPUTE_PGM_RSRC2:TGID_Z_EN: 0
; COMPUTE_PGM_RSRC2:TIDIG_COMP_CNT: 0
	.section	.text._ZN2at6native12_GLOBAL__N_125multi_tensor_apply_kernelINS1_18TensorListMetadataILi3EEENS1_24BinaryOpListAlphaFunctorIN3c107complexIfEELi3ELi2ELi2EEEJSt10multipliesIS8_ES8_EEEvT_T0_DpT1_,"axG",@progbits,_ZN2at6native12_GLOBAL__N_125multi_tensor_apply_kernelINS1_18TensorListMetadataILi3EEENS1_24BinaryOpListAlphaFunctorIN3c107complexIfEELi3ELi2ELi2EEEJSt10multipliesIS8_ES8_EEEvT_T0_DpT1_,comdat
	.globl	_ZN2at6native12_GLOBAL__N_125multi_tensor_apply_kernelINS1_18TensorListMetadataILi3EEENS1_24BinaryOpListAlphaFunctorIN3c107complexIfEELi3ELi2ELi2EEEJSt10multipliesIS8_ES8_EEEvT_T0_DpT1_ ; -- Begin function _ZN2at6native12_GLOBAL__N_125multi_tensor_apply_kernelINS1_18TensorListMetadataILi3EEENS1_24BinaryOpListAlphaFunctorIN3c107complexIfEELi3ELi2ELi2EEEJSt10multipliesIS8_ES8_EEEvT_T0_DpT1_
	.p2align	8
	.type	_ZN2at6native12_GLOBAL__N_125multi_tensor_apply_kernelINS1_18TensorListMetadataILi3EEENS1_24BinaryOpListAlphaFunctorIN3c107complexIfEELi3ELi2ELi2EEEJSt10multipliesIS8_ES8_EEEvT_T0_DpT1_,@function
_ZN2at6native12_GLOBAL__N_125multi_tensor_apply_kernelINS1_18TensorListMetadataILi3EEENS1_24BinaryOpListAlphaFunctorIN3c107complexIfEELi3ELi2ELi2EEEJSt10multipliesIS8_ES8_EEEvT_T0_DpT1_: ; @_ZN2at6native12_GLOBAL__N_125multi_tensor_apply_kernelINS1_18TensorListMetadataILi3EEENS1_24BinaryOpListAlphaFunctorIN3c107complexIfEELi3ELi2ELi2EEEJSt10multipliesIS8_ES8_EEEvT_T0_DpT1_
; %bb.0:
	v_mov_b32_e32 v1, s15
	s_add_u32 s2, s0, s15
	s_mul_hi_u32 s3, s15, 3
	s_mul_i32 s15, s15, 3
	s_addc_u32 s4, s1, 0
	global_load_u8 v1, v1, s[0:1] offset:1536
	s_add_u32 s2, s2, s15
	s_addc_u32 s3, s4, s3
	s_mov_b32 s23, 0
	s_load_b32 s2, s[2:3], 0x740
	s_mov_b32 s25, s23
	s_waitcnt vmcnt(0)
	v_readfirstlane_b32 s3, v1
	s_delay_alu instid0(VALU_DEP_1)
	s_lshl_b32 s3, s3, 3
	s_clause 0x3
	s_load_b64 s[14:15], s[0:1], s3 offset:0x0
	s_load_b64 s[16:17], s[0:1], s3 offset:0x180
	;; [unrolled: 1-line block ×4, first 2 shown]
	s_waitcnt lgkmcnt(0)
	s_ashr_i32 s3, s2, 31
	s_delay_alu instid0(SALU_CYCLE_1) | instskip(NEXT) | instid1(SALU_CYCLE_1)
	s_lshl_b64 s[4:5], s[2:3], 19
	s_add_u32 s10, s14, s4
	s_addc_u32 s11, s15, s5
	s_add_u32 s12, s16, s4
	s_addc_u32 s13, s17, s5
	;; [unrolled: 2-line block ×3, first 2 shown]
	s_or_b32 s6, s20, s12
	s_lshl_b64 s[2:3], s[2:3], 16
	s_and_b32 s6, s6, 31
	s_and_b32 s22, s10, 31
	s_cmp_lg_u32 s6, 0
	s_cselect_b32 s26, -1, 0
	s_sub_u32 s6, s8, s2
	s_subb_u32 s7, s9, s3
	s_and_b32 s24, s8, 3
	s_load_b64 s[8:9], s[0:1], 0xc50
	s_or_b64 s[2:3], s[22:23], s[24:25]
	s_delay_alu instid0(SALU_CYCLE_1) | instskip(SKIP_1) | instid1(SALU_CYCLE_1)
	s_cmp_lg_u64 s[2:3], 0
	s_cselect_b32 s2, -1, 0
	s_or_b32 s2, s26, s2
	s_delay_alu instid0(SALU_CYCLE_1)
	s_and_not1_b32 vcc_lo, exec_lo, s2
	s_mov_b32 s2, -1
	s_cbranch_vccz .LBB68_5
; %bb.1:
	v_dual_mov_b32 v2, 0 :: v_dual_lshlrev_b32 v1, 2, v0
	s_mov_b32 s22, exec_lo
	s_delay_alu instid0(VALU_DEP_1)
	v_cmpx_gt_i64_e64 s[6:7], v[1:2]
	s_cbranch_execz .LBB68_4
; %bb.2:
	s_load_b32 s2, s[0:1], 0xc64
	v_lshlrev_b32_e32 v3, 5, v0
	s_waitcnt lgkmcnt(0)
	s_and_b32 s2, s2, 0xffff
	s_delay_alu instid0(SALU_CYCLE_1)
	v_add_lshl_u32 v1, v0, s2, 2
	s_lshl_b32 s24, s2, 2
	s_lshl_b32 s25, s2, 5
.LBB68_3:                               ; =>This Inner Loop Header: Depth=1
	v_add_co_u32 v8, s2, s12, v3
	s_delay_alu instid0(VALU_DEP_1) | instskip(SKIP_1) | instid1(VALU_DEP_1)
	v_add_co_ci_u32_e64 v9, null, s13, 0, s2
	v_add_co_u32 v16, s2, s10, v3
	v_add_co_ci_u32_e64 v17, null, s11, 0, s2
	s_clause 0x1
	global_load_b128 v[4:7], v[8:9], off
	global_load_b128 v[8:11], v[8:9], off offset:16
	s_clause 0x1
	global_load_b128 v[12:15], v[16:17], off
	global_load_b128 v[16:19], v[16:17], off offset:16
	v_cmp_le_i64_e32 vcc_lo, s[6:7], v[1:2]
	v_cmp_lt_u64_e64 s2, 0xffff, v[1:2]
	v_add_co_u32 v20, s3, s20, v3
	s_delay_alu instid0(VALU_DEP_1) | instskip(SKIP_1) | instid1(VALU_DEP_4)
	v_add_co_ci_u32_e64 v21, null, s21, 0, s3
	v_add_co_u32 v1, s3, v1, s24
	s_or_b32 s2, vcc_lo, s2
	s_add_u32 s10, s10, s25
	s_addc_u32 s11, s11, 0
	s_add_u32 s20, s20, s25
	s_addc_u32 s21, s21, 0
	s_add_u32 s12, s12, s25
	v_add_co_ci_u32_e64 v2, s3, 0, v2, s3
	s_addc_u32 s13, s13, 0
	s_and_b32 s2, exec_lo, s2
	s_delay_alu instid0(SALU_CYCLE_1)
	s_or_b32 s23, s2, s23
	s_waitcnt vmcnt(3)
	v_mul_f32_e32 v22, s9, v5
	v_dual_mul_f32 v23, s8, v5 :: v_dual_mul_f32 v24, s8, v7
	v_mul_f32_e32 v5, s9, v7
	s_waitcnt vmcnt(2)
	v_mul_f32_e32 v25, s8, v9
	v_dual_mul_f32 v7, s9, v9 :: v_dual_mul_f32 v26, s8, v11
	v_mul_f32_e32 v9, s9, v11
	v_fma_f32 v22, v4, s8, -v22
	v_fma_f32 v27, v6, s8, -v5
	v_fmac_f32_e32 v24, s9, v6
	v_dual_fmac_f32 v26, s9, v10 :: v_dual_fmac_f32 v25, s9, v8
	v_fmac_f32_e32 v23, s9, v4
	v_fma_f32 v28, v8, s8, -v7
	v_fma_f32 v29, v10, s8, -v9
	s_waitcnt vmcnt(1)
	v_dual_mul_f32 v5, v13, v22 :: v_dual_mul_f32 v6, v15, v24
	s_waitcnt vmcnt(0)
	v_dual_mul_f32 v7, v15, v27 :: v_dual_mul_f32 v8, v17, v25
	v_mul_f32_e32 v4, v13, v23
	v_dual_mul_f32 v9, v17, v28 :: v_dual_mul_f32 v10, v19, v26
	v_mul_f32_e32 v11, v19, v29
	v_fmac_f32_e32 v5, v12, v23
	s_delay_alu instid0(VALU_DEP_4)
	v_fma_f32 v4, v12, v22, -v4
	v_fma_f32 v6, v14, v27, -v6
	v_fmac_f32_e32 v7, v14, v24
	v_fma_f32 v8, v16, v28, -v8
	v_fmac_f32_e32 v9, v16, v25
	;; [unrolled: 2-line block ×3, first 2 shown]
	s_clause 0x1
	global_store_b128 v[20:21], v[4:7], off
	global_store_b128 v[20:21], v[8:11], off offset:16
	s_and_not1_b32 exec_lo, exec_lo, s23
	s_cbranch_execnz .LBB68_3
.LBB68_4:
	s_or_b32 exec_lo, exec_lo, s22
	s_mov_b32 s2, 0
.LBB68_5:
	s_delay_alu instid0(SALU_CYCLE_1)
	s_and_not1_b32 vcc_lo, exec_lo, s2
	s_cbranch_vccnz .LBB68_25
; %bb.6:
	v_cmp_lt_i64_e64 s2, s[6:7], 1
	s_delay_alu instid0(VALU_DEP_1)
	s_and_b32 vcc_lo, exec_lo, s2
	s_cbranch_vccnz .LBB68_25
; %bb.7:
	s_load_b32 s0, s[0:1], 0xc64
	v_dual_mov_b32 v1, 0 :: v_dual_lshlrev_b32 v6, 3, v0
	v_cmp_gt_u64_e64 s1, 0x10000, s[6:7]
	s_mov_b32 s11, 0
	s_delay_alu instid0(VALU_DEP_2) | instskip(NEXT) | instid1(VALU_DEP_3)
	v_or_b32_e32 v2, 4, v6
	v_mov_b32_e32 v3, v1
	s_delay_alu instid0(VALU_DEP_2) | instskip(NEXT) | instid1(VALU_DEP_1)
	v_add_co_u32 v18, s2, s16, v2
	v_add_co_ci_u32_e64 v19, null, s17, 0, s2
	v_add_co_u32 v20, s2, s14, v2
	s_delay_alu instid0(VALU_DEP_1)
	v_add_co_ci_u32_e64 v21, null, s15, 0, s2
	s_waitcnt lgkmcnt(0)
	s_and_b32 s20, s0, 0xffff
	s_and_b32 s0, s1, exec_lo
	v_add_lshl_u32 v7, v0, s20, 3
	v_mad_u64_u32 v[4:5], null, s20, 24, v[2:3]
	s_cselect_b32 s13, s7, 0
	s_cselect_b32 s12, s6, 0x10000
	s_delay_alu instid0(VALU_DEP_2) | instskip(NEXT) | instid1(VALU_DEP_1)
	v_add_co_u32 v22, s0, s18, v7
	v_add_co_ci_u32_e64 v23, null, s19, 0, s0
	v_add_co_u32 v24, s0, s18, v2
	s_delay_alu instid0(VALU_DEP_1) | instskip(SKIP_1) | instid1(VALU_DEP_1)
	v_add_co_ci_u32_e64 v25, null, s19, 0, s0
	v_add_co_u32 v26, s0, s14, v7
	v_add_co_ci_u32_e64 v27, null, s15, 0, s0
	v_add_co_u32 v30, s0, s16, v7
	v_add_co_u32 v28, vcc_lo, s16, v4
	v_add_co_ci_u32_e64 v31, null, s17, 0, s0
	s_lshl_b32 s0, s20, 4
	v_add_co_ci_u32_e32 v29, vcc_lo, s17, v5, vcc_lo
	v_add_co_u32 v2, s0, s0, v6
	v_add_co_u32 v32, vcc_lo, s14, v4
	v_add_co_ci_u32_e32 v33, vcc_lo, s15, v5, vcc_lo
	v_add_co_u32 v34, vcc_lo, s18, v4
	v_add_co_ci_u32_e64 v3, null, 0, 0, s0
	v_or_b32_e32 v4, 4, v2
	v_add_co_ci_u32_e32 v35, vcc_lo, s19, v5, vcc_lo
	v_add_co_u32 v36, vcc_lo, s18, v2
	s_delay_alu instid0(VALU_DEP_4) | instskip(NEXT) | instid1(VALU_DEP_4)
	v_add_co_ci_u32_e32 v37, vcc_lo, s19, v3, vcc_lo
	v_add_co_u32 v38, vcc_lo, s16, v4
	v_add_co_ci_u32_e32 v39, vcc_lo, s17, v3, vcc_lo
	v_add_co_u32 v40, vcc_lo, s14, v4
	v_add_co_ci_u32_e32 v41, vcc_lo, s15, v3, vcc_lo
	s_lshl_b32 s10, s20, 2
	s_lshl_b32 s21, s20, 1
	s_mul_i32 s22, s20, 3
	s_lshl_b32 s16, s20, 5
	s_mov_b64 s[14:15], s[10:11]
	s_branch .LBB68_9
.LBB68_8:                               ;   in Loop: Header=BB68_9 Depth=1
	s_or_b32 exec_lo, exec_lo, s0
	v_add_co_u32 v0, vcc_lo, v0, s10
	v_add_co_ci_u32_e32 v1, vcc_lo, 0, v1, vcc_lo
	v_add_co_u32 v18, vcc_lo, v18, s16
	v_add_co_ci_u32_e32 v19, vcc_lo, 0, v19, vcc_lo
	;; [unrolled: 2-line block ×11, first 2 shown]
	v_cmp_ge_i64_e64 s0, s[14:15], s[6:7]
	v_cmp_lt_u64_e64 s1, 0xffff, s[14:15]
	v_add_co_u32 v38, vcc_lo, v38, s16
	v_add_co_ci_u32_e32 v39, vcc_lo, 0, v39, vcc_lo
	v_add_co_u32 v40, vcc_lo, v40, s16
	v_add_co_ci_u32_e32 v41, vcc_lo, 0, v41, vcc_lo
	s_or_b32 s0, s0, s1
	s_add_u32 s14, s14, s10
	s_addc_u32 s15, s15, 0
	s_and_b32 vcc_lo, exec_lo, s0
	s_cbranch_vccnz .LBB68_25
.LBB68_9:                               ; =>This Inner Loop Header: Depth=1
	v_cmp_gt_u64_e32 vcc_lo, s[12:13], v[0:1]
	s_waitcnt vmcnt(1)
	v_dual_mov_b32 v5, 0 :: v_dual_mov_b32 v4, 0
	s_waitcnt vmcnt(0)
	v_dual_mov_b32 v7, 0 :: v_dual_mov_b32 v6, 0
	s_and_saveexec_b32 s1, vcc_lo
	s_cbranch_execz .LBB68_11
; %bb.10:                               ;   in Loop: Header=BB68_9 Depth=1
	v_add_co_u32 v2, s0, v20, s4
	s_delay_alu instid0(VALU_DEP_1) | instskip(SKIP_1) | instid1(VALU_DEP_1)
	v_add_co_ci_u32_e64 v3, s0, s5, v21, s0
	v_add_co_u32 v6, s0, v18, s4
	v_add_co_ci_u32_e64 v7, s0, s5, v19, s0
	global_load_b64 v[4:5], v[2:3], off offset:-4
	global_load_b64 v[6:7], v[6:7], off offset:-4
.LBB68_11:                              ;   in Loop: Header=BB68_9 Depth=1
	s_or_b32 exec_lo, exec_lo, s1
	v_add_co_u32 v8, s0, s20, v0
	s_delay_alu instid0(VALU_DEP_1) | instskip(SKIP_2) | instid1(VALU_DEP_3)
	v_add_co_ci_u32_e64 v9, s0, 0, v1, s0
	v_mov_b32_e32 v3, 0
	v_dual_mov_b32 v11, 0 :: v_dual_mov_b32 v10, 0
	v_cmp_gt_u64_e64 s0, s[12:13], v[8:9]
	v_dual_mov_b32 v8, 0 :: v_dual_mov_b32 v9, 0
	s_delay_alu instid0(VALU_DEP_2)
	s_and_saveexec_b32 s2, s0
	s_cbranch_execz .LBB68_13
; %bb.12:                               ;   in Loop: Header=BB68_9 Depth=1
	v_add_co_u32 v8, s1, v26, s4
	s_delay_alu instid0(VALU_DEP_1) | instskip(SKIP_1) | instid1(VALU_DEP_1)
	v_add_co_ci_u32_e64 v9, s1, s5, v27, s1
	v_add_co_u32 v10, s1, v30, s4
	v_add_co_ci_u32_e64 v11, s1, s5, v31, s1
	global_load_b64 v[8:9], v[8:9], off
	global_load_b64 v[10:11], v[10:11], off
.LBB68_13:                              ;   in Loop: Header=BB68_9 Depth=1
	s_or_b32 exec_lo, exec_lo, s2
	v_add_co_u32 v12, s1, s21, v0
	s_delay_alu instid0(VALU_DEP_1) | instskip(SKIP_1) | instid1(VALU_DEP_2)
	v_add_co_ci_u32_e64 v13, s1, 0, v1, s1
	v_mov_b32_e32 v2, 0
	v_cmp_gt_u64_e64 s1, s[12:13], v[12:13]
	v_dual_mov_b32 v13, 0 :: v_dual_mov_b32 v12, 0
	s_delay_alu instid0(VALU_DEP_2)
	s_and_saveexec_b32 s3, s1
	s_cbranch_execz .LBB68_15
; %bb.14:                               ;   in Loop: Header=BB68_9 Depth=1
	v_add_co_u32 v2, s2, v40, s4
	s_delay_alu instid0(VALU_DEP_1) | instskip(SKIP_1) | instid1(VALU_DEP_1)
	v_add_co_ci_u32_e64 v3, s2, s5, v41, s2
	v_add_co_u32 v12, s2, v38, s4
	v_add_co_ci_u32_e64 v13, s2, s5, v39, s2
	global_load_b64 v[2:3], v[2:3], off offset:-4
	global_load_b64 v[12:13], v[12:13], off offset:-4
.LBB68_15:                              ;   in Loop: Header=BB68_9 Depth=1
	s_or_b32 exec_lo, exec_lo, s3
	v_add_co_u32 v16, s2, s22, v0
	s_delay_alu instid0(VALU_DEP_1) | instskip(SKIP_1) | instid1(VALU_DEP_2)
	v_add_co_ci_u32_e64 v17, s2, 0, v1, s2
	v_dual_mov_b32 v15, 0 :: v_dual_mov_b32 v14, 0
	v_cmp_gt_u64_e64 s2, s[12:13], v[16:17]
	v_dual_mov_b32 v17, 0 :: v_dual_mov_b32 v16, 0
	s_delay_alu instid0(VALU_DEP_2)
	s_and_saveexec_b32 s11, s2
	s_cbranch_execnz .LBB68_20
; %bb.16:                               ;   in Loop: Header=BB68_9 Depth=1
	s_or_b32 exec_lo, exec_lo, s11
	s_and_saveexec_b32 s3, vcc_lo
	s_cbranch_execnz .LBB68_21
.LBB68_17:                              ;   in Loop: Header=BB68_9 Depth=1
	s_or_b32 exec_lo, exec_lo, s3
	s_and_saveexec_b32 s3, s0
	s_cbranch_execnz .LBB68_22
.LBB68_18:                              ;   in Loop: Header=BB68_9 Depth=1
	s_or_b32 exec_lo, exec_lo, s3
	s_and_saveexec_b32 s0, s1
	s_cbranch_execnz .LBB68_23
.LBB68_19:                              ;   in Loop: Header=BB68_9 Depth=1
	s_or_b32 exec_lo, exec_lo, s0
	s_and_saveexec_b32 s0, s2
	s_cbranch_execz .LBB68_8
	s_branch .LBB68_24
.LBB68_20:                              ;   in Loop: Header=BB68_9 Depth=1
	v_add_co_u32 v14, s3, v32, s4
	s_delay_alu instid0(VALU_DEP_1) | instskip(SKIP_1) | instid1(VALU_DEP_1)
	v_add_co_ci_u32_e64 v15, s3, s5, v33, s3
	v_add_co_u32 v16, s3, v28, s4
	v_add_co_ci_u32_e64 v17, s3, s5, v29, s3
	global_load_b64 v[14:15], v[14:15], off offset:-4
	global_load_b64 v[16:17], v[16:17], off offset:-4
	s_or_b32 exec_lo, exec_lo, s11
	s_and_saveexec_b32 s3, vcc_lo
	s_cbranch_execz .LBB68_17
.LBB68_21:                              ;   in Loop: Header=BB68_9 Depth=1
	s_waitcnt vmcnt(0)
	v_mul_f32_e32 v44, s9, v6
	s_delay_alu instid0(VALU_DEP_1) | instskip(NEXT) | instid1(VALU_DEP_1)
	v_fmac_f32_e32 v44, s8, v7
	v_dual_mul_f32 v42, s9, v7 :: v_dual_mul_f32 v45, v5, v44
	s_delay_alu instid0(VALU_DEP_1) | instskip(SKIP_2) | instid1(VALU_DEP_3)
	v_fma_f32 v7, v6, s8, -v42
	v_add_co_u32 v42, vcc_lo, v24, s4
	v_add_co_ci_u32_e32 v43, vcc_lo, s5, v25, vcc_lo
	v_mul_f32_e32 v6, v5, v7
	v_fma_f32 v5, v4, v7, -v45
	s_delay_alu instid0(VALU_DEP_2)
	v_fmac_f32_e32 v6, v4, v44
	global_store_b64 v[42:43], v[5:6], off offset:-4
	s_or_b32 exec_lo, exec_lo, s3
	s_and_saveexec_b32 s3, s0
	s_cbranch_execz .LBB68_18
.LBB68_22:                              ;   in Loop: Header=BB68_9 Depth=1
	s_waitcnt vmcnt(0)
	v_mul_f32_e32 v4, s9, v11
	s_delay_alu instid0(VALU_DEP_1) | instskip(NEXT) | instid1(VALU_DEP_1)
	v_fma_f32 v4, v10, s8, -v4
	v_dual_mul_f32 v6, s9, v10 :: v_dual_mul_f32 v5, v9, v4
	s_delay_alu instid0(VALU_DEP_1) | instskip(NEXT) | instid1(VALU_DEP_1)
	v_fmac_f32_e32 v6, s8, v11
	v_mul_f32_e32 v7, v9, v6
	s_delay_alu instid0(VALU_DEP_3) | instskip(SKIP_1) | instid1(VALU_DEP_3)
	v_fmac_f32_e32 v5, v8, v6
	v_add_co_u32 v6, vcc_lo, v22, s4
	v_fma_f32 v4, v8, v4, -v7
	v_add_co_ci_u32_e32 v7, vcc_lo, s5, v23, vcc_lo
	global_store_b64 v[6:7], v[4:5], off
	s_or_b32 exec_lo, exec_lo, s3
	s_and_saveexec_b32 s0, s1
	s_cbranch_execz .LBB68_19
.LBB68_23:                              ;   in Loop: Header=BB68_9 Depth=1
	s_waitcnt vmcnt(0)
	v_dual_mul_f32 v5, s9, v12 :: v_dual_mul_f32 v4, s9, v13
	s_delay_alu instid0(VALU_DEP_1) | instskip(NEXT) | instid1(VALU_DEP_1)
	v_fma_f32 v6, v12, s8, -v4
	v_dual_fmac_f32 v5, s8, v13 :: v_dual_mul_f32 v4, v3, v6
	s_delay_alu instid0(VALU_DEP_1) | instskip(NEXT) | instid1(VALU_DEP_2)
	v_mul_f32_e32 v7, v3, v5
	v_fmac_f32_e32 v4, v2, v5
	v_add_co_u32 v5, vcc_lo, v36, s4
	s_delay_alu instid0(VALU_DEP_3)
	v_fma_f32 v3, v2, v6, -v7
	v_add_co_ci_u32_e32 v6, vcc_lo, s5, v37, vcc_lo
	global_store_b64 v[5:6], v[3:4], off
	s_or_b32 exec_lo, exec_lo, s0
	s_and_saveexec_b32 s0, s2
	s_cbranch_execz .LBB68_8
.LBB68_24:                              ;   in Loop: Header=BB68_9 Depth=1
	s_waitcnt vmcnt(0)
	v_mul_f32_e32 v2, s9, v17
	s_delay_alu instid0(VALU_DEP_1) | instskip(NEXT) | instid1(VALU_DEP_1)
	v_fma_f32 v2, v16, s8, -v2
	v_dual_mul_f32 v4, s9, v16 :: v_dual_mul_f32 v3, v15, v2
	s_delay_alu instid0(VALU_DEP_1) | instskip(NEXT) | instid1(VALU_DEP_1)
	v_fmac_f32_e32 v4, s8, v17
	v_mul_f32_e32 v5, v15, v4
	s_delay_alu instid0(VALU_DEP_3) | instskip(SKIP_1) | instid1(VALU_DEP_3)
	v_fmac_f32_e32 v3, v14, v4
	v_add_co_u32 v4, vcc_lo, v34, s4
	v_fma_f32 v2, v14, v2, -v5
	v_add_co_ci_u32_e32 v5, vcc_lo, s5, v35, vcc_lo
	global_store_b64 v[4:5], v[2:3], off offset:-4
	s_branch .LBB68_8
.LBB68_25:
	s_nop 0
	s_sendmsg sendmsg(MSG_DEALLOC_VGPRS)
	s_endpgm
	.section	.rodata,"a",@progbits
	.p2align	6, 0x0
	.amdhsa_kernel _ZN2at6native12_GLOBAL__N_125multi_tensor_apply_kernelINS1_18TensorListMetadataILi3EEENS1_24BinaryOpListAlphaFunctorIN3c107complexIfEELi3ELi2ELi2EEEJSt10multipliesIS8_ES8_EEEvT_T0_DpT1_
		.amdhsa_group_segment_fixed_size 0
		.amdhsa_private_segment_fixed_size 0
		.amdhsa_kernarg_size 3416
		.amdhsa_user_sgpr_count 15
		.amdhsa_user_sgpr_dispatch_ptr 0
		.amdhsa_user_sgpr_queue_ptr 0
		.amdhsa_user_sgpr_kernarg_segment_ptr 1
		.amdhsa_user_sgpr_dispatch_id 0
		.amdhsa_user_sgpr_private_segment_size 0
		.amdhsa_wavefront_size32 1
		.amdhsa_uses_dynamic_stack 0
		.amdhsa_enable_private_segment 0
		.amdhsa_system_sgpr_workgroup_id_x 1
		.amdhsa_system_sgpr_workgroup_id_y 0
		.amdhsa_system_sgpr_workgroup_id_z 0
		.amdhsa_system_sgpr_workgroup_info 0
		.amdhsa_system_vgpr_workitem_id 0
		.amdhsa_next_free_vgpr 46
		.amdhsa_next_free_sgpr 27
		.amdhsa_reserve_vcc 1
		.amdhsa_float_round_mode_32 0
		.amdhsa_float_round_mode_16_64 0
		.amdhsa_float_denorm_mode_32 3
		.amdhsa_float_denorm_mode_16_64 3
		.amdhsa_dx10_clamp 1
		.amdhsa_ieee_mode 1
		.amdhsa_fp16_overflow 0
		.amdhsa_workgroup_processor_mode 1
		.amdhsa_memory_ordered 1
		.amdhsa_forward_progress 0
		.amdhsa_shared_vgpr_count 0
		.amdhsa_exception_fp_ieee_invalid_op 0
		.amdhsa_exception_fp_denorm_src 0
		.amdhsa_exception_fp_ieee_div_zero 0
		.amdhsa_exception_fp_ieee_overflow 0
		.amdhsa_exception_fp_ieee_underflow 0
		.amdhsa_exception_fp_ieee_inexact 0
		.amdhsa_exception_int_div_zero 0
	.end_amdhsa_kernel
	.section	.text._ZN2at6native12_GLOBAL__N_125multi_tensor_apply_kernelINS1_18TensorListMetadataILi3EEENS1_24BinaryOpListAlphaFunctorIN3c107complexIfEELi3ELi2ELi2EEEJSt10multipliesIS8_ES8_EEEvT_T0_DpT1_,"axG",@progbits,_ZN2at6native12_GLOBAL__N_125multi_tensor_apply_kernelINS1_18TensorListMetadataILi3EEENS1_24BinaryOpListAlphaFunctorIN3c107complexIfEELi3ELi2ELi2EEEJSt10multipliesIS8_ES8_EEEvT_T0_DpT1_,comdat
.Lfunc_end68:
	.size	_ZN2at6native12_GLOBAL__N_125multi_tensor_apply_kernelINS1_18TensorListMetadataILi3EEENS1_24BinaryOpListAlphaFunctorIN3c107complexIfEELi3ELi2ELi2EEEJSt10multipliesIS8_ES8_EEEvT_T0_DpT1_, .Lfunc_end68-_ZN2at6native12_GLOBAL__N_125multi_tensor_apply_kernelINS1_18TensorListMetadataILi3EEENS1_24BinaryOpListAlphaFunctorIN3c107complexIfEELi3ELi2ELi2EEEJSt10multipliesIS8_ES8_EEEvT_T0_DpT1_
                                        ; -- End function
	.section	.AMDGPU.csdata,"",@progbits
; Kernel info:
; codeLenInByte = 2080
; NumSgprs: 29
; NumVgprs: 46
; ScratchSize: 0
; MemoryBound: 0
; FloatMode: 240
; IeeeMode: 1
; LDSByteSize: 0 bytes/workgroup (compile time only)
; SGPRBlocks: 3
; VGPRBlocks: 5
; NumSGPRsForWavesPerEU: 29
; NumVGPRsForWavesPerEU: 46
; Occupancy: 16
; WaveLimiterHint : 0
; COMPUTE_PGM_RSRC2:SCRATCH_EN: 0
; COMPUTE_PGM_RSRC2:USER_SGPR: 15
; COMPUTE_PGM_RSRC2:TRAP_HANDLER: 0
; COMPUTE_PGM_RSRC2:TGID_X_EN: 1
; COMPUTE_PGM_RSRC2:TGID_Y_EN: 0
; COMPUTE_PGM_RSRC2:TGID_Z_EN: 0
; COMPUTE_PGM_RSRC2:TIDIG_COMP_CNT: 0
	.section	.text._ZN2at6native12_GLOBAL__N_125multi_tensor_apply_kernelINS1_18TensorListMetadataILi3EEENS1_24BinaryOpListAlphaFunctorIbLi3ELi2ELi2EEEJSt10multipliesIbEbEEEvT_T0_DpT1_,"axG",@progbits,_ZN2at6native12_GLOBAL__N_125multi_tensor_apply_kernelINS1_18TensorListMetadataILi3EEENS1_24BinaryOpListAlphaFunctorIbLi3ELi2ELi2EEEJSt10multipliesIbEbEEEvT_T0_DpT1_,comdat
	.globl	_ZN2at6native12_GLOBAL__N_125multi_tensor_apply_kernelINS1_18TensorListMetadataILi3EEENS1_24BinaryOpListAlphaFunctorIbLi3ELi2ELi2EEEJSt10multipliesIbEbEEEvT_T0_DpT1_ ; -- Begin function _ZN2at6native12_GLOBAL__N_125multi_tensor_apply_kernelINS1_18TensorListMetadataILi3EEENS1_24BinaryOpListAlphaFunctorIbLi3ELi2ELi2EEEJSt10multipliesIbEbEEEvT_T0_DpT1_
	.p2align	8
	.type	_ZN2at6native12_GLOBAL__N_125multi_tensor_apply_kernelINS1_18TensorListMetadataILi3EEENS1_24BinaryOpListAlphaFunctorIbLi3ELi2ELi2EEEJSt10multipliesIbEbEEEvT_T0_DpT1_,@function
_ZN2at6native12_GLOBAL__N_125multi_tensor_apply_kernelINS1_18TensorListMetadataILi3EEENS1_24BinaryOpListAlphaFunctorIbLi3ELi2ELi2EEEJSt10multipliesIbEbEEEvT_T0_DpT1_: ; @_ZN2at6native12_GLOBAL__N_125multi_tensor_apply_kernelINS1_18TensorListMetadataILi3EEENS1_24BinaryOpListAlphaFunctorIbLi3ELi2ELi2EEEJSt10multipliesIbEbEEEvT_T0_DpT1_
; %bb.0:
	v_mov_b32_e32 v1, s15
	s_mul_hi_u32 s3, s15, 3
	s_load_b32 s2, s[0:1], 0xc48
	global_load_u8 v1, v1, s[0:1] offset:1536
	s_waitcnt lgkmcnt(0)
	s_bitcmp1_b32 s2, 16
	s_mul_i32 s2, s15, 3
	s_cselect_b32 s22, -1, 0
	s_add_u32 s4, s0, s15
	s_addc_u32 s5, s1, 0
	s_add_u32 s2, s4, s2
	s_addc_u32 s3, s5, s3
	s_load_b32 s2, s[2:3], 0x740
	s_waitcnt vmcnt(0)
	v_readfirstlane_b32 s4, v1
	s_delay_alu instid0(VALU_DEP_1)
	s_lshl_b32 s3, s4, 3
	s_clause 0x3
	s_load_b64 s[12:13], s[0:1], s3 offset:0x0
	s_load_b64 s[14:15], s[0:1], s3 offset:0x180
	;; [unrolled: 1-line block ×4, first 2 shown]
	s_waitcnt lgkmcnt(0)
	s_ashr_i32 s3, s2, 31
	s_delay_alu instid0(SALU_CYCLE_1) | instskip(NEXT) | instid1(SALU_CYCLE_1)
	s_lshl_b64 s[18:19], s[2:3], 16
	s_add_u32 s20, s12, s18
	s_addc_u32 s21, s13, s19
	s_add_u32 s23, s14, s18
	s_addc_u32 s24, s15, s19
	;; [unrolled: 2-line block ×3, first 2 shown]
	s_or_b32 s2, s25, s23
	s_delay_alu instid0(SALU_CYCLE_1) | instskip(NEXT) | instid1(SALU_CYCLE_1)
	s_and_b32 s2, s2, 3
	s_cmp_lg_u32 s2, 0
	s_cselect_b32 s6, -1, 0
	s_sub_u32 s10, s4, s18
	s_subb_u32 s11, s5, s19
	s_or_b64 s[2:3], s[4:5], s[20:21]
	s_mov_b32 s3, 0
	s_and_b32 s2, s2, 3
	s_delay_alu instid0(SALU_CYCLE_1) | instskip(SKIP_1) | instid1(SALU_CYCLE_1)
	s_cmp_lg_u64 s[2:3], 0
	s_cselect_b32 s2, -1, 0
	s_or_b32 s2, s6, s2
	s_delay_alu instid0(SALU_CYCLE_1)
	s_and_not1_b32 vcc_lo, exec_lo, s2
	s_mov_b32 s2, -1
	s_cbranch_vccz .LBB69_5
; %bb.1:
	v_dual_mov_b32 v2, 0 :: v_dual_lshlrev_b32 v1, 2, v0
	s_mov_b32 s27, exec_lo
	s_delay_alu instid0(VALU_DEP_1)
	v_cmpx_gt_i64_e64 s[10:11], v[1:2]
	s_cbranch_execz .LBB69_4
; %bb.2:
	s_load_b32 s2, s[0:1], 0xc5c
	s_mov_b32 s29, 0
	s_waitcnt lgkmcnt(0)
	s_and_b32 s2, s2, 0xffff
	s_delay_alu instid0(SALU_CYCLE_1)
	s_lshl_b32 s28, s2, 2
.LBB69_3:                               ; =>This Inner Loop Header: Depth=1
	v_add_co_u32 v3, vcc_lo, s23, v1
	v_add_co_ci_u32_e32 v4, vcc_lo, s24, v2, vcc_lo
	v_add_co_u32 v5, vcc_lo, s20, v1
	v_add_co_ci_u32_e32 v6, vcc_lo, s21, v2, vcc_lo
	global_load_b32 v7, v[3:4], off
	global_load_b32 v5, v[5:6], off
	v_add_co_u32 v3, vcc_lo, s25, v1
	v_add_co_ci_u32_e32 v4, vcc_lo, s26, v2, vcc_lo
	v_add_co_u32 v1, vcc_lo, s28, v1
	v_add_co_ci_u32_e32 v2, vcc_lo, 0, v2, vcc_lo
	s_delay_alu instid0(VALU_DEP_1) | instskip(SKIP_1) | instid1(VALU_DEP_1)
	v_cmp_le_i64_e32 vcc_lo, s[10:11], v[1:2]
	v_cmp_lt_u64_e64 s2, 0xffff, v[1:2]
	s_or_b32 s2, vcc_lo, s2
	s_waitcnt vmcnt(1)
	v_and_b32_e32 v6, 0xff, v7
	s_waitcnt vmcnt(0)
	v_and_b32_e32 v8, 0xff, v5
	v_and_b32_e32 v9, 0xff00, v7
	;; [unrolled: 1-line block ×4, first 2 shown]
	v_min_u32_e32 v5, v5, v7
	v_and_b32_e32 v11, 0xff0000, v7
	v_cmp_ne_u32_e64 s3, 0, v6
	v_cmp_ne_u32_e64 s4, 0, v8
	;; [unrolled: 1-line block ×4, first 2 shown]
	v_cmp_lt_u32_e64 s9, 0xffffff, v5
	v_cmp_ne_u32_e64 s7, 0, v11
	v_cmp_ne_u32_e64 s8, 0, v12
	s_and_b32 s3, s4, s3
	s_and_b32 s4, s6, s5
	;; [unrolled: 1-line block ×4, first 2 shown]
	v_cndmask_b32_e64 v5, 0, 0x1000000, s6
	v_cndmask_b32_e64 v6, 0, 1, s3
	s_and_b32 s5, s8, s7
	s_and_b32 s3, s4, s22
	s_delay_alu instid0(SALU_CYCLE_1) | instskip(SKIP_4) | instid1(SALU_CYCLE_1)
	v_cndmask_b32_e64 v7, 0, 0x100, s3
	s_and_b32 s3, s5, s22
	v_or_b32_e32 v5, v5, v6
	v_cndmask_b32_e64 v8, 0, 0x10000, s3
	s_and_b32 s2, exec_lo, s2
	s_or_b32 s29, s2, s29
	s_delay_alu instid0(VALU_DEP_1)
	v_or3_b32 v5, v5, v7, v8
	global_store_b32 v[3:4], v5, off
	s_and_not1_b32 exec_lo, exec_lo, s29
	s_cbranch_execnz .LBB69_3
.LBB69_4:
	s_or_b32 exec_lo, exec_lo, s27
	s_mov_b32 s2, 0
.LBB69_5:
	s_delay_alu instid0(SALU_CYCLE_1)
	s_and_not1_b32 vcc_lo, exec_lo, s2
	s_cbranch_vccnz .LBB69_25
; %bb.6:
	v_cmp_lt_i64_e64 s2, s[10:11], 1
	s_delay_alu instid0(VALU_DEP_1)
	s_and_b32 vcc_lo, exec_lo, s2
	s_cbranch_vccnz .LBB69_25
; %bb.7:
	s_load_b32 s0, s[0:1], 0xc5c
	v_add_co_u32 v21, s1, s18, v0
	s_delay_alu instid0(VALU_DEP_1) | instskip(SKIP_1) | instid1(VALU_DEP_3)
	v_add_co_ci_u32_e64 v22, null, s19, 0, s1
	v_cmp_gt_u64_e64 s1, 0x10000, s[10:11]
	v_add_co_u32 v1, vcc_lo, s12, v21
	s_delay_alu instid0(VALU_DEP_3)
	v_add_co_ci_u32_e32 v2, vcc_lo, s13, v22, vcc_lo
	v_add_co_u32 v3, vcc_lo, s14, v21
	v_add_co_ci_u32_e32 v4, vcc_lo, s15, v22, vcc_lo
	v_add_co_u32 v5, vcc_lo, s16, v21
	v_add_co_ci_u32_e32 v6, vcc_lo, s17, v22, vcc_lo
	s_waitcnt lgkmcnt(0)
	s_and_b32 s0, s0, 0xffff
	s_and_b32 s1, s1, exec_lo
	s_mul_i32 s2, s0, 3
	s_cselect_b32 s5, s11, 0
	s_cselect_b32 s4, s10, 0x10000
	s_lshl_b32 s1, s0, 1
	s_lshl_b32 s8, s0, 2
	s_add_u32 s3, s18, s2
	s_addc_u32 s6, s19, 0
	v_add_co_u32 v11, s3, s3, v0
	s_delay_alu instid0(VALU_DEP_1) | instskip(SKIP_1) | instid1(VALU_DEP_2)
	v_add_co_ci_u32_e64 v12, null, s6, 0, s3
	s_add_u32 s3, s18, s1
	v_add_co_u32 v7, vcc_lo, s12, v11
	s_delay_alu instid0(VALU_DEP_2)
	v_add_co_ci_u32_e32 v8, vcc_lo, s13, v12, vcc_lo
	v_add_co_u32 v9, vcc_lo, s14, v11
	s_addc_u32 s6, s19, 0
	v_add_co_u32 v19, s3, s3, v0
	v_add_co_ci_u32_e32 v10, vcc_lo, s15, v12, vcc_lo
	v_add_co_u32 v11, vcc_lo, s16, v11
	v_add_co_ci_u32_e64 v20, null, s6, 0, s3
	v_add_co_ci_u32_e32 v12, vcc_lo, s17, v12, vcc_lo
	v_add_co_u32 v15, vcc_lo, s12, v19
	s_delay_alu instid0(VALU_DEP_3)
	v_add_co_ci_u32_e32 v16, vcc_lo, s13, v20, vcc_lo
	v_add_co_u32 v17, vcc_lo, s14, v19
	v_add_co_ci_u32_e32 v18, vcc_lo, s15, v20, vcc_lo
	v_add_co_u32 v19, vcc_lo, s16, v19
	;; [unrolled: 2-line block ×3, first 2 shown]
	v_add_co_ci_u32_e32 v28, vcc_lo, 0, v22, vcc_lo
	v_add_co_u32 v13, s2, s2, v0
	s_delay_alu instid0(VALU_DEP_3) | instskip(NEXT) | instid1(VALU_DEP_3)
	v_add_co_u32 v23, vcc_lo, s12, v27
	v_add_co_ci_u32_e32 v24, vcc_lo, s13, v28, vcc_lo
	v_add_co_u32 v25, vcc_lo, s14, v27
	v_add_co_ci_u32_e32 v26, vcc_lo, s15, v28, vcc_lo
	v_add_co_u32 v21, s1, s1, v0
	v_add_co_u32 v27, vcc_lo, s16, v27
	v_add_co_u32 v29, s0, v0, s0
	v_add_co_ci_u32_e64 v14, null, 0, 0, s2
	v_add_co_ci_u32_e64 v22, null, 0, 0, s1
	v_add_co_ci_u32_e32 v28, vcc_lo, s17, v28, vcc_lo
	v_add_co_ci_u32_e64 v30, null, 0, 0, s0
	s_mov_b64 s[6:7], 0
	s_branch .LBB69_9
.LBB69_8:                               ;   in Loop: Header=BB69_9 Depth=1
	s_or_b32 exec_lo, exec_lo, s1
	s_add_u32 s6, s6, s8
	s_addc_u32 s7, s7, 0
	s_delay_alu instid0(SALU_CYCLE_1) | instskip(SKIP_1) | instid1(VALU_DEP_1)
	v_cmp_ge_i64_e64 s0, s[6:7], s[10:11]
	v_cmp_lt_u64_e64 s1, 0xffff, s[6:7]
	s_or_b32 s0, s0, s1
	s_delay_alu instid0(SALU_CYCLE_1)
	s_and_b32 vcc_lo, exec_lo, s0
	s_cbranch_vccnz .LBB69_25
.LBB69_9:                               ; =>This Inner Loop Header: Depth=1
	s_waitcnt vmcnt(0)
	v_add_co_u32 v33, s0, v0, s6
	s_delay_alu instid0(VALU_DEP_1) | instskip(SKIP_1) | instid1(VALU_DEP_2)
	v_add_co_ci_u32_e64 v34, null, 0, s7, s0
	v_dual_mov_b32 v32, 0 :: v_dual_mov_b32 v31, 0
	v_cmp_gt_u64_e32 vcc_lo, s[4:5], v[33:34]
	v_mov_b32_e32 v33, 0
	s_and_saveexec_b32 s1, vcc_lo
	s_cbranch_execz .LBB69_11
; %bb.10:                               ;   in Loop: Header=BB69_9 Depth=1
	v_add_co_u32 v33, s0, v1, s6
	s_delay_alu instid0(VALU_DEP_1) | instskip(SKIP_1) | instid1(VALU_DEP_1)
	v_add_co_ci_u32_e64 v34, s0, s7, v2, s0
	v_add_co_u32 v35, s0, v3, s6
	v_add_co_ci_u32_e64 v36, s0, s7, v4, s0
	global_load_u8 v31, v[33:34], off
	global_load_u8 v33, v[35:36], off
.LBB69_11:                              ;   in Loop: Header=BB69_9 Depth=1
	s_or_b32 exec_lo, exec_lo, s1
	v_add_co_u32 v34, s0, v29, s6
	s_delay_alu instid0(VALU_DEP_1) | instskip(NEXT) | instid1(VALU_DEP_1)
	v_add_co_ci_u32_e64 v35, s0, s7, v30, s0
	v_cmp_gt_u64_e64 s0, s[4:5], v[34:35]
	s_delay_alu instid0(VALU_DEP_1)
	s_and_saveexec_b32 s2, s0
	s_cbranch_execz .LBB69_13
; %bb.12:                               ;   in Loop: Header=BB69_9 Depth=1
	v_add_co_u32 v34, s1, v23, s6
	s_delay_alu instid0(VALU_DEP_1) | instskip(SKIP_2) | instid1(VALU_DEP_1)
	v_add_co_ci_u32_e64 v35, s1, s7, v24, s1
	global_load_u8 v36, v[34:35], off
	v_add_co_u32 v34, s1, v25, s6
	v_add_co_ci_u32_e64 v35, s1, s7, v26, s1
	global_load_u8 v32, v[34:35], off
	s_waitcnt vmcnt(1)
	v_lshl_or_b32 v31, v36, 8, v31
.LBB69_13:                              ;   in Loop: Header=BB69_9 Depth=1
	s_or_b32 exec_lo, exec_lo, s2
	v_add_co_u32 v34, s1, v21, s6
	s_delay_alu instid0(VALU_DEP_1) | instskip(NEXT) | instid1(VALU_DEP_1)
	v_add_co_ci_u32_e64 v35, s1, s7, v22, s1
	v_cmp_gt_u64_e64 s1, s[4:5], v[34:35]
	v_dual_mov_b32 v34, 0 :: v_dual_mov_b32 v35, 0
	s_delay_alu instid0(VALU_DEP_2)
	s_and_saveexec_b32 s3, s1
	s_cbranch_execz .LBB69_15
; %bb.14:                               ;   in Loop: Header=BB69_9 Depth=1
	v_add_co_u32 v35, s2, v15, s6
	s_delay_alu instid0(VALU_DEP_1) | instskip(SKIP_2) | instid1(VALU_DEP_1)
	v_add_co_ci_u32_e64 v36, s2, s7, v16, s2
	global_load_u8 v37, v[35:36], off
	v_add_co_u32 v35, s2, v17, s6
	v_add_co_ci_u32_e64 v36, s2, s7, v18, s2
	global_load_u8 v35, v[35:36], off
	s_waitcnt vmcnt(1)
	v_lshl_or_b32 v31, v37, 16, v31
.LBB69_15:                              ;   in Loop: Header=BB69_9 Depth=1
	s_or_b32 exec_lo, exec_lo, s3
	v_add_co_u32 v36, s2, v13, s6
	s_delay_alu instid0(VALU_DEP_1) | instskip(NEXT) | instid1(VALU_DEP_1)
	v_add_co_ci_u32_e64 v37, s2, s7, v14, s2
	v_cmp_gt_u64_e64 s2, s[4:5], v[36:37]
	s_delay_alu instid0(VALU_DEP_1)
	s_and_saveexec_b32 s9, s2
	s_cbranch_execnz .LBB69_20
; %bb.16:                               ;   in Loop: Header=BB69_9 Depth=1
	s_or_b32 exec_lo, exec_lo, s9
	s_and_saveexec_b32 s9, vcc_lo
	s_cbranch_execnz .LBB69_21
.LBB69_17:                              ;   in Loop: Header=BB69_9 Depth=1
	s_or_b32 exec_lo, exec_lo, s9
	s_and_saveexec_b32 s3, s0
	s_cbranch_execnz .LBB69_22
.LBB69_18:                              ;   in Loop: Header=BB69_9 Depth=1
	s_or_b32 exec_lo, exec_lo, s3
	s_and_saveexec_b32 s3, s1
	s_cbranch_execnz .LBB69_23
.LBB69_19:                              ;   in Loop: Header=BB69_9 Depth=1
	s_or_b32 exec_lo, exec_lo, s3
	s_and_saveexec_b32 s1, s2
	s_cbranch_execz .LBB69_8
	s_branch .LBB69_24
.LBB69_20:                              ;   in Loop: Header=BB69_9 Depth=1
	v_add_co_u32 v36, s3, v7, s6
	s_delay_alu instid0(VALU_DEP_1) | instskip(SKIP_2) | instid1(VALU_DEP_1)
	v_add_co_ci_u32_e64 v37, s3, s7, v8, s3
	global_load_u8 v38, v[36:37], off
	v_add_co_u32 v36, s3, v9, s6
	v_add_co_ci_u32_e64 v37, s3, s7, v10, s3
	global_load_u8 v34, v[36:37], off
	s_waitcnt vmcnt(1)
	v_lshl_or_b32 v31, v38, 24, v31
	s_or_b32 exec_lo, exec_lo, s9
	s_and_saveexec_b32 s9, vcc_lo
	s_cbranch_execz .LBB69_17
.LBB69_21:                              ;   in Loop: Header=BB69_9 Depth=1
	s_waitcnt vmcnt(1)
	v_and_b32_e32 v36, 0xff, v31
	s_waitcnt vmcnt(0)
	v_and_b32_e32 v33, 0xff, v33
	s_delay_alu instid0(VALU_DEP_2) | instskip(NEXT) | instid1(VALU_DEP_2)
	v_cmp_ne_u32_e32 vcc_lo, 0, v36
	v_cmp_ne_u16_e64 s3, 0, v33
	s_delay_alu instid0(VALU_DEP_1)
	s_and_b32 s3, s3, vcc_lo
	v_add_co_u32 v36, vcc_lo, v5, s6
	s_and_b32 s3, s3, s22
	v_add_co_ci_u32_e32 v37, vcc_lo, s7, v6, vcc_lo
	v_cndmask_b32_e64 v33, 0, 1, s3
	global_store_b8 v[36:37], v33, off
	s_or_b32 exec_lo, exec_lo, s9
	s_and_saveexec_b32 s3, s0
	s_cbranch_execz .LBB69_18
.LBB69_22:                              ;   in Loop: Header=BB69_9 Depth=1
	s_waitcnt vmcnt(0)
	v_and_b32_e32 v32, 0xff, v32
	v_and_b32_e32 v33, 0xff00, v31
	s_delay_alu instid0(VALU_DEP_2) | instskip(NEXT) | instid1(VALU_DEP_2)
	v_cmp_ne_u16_e32 vcc_lo, 0, v32
	v_cmp_ne_u32_e64 s0, 0, v33
	s_delay_alu instid0(VALU_DEP_1)
	s_and_b32 s0, vcc_lo, s0
	v_add_co_u32 v32, vcc_lo, v27, s6
	s_and_b32 s0, s0, s22
	v_add_co_ci_u32_e32 v33, vcc_lo, s7, v28, vcc_lo
	v_cndmask_b32_e64 v36, 0, 1, s0
	global_store_b8 v[32:33], v36, off
	s_or_b32 exec_lo, exec_lo, s3
	s_and_saveexec_b32 s3, s1
	s_cbranch_execz .LBB69_19
.LBB69_23:                              ;   in Loop: Header=BB69_9 Depth=1
	s_waitcnt vmcnt(0)
	v_and_b32_e32 v32, 0xff, v35
	v_and_b32_e32 v33, 0xff0000, v31
	s_delay_alu instid0(VALU_DEP_2) | instskip(NEXT) | instid1(VALU_DEP_2)
	v_cmp_ne_u16_e32 vcc_lo, 0, v32
	v_cmp_ne_u32_e64 s0, 0, v33
	s_delay_alu instid0(VALU_DEP_1)
	s_and_b32 s0, vcc_lo, s0
	v_add_co_u32 v32, vcc_lo, v19, s6
	s_and_b32 s0, s0, s22
	v_add_co_ci_u32_e32 v33, vcc_lo, s7, v20, vcc_lo
	v_cndmask_b32_e64 v35, 0, 1, s0
	global_store_b8 v[32:33], v35, off
	s_or_b32 exec_lo, exec_lo, s3
	s_and_saveexec_b32 s1, s2
	s_cbranch_execz .LBB69_8
.LBB69_24:                              ;   in Loop: Header=BB69_9 Depth=1
	s_waitcnt vmcnt(0)
	v_and_b32_e32 v32, 0xff, v34
	v_cmp_lt_u32_e32 vcc_lo, 0xffffff, v31
	s_delay_alu instid0(VALU_DEP_2) | instskip(NEXT) | instid1(VALU_DEP_1)
	v_cmp_ne_u16_e64 s0, 0, v32
	s_and_b32 s0, vcc_lo, s0
	v_add_co_u32 v31, vcc_lo, v11, s6
	s_and_b32 s0, s0, s22
	v_add_co_ci_u32_e32 v32, vcc_lo, s7, v12, vcc_lo
	v_cndmask_b32_e64 v33, 0, 1, s0
	global_store_b8 v[31:32], v33, off
	s_branch .LBB69_8
.LBB69_25:
	s_nop 0
	s_sendmsg sendmsg(MSG_DEALLOC_VGPRS)
	s_endpgm
	.section	.rodata,"a",@progbits
	.p2align	6, 0x0
	.amdhsa_kernel _ZN2at6native12_GLOBAL__N_125multi_tensor_apply_kernelINS1_18TensorListMetadataILi3EEENS1_24BinaryOpListAlphaFunctorIbLi3ELi2ELi2EEEJSt10multipliesIbEbEEEvT_T0_DpT1_
		.amdhsa_group_segment_fixed_size 0
		.amdhsa_private_segment_fixed_size 0
		.amdhsa_kernarg_size 3408
		.amdhsa_user_sgpr_count 15
		.amdhsa_user_sgpr_dispatch_ptr 0
		.amdhsa_user_sgpr_queue_ptr 0
		.amdhsa_user_sgpr_kernarg_segment_ptr 1
		.amdhsa_user_sgpr_dispatch_id 0
		.amdhsa_user_sgpr_private_segment_size 0
		.amdhsa_wavefront_size32 1
		.amdhsa_uses_dynamic_stack 0
		.amdhsa_enable_private_segment 0
		.amdhsa_system_sgpr_workgroup_id_x 1
		.amdhsa_system_sgpr_workgroup_id_y 0
		.amdhsa_system_sgpr_workgroup_id_z 0
		.amdhsa_system_sgpr_workgroup_info 0
		.amdhsa_system_vgpr_workitem_id 0
		.amdhsa_next_free_vgpr 39
		.amdhsa_next_free_sgpr 30
		.amdhsa_reserve_vcc 1
		.amdhsa_float_round_mode_32 0
		.amdhsa_float_round_mode_16_64 0
		.amdhsa_float_denorm_mode_32 3
		.amdhsa_float_denorm_mode_16_64 3
		.amdhsa_dx10_clamp 1
		.amdhsa_ieee_mode 1
		.amdhsa_fp16_overflow 0
		.amdhsa_workgroup_processor_mode 1
		.amdhsa_memory_ordered 1
		.amdhsa_forward_progress 0
		.amdhsa_shared_vgpr_count 0
		.amdhsa_exception_fp_ieee_invalid_op 0
		.amdhsa_exception_fp_denorm_src 0
		.amdhsa_exception_fp_ieee_div_zero 0
		.amdhsa_exception_fp_ieee_overflow 0
		.amdhsa_exception_fp_ieee_underflow 0
		.amdhsa_exception_fp_ieee_inexact 0
		.amdhsa_exception_int_div_zero 0
	.end_amdhsa_kernel
	.section	.text._ZN2at6native12_GLOBAL__N_125multi_tensor_apply_kernelINS1_18TensorListMetadataILi3EEENS1_24BinaryOpListAlphaFunctorIbLi3ELi2ELi2EEEJSt10multipliesIbEbEEEvT_T0_DpT1_,"axG",@progbits,_ZN2at6native12_GLOBAL__N_125multi_tensor_apply_kernelINS1_18TensorListMetadataILi3EEENS1_24BinaryOpListAlphaFunctorIbLi3ELi2ELi2EEEJSt10multipliesIbEbEEEvT_T0_DpT1_,comdat
.Lfunc_end69:
	.size	_ZN2at6native12_GLOBAL__N_125multi_tensor_apply_kernelINS1_18TensorListMetadataILi3EEENS1_24BinaryOpListAlphaFunctorIbLi3ELi2ELi2EEEJSt10multipliesIbEbEEEvT_T0_DpT1_, .Lfunc_end69-_ZN2at6native12_GLOBAL__N_125multi_tensor_apply_kernelINS1_18TensorListMetadataILi3EEENS1_24BinaryOpListAlphaFunctorIbLi3ELi2ELi2EEEJSt10multipliesIbEbEEEvT_T0_DpT1_
                                        ; -- End function
	.section	.AMDGPU.csdata,"",@progbits
; Kernel info:
; codeLenInByte = 1912
; NumSgprs: 32
; NumVgprs: 39
; ScratchSize: 0
; MemoryBound: 0
; FloatMode: 240
; IeeeMode: 1
; LDSByteSize: 0 bytes/workgroup (compile time only)
; SGPRBlocks: 3
; VGPRBlocks: 4
; NumSGPRsForWavesPerEU: 32
; NumVGPRsForWavesPerEU: 39
; Occupancy: 16
; WaveLimiterHint : 0
; COMPUTE_PGM_RSRC2:SCRATCH_EN: 0
; COMPUTE_PGM_RSRC2:USER_SGPR: 15
; COMPUTE_PGM_RSRC2:TRAP_HANDLER: 0
; COMPUTE_PGM_RSRC2:TGID_X_EN: 1
; COMPUTE_PGM_RSRC2:TGID_Y_EN: 0
; COMPUTE_PGM_RSRC2:TGID_Z_EN: 0
; COMPUTE_PGM_RSRC2:TIDIG_COMP_CNT: 0
	.section	.text._ZN2at6native12_GLOBAL__N_125multi_tensor_apply_kernelINS1_18TensorListMetadataILi3EEENS1_24BinaryOpListAlphaFunctorIN3c108BFloat16ELi3ELi2ELi2EEEJSt10multipliesIfEfEEEvT_T0_DpT1_,"axG",@progbits,_ZN2at6native12_GLOBAL__N_125multi_tensor_apply_kernelINS1_18TensorListMetadataILi3EEENS1_24BinaryOpListAlphaFunctorIN3c108BFloat16ELi3ELi2ELi2EEEJSt10multipliesIfEfEEEvT_T0_DpT1_,comdat
	.globl	_ZN2at6native12_GLOBAL__N_125multi_tensor_apply_kernelINS1_18TensorListMetadataILi3EEENS1_24BinaryOpListAlphaFunctorIN3c108BFloat16ELi3ELi2ELi2EEEJSt10multipliesIfEfEEEvT_T0_DpT1_ ; -- Begin function _ZN2at6native12_GLOBAL__N_125multi_tensor_apply_kernelINS1_18TensorListMetadataILi3EEENS1_24BinaryOpListAlphaFunctorIN3c108BFloat16ELi3ELi2ELi2EEEJSt10multipliesIfEfEEEvT_T0_DpT1_
	.p2align	8
	.type	_ZN2at6native12_GLOBAL__N_125multi_tensor_apply_kernelINS1_18TensorListMetadataILi3EEENS1_24BinaryOpListAlphaFunctorIN3c108BFloat16ELi3ELi2ELi2EEEJSt10multipliesIfEfEEEvT_T0_DpT1_,@function
_ZN2at6native12_GLOBAL__N_125multi_tensor_apply_kernelINS1_18TensorListMetadataILi3EEENS1_24BinaryOpListAlphaFunctorIN3c108BFloat16ELi3ELi2ELi2EEEJSt10multipliesIfEfEEEvT_T0_DpT1_: ; @_ZN2at6native12_GLOBAL__N_125multi_tensor_apply_kernelINS1_18TensorListMetadataILi3EEENS1_24BinaryOpListAlphaFunctorIN3c108BFloat16ELi3ELi2ELi2EEEJSt10multipliesIfEfEEEvT_T0_DpT1_
; %bb.0:
	v_mov_b32_e32 v1, s15
	s_add_u32 s2, s0, s15
	s_mul_hi_u32 s3, s15, 3
	s_mul_i32 s15, s15, 3
	s_addc_u32 s4, s1, 0
	global_load_u8 v1, v1, s[0:1] offset:1536
	s_load_b32 s16, s[0:1], 0xc4c
	s_add_u32 s2, s2, s15
	s_addc_u32 s3, s4, s3
	s_mov_b32 s19, 0
	s_load_b32 s2, s[2:3], 0x740
	s_mov_b32 s21, s19
	s_waitcnt vmcnt(0)
	v_readfirstlane_b32 s3, v1
	s_delay_alu instid0(VALU_DEP_1)
	s_lshl_b32 s3, s3, 3
	s_clause 0x3
	s_load_b64 s[12:13], s[0:1], s3 offset:0x180
	s_load_b64 s[10:11], s[0:1], s3 offset:0x300
	;; [unrolled: 1-line block ×4, first 2 shown]
	s_waitcnt lgkmcnt(0)
	s_ashr_i32 s3, s2, 31
	s_delay_alu instid0(SALU_CYCLE_1) | instskip(NEXT) | instid1(SALU_CYCLE_1)
	s_lshl_b64 s[6:7], s[2:3], 17
	s_add_u32 s8, s12, s6
	s_delay_alu instid0(SALU_CYCLE_1) | instskip(SKIP_2) | instid1(SALU_CYCLE_1)
	s_or_b32 s8, s10, s8
	s_and_b32 s18, s14, 7
	s_and_b32 s8, s8, 7
	s_cmp_lg_u32 s8, 0
	s_cselect_b32 s17, -1, 0
	s_lshl_b64 s[2:3], s[2:3], 16
	s_delay_alu instid0(SALU_CYCLE_1) | instskip(SKIP_2) | instid1(SALU_CYCLE_1)
	s_sub_u32 s8, s4, s2
	s_subb_u32 s9, s5, s3
	s_and_b32 s20, s4, 3
	s_or_b64 s[2:3], s[18:19], s[20:21]
	s_delay_alu instid0(SALU_CYCLE_1) | instskip(SKIP_1) | instid1(SALU_CYCLE_1)
	s_cmp_lg_u64 s[2:3], 0
	s_cselect_b32 s2, -1, 0
	s_or_b32 s2, s17, s2
	s_delay_alu instid0(SALU_CYCLE_1)
	s_and_not1_b32 vcc_lo, exec_lo, s2
	s_mov_b32 s2, -1
	s_cbranch_vccz .LBB70_5
; %bb.1:
	v_dual_mov_b32 v2, 0 :: v_dual_lshlrev_b32 v1, 2, v0
	s_mov_b32 s17, exec_lo
	s_delay_alu instid0(VALU_DEP_1)
	v_cmpx_gt_i64_e64 s[8:9], v[1:2]
	s_cbranch_execz .LBB70_4
; %bb.2:
	s_load_b32 s2, s[0:1], 0xc5c
	v_lshlrev_b32_e32 v1, 3, v0
	s_mov_b32 s18, 0
	s_delay_alu instid0(VALU_DEP_1) | instskip(NEXT) | instid1(VALU_DEP_1)
	v_add_co_u32 v3, s3, s6, v1
	v_add_co_ci_u32_e64 v4, null, s7, 0, s3
	s_waitcnt lgkmcnt(0)
	s_and_b32 s2, s2, 0xffff
	s_delay_alu instid0(SALU_CYCLE_1)
	v_add_lshl_u32 v1, v0, s2, 2
	s_lshl_b32 s19, s2, 3
	s_lshl_b32 s20, s2, 2
.LBB70_3:                               ; =>This Inner Loop Header: Depth=1
	v_add_co_u32 v5, vcc_lo, s12, v3
	v_add_co_ci_u32_e32 v6, vcc_lo, s13, v4, vcc_lo
	v_add_co_u32 v7, vcc_lo, s14, v3
	v_add_co_ci_u32_e32 v8, vcc_lo, s15, v4, vcc_lo
	v_add_co_u32 v9, vcc_lo, s10, v3
	global_load_b64 v[5:6], v[5:6], off
	global_load_b64 v[7:8], v[7:8], off
	v_add_co_ci_u32_e32 v10, vcc_lo, s11, v4, vcc_lo
	v_cmp_le_i64_e32 vcc_lo, s[8:9], v[1:2]
	v_cmp_lt_u64_e64 s2, 0xffff, v[1:2]
	v_add_co_u32 v3, s3, v3, s19
	s_delay_alu instid0(VALU_DEP_1) | instskip(SKIP_1) | instid1(VALU_DEP_4)
	v_add_co_ci_u32_e64 v4, s3, 0, v4, s3
	v_add_co_u32 v1, s3, v1, s20
	s_or_b32 s2, vcc_lo, s2
	v_add_co_ci_u32_e64 v2, s3, 0, v2, s3
	s_and_b32 s2, exec_lo, s2
	s_delay_alu instid0(SALU_CYCLE_1)
	s_or_b32 s18, s2, s18
	s_waitcnt vmcnt(1)
	v_lshlrev_b32_e32 v12, 16, v5
	s_waitcnt vmcnt(0)
	v_lshlrev_b32_e32 v11, 16, v7
	v_and_b32_e32 v14, 0xffff0000, v5
	v_alignbit_b32 v5, v6, v5, 16
	v_and_b32_e32 v13, 0xffff0000, v7
	v_alignbit_b32 v7, v8, v7, 16
	v_and_b32_e32 v6, 0xffff0000, v6
	s_delay_alu instid0(VALU_DEP_4) | instskip(NEXT) | instid1(VALU_DEP_2)
	v_and_b32_e32 v5, 0xffff0000, v5
	v_dual_mul_f32 v6, s16, v6 :: v_dual_and_b32 v7, 0xffff0000, v7
	s_delay_alu instid0(VALU_DEP_2) | instskip(NEXT) | instid1(VALU_DEP_1)
	v_dual_mul_f32 v5, s16, v5 :: v_dual_and_b32 v8, 0xffff0000, v8
	v_dual_mul_f32 v5, v5, v7 :: v_dual_mul_f32 v12, s16, v12
	s_delay_alu instid0(VALU_DEP_1) | instskip(NEXT) | instid1(VALU_DEP_1)
	v_dual_mul_f32 v11, v12, v11 :: v_dual_mul_f32 v14, s16, v14
	v_cmp_o_f32_e64 s5, v11, v11
	s_delay_alu instid0(VALU_DEP_2) | instskip(NEXT) | instid1(VALU_DEP_4)
	v_mul_f32_e32 v12, v14, v13
	v_bfe_u32 v14, v5, 16, 1
	s_delay_alu instid0(VALU_DEP_2) | instskip(SKIP_1) | instid1(VALU_DEP_3)
	v_bfe_u32 v13, v12, 16, 1
	v_cmp_o_f32_e64 s4, v12, v12
	v_add3_u32 v14, v5, v14, 0x7fff
	s_delay_alu instid0(VALU_DEP_3) | instskip(SKIP_2) | instid1(VALU_DEP_3)
	v_add3_u32 v13, v12, v13, 0x7fff
	v_mul_f32_e32 v6, v6, v8
	v_bfe_u32 v8, v11, 16, 1
	v_and_b32_e32 v13, 0xffff0000, v13
	s_delay_alu instid0(VALU_DEP_3) | instskip(NEXT) | instid1(VALU_DEP_3)
	v_bfe_u32 v7, v6, 16, 1
	v_add3_u32 v8, v11, v8, 0x7fff
	v_lshrrev_b32_e32 v11, 16, v14
	s_delay_alu instid0(VALU_DEP_4) | instskip(NEXT) | instid1(VALU_DEP_4)
	v_cndmask_b32_e64 v12, 0x7fc00000, v13, s4
	v_add3_u32 v7, v6, v7, 0x7fff
	s_delay_alu instid0(VALU_DEP_4) | instskip(SKIP_1) | instid1(VALU_DEP_3)
	v_lshrrev_b32_e32 v8, 16, v8
	v_cmp_o_f32_e64 s4, v6, v6
	v_and_b32_e32 v7, 0xffff0000, v7
	s_delay_alu instid0(VALU_DEP_3) | instskip(NEXT) | instid1(VALU_DEP_2)
	v_cndmask_b32_e64 v8, 0x7fc0, v8, s5
	v_cndmask_b32_e64 v6, 0x7fc00000, v7, s4
	v_cmp_o_f32_e64 s4, v5, v5
	s_delay_alu instid0(VALU_DEP_3) | instskip(NEXT) | instid1(VALU_DEP_2)
	v_or_b32_e32 v7, v8, v12
	v_cndmask_b32_e64 v5, 0x7fc0, v11, s4
	s_delay_alu instid0(VALU_DEP_1) | instskip(NEXT) | instid1(VALU_DEP_3)
	v_or3_b32 v6, 0, v5, v6
	v_or3_b32 v5, v7, 0, 0
	global_store_b64 v[9:10], v[5:6], off
	s_and_not1_b32 exec_lo, exec_lo, s18
	s_cbranch_execnz .LBB70_3
.LBB70_4:
	s_or_b32 exec_lo, exec_lo, s17
	s_mov_b32 s2, 0
.LBB70_5:
	s_delay_alu instid0(SALU_CYCLE_1)
	s_and_not1_b32 vcc_lo, exec_lo, s2
	s_cbranch_vccnz .LBB70_25
; %bb.6:
	v_cmp_lt_i64_e64 s2, s[8:9], 1
	s_delay_alu instid0(VALU_DEP_1)
	s_and_b32 vcc_lo, exec_lo, s2
	s_cbranch_vccnz .LBB70_25
; %bb.7:
	s_load_b32 s0, s[0:1], 0xc5c
	v_dual_mov_b32 v2, 0 :: v_dual_lshlrev_b32 v1, 1, v0
	v_cmp_gt_u64_e64 s1, 0x10000, s[8:9]
	s_delay_alu instid0(VALU_DEP_2) | instskip(NEXT) | instid1(VALU_DEP_1)
	v_add_co_u32 v3, s2, s14, v1
	v_add_co_ci_u32_e64 v4, null, s15, 0, s2
	v_add_co_u32 v5, s2, s12, v1
	s_delay_alu instid0(VALU_DEP_1) | instskip(SKIP_1) | instid1(VALU_DEP_1)
	v_add_co_ci_u32_e64 v6, null, s13, 0, s2
	v_add_co_u32 v7, s2, s10, v1
	v_add_co_ci_u32_e64 v8, null, s11, 0, s2
	s_waitcnt lgkmcnt(0)
	s_and_b32 s0, s0, 0xffff
	s_and_b32 s1, s1, exec_lo
	v_mad_u64_u32 v[13:14], null, s0, 6, v[1:2]
	s_cselect_b32 s5, s9, 0
	s_cselect_b32 s4, s8, 0x10000
	s_lshl_b32 s17, s0, 2
	s_mul_i32 s2, s0, 3
	v_add_co_u32 v1, s3, s17, v1
	s_delay_alu instid0(VALU_DEP_2) | instskip(NEXT) | instid1(VALU_DEP_3)
	v_add_co_u32 v9, vcc_lo, s14, v13
	v_add_co_ci_u32_e32 v10, vcc_lo, s15, v14, vcc_lo
	v_add_co_u32 v11, vcc_lo, s12, v13
	v_add_co_ci_u32_e32 v12, vcc_lo, s13, v14, vcc_lo
	v_add_co_u32 v13, vcc_lo, s10, v13
	v_add_co_ci_u32_e64 v2, null, 0, 0, s3
	v_add_co_ci_u32_e32 v14, vcc_lo, s11, v14, vcc_lo
	v_add_co_u32 v15, s2, s2, v0
	v_add_co_u32 v17, vcc_lo, s14, v1
	v_add_co_ci_u32_e64 v16, null, 0, 0, s2
	v_add_co_u32 v21, s2, v0, s0
	v_add_co_ci_u32_e32 v18, vcc_lo, s15, v2, vcc_lo
	v_add_co_u32 v19, vcc_lo, s12, v1
	v_add_co_ci_u32_e32 v20, vcc_lo, s13, v2, vcc_lo
	v_add_co_u32 v22, vcc_lo, s10, v1
	v_lshlrev_b32_e32 v1, 1, v21
	s_lshl_b32 s1, s0, 1
	v_add_co_ci_u32_e32 v23, vcc_lo, s11, v2, vcc_lo
	v_add_co_u32 v25, s1, s1, v0
	s_delay_alu instid0(VALU_DEP_1) | instskip(SKIP_1) | instid1(VALU_DEP_1)
	v_add_co_ci_u32_e64 v26, null, 0, 0, s1
	v_add_co_u32 v27, s1, s14, v1
	v_add_co_ci_u32_e64 v28, null, s15, 0, s1
	v_add_co_u32 v29, s1, s12, v1
	s_delay_alu instid0(VALU_DEP_1)
	v_add_co_ci_u32_e64 v30, null, s13, 0, s1
	v_add_co_u32 v31, s1, s10, v1
	v_add_co_ci_u32_e64 v24, null, 0, 0, s2
	v_add_co_ci_u32_e64 v32, null, s11, 0, s1
	s_mov_b32 s12, 0
	s_lshl_b32 s13, s0, 3
	s_mov_b64 s[10:11], 0
	s_branch .LBB70_9
.LBB70_8:                               ;   in Loop: Header=BB70_9 Depth=1
	s_or_b32 exec_lo, exec_lo, s0
	v_add_co_u32 v3, vcc_lo, v3, s13
	v_add_co_ci_u32_e32 v4, vcc_lo, 0, v4, vcc_lo
	v_add_co_u32 v5, vcc_lo, v5, s13
	v_add_co_ci_u32_e32 v6, vcc_lo, 0, v6, vcc_lo
	;; [unrolled: 2-line block ×9, first 2 shown]
	s_add_u32 s10, s10, s17
	v_add_co_u32 v27, vcc_lo, v27, s13
	s_addc_u32 s11, s11, 0
	v_add_co_ci_u32_e32 v28, vcc_lo, 0, v28, vcc_lo
	v_cmp_ge_i64_e64 s0, s[10:11], s[8:9]
	v_cmp_lt_u64_e64 s1, 0xffff, s[10:11]
	v_add_co_u32 v29, vcc_lo, v29, s13
	v_add_co_ci_u32_e32 v30, vcc_lo, 0, v30, vcc_lo
	v_add_co_u32 v31, vcc_lo, v31, s13
	v_add_co_ci_u32_e32 v32, vcc_lo, 0, v32, vcc_lo
	s_or_b32 s0, s0, s1
	s_delay_alu instid0(SALU_CYCLE_1)
	s_and_b32 vcc_lo, exec_lo, s0
	s_cbranch_vccnz .LBB70_25
.LBB70_9:                               ; =>This Inner Loop Header: Depth=1
	v_add_co_u32 v1, s0, v0, s10
	s_delay_alu instid0(VALU_DEP_1) | instskip(SKIP_2) | instid1(VALU_DEP_2)
	v_add_co_ci_u32_e64 v2, null, 0, s11, s0
	s_waitcnt vmcnt(0)
	v_mov_b32_e32 v34, 0
	v_cmp_gt_u64_e32 vcc_lo, s[4:5], v[1:2]
	v_mov_b32_e32 v1, 0
	v_mov_b32_e32 v2, 0
	s_and_saveexec_b32 s1, vcc_lo
	s_cbranch_execz .LBB70_11
; %bb.10:                               ;   in Loop: Header=BB70_9 Depth=1
	v_add_co_u32 v1, s0, v3, s6
	s_delay_alu instid0(VALU_DEP_1) | instskip(SKIP_2) | instid1(VALU_DEP_1)
	v_add_co_ci_u32_e64 v2, s0, s7, v4, s0
	global_load_u16 v33, v[1:2], off
	v_add_co_u32 v1, s0, v5, s6
	v_add_co_ci_u32_e64 v2, s0, s7, v6, s0
	global_load_u16 v34, v[1:2], off
	s_waitcnt vmcnt(1)
	v_dual_mov_b32 v2, s12 :: v_dual_and_b32 v1, 0xffff, v33
.LBB70_11:                              ;   in Loop: Header=BB70_9 Depth=1
	s_or_b32 exec_lo, exec_lo, s1
	v_add_co_u32 v35, s0, v21, s10
	s_delay_alu instid0(VALU_DEP_1) | instskip(SKIP_1) | instid1(VALU_DEP_2)
	v_add_co_ci_u32_e64 v36, s0, s11, v24, s0
	v_mov_b32_e32 v33, 0
	v_cmp_gt_u64_e64 s0, s[4:5], v[35:36]
	v_mov_b32_e32 v35, 0
	s_delay_alu instid0(VALU_DEP_2)
	s_and_saveexec_b32 s2, s0
	s_cbranch_execz .LBB70_13
; %bb.12:                               ;   in Loop: Header=BB70_9 Depth=1
	v_add_co_u32 v35, s1, v27, s6
	s_delay_alu instid0(VALU_DEP_1) | instskip(SKIP_2) | instid1(VALU_DEP_1)
	v_add_co_ci_u32_e64 v36, s1, s7, v28, s1
	global_load_u16 v37, v[35:36], off
	v_add_co_u32 v35, s1, v29, s6
	v_add_co_ci_u32_e64 v36, s1, s7, v30, s1
	global_load_u16 v35, v[35:36], off
	s_waitcnt vmcnt(1)
	v_lshl_or_b32 v1, v37, 16, v1
.LBB70_13:                              ;   in Loop: Header=BB70_9 Depth=1
	s_or_b32 exec_lo, exec_lo, s2
	v_add_co_u32 v36, s1, v25, s10
	s_delay_alu instid0(VALU_DEP_1) | instskip(NEXT) | instid1(VALU_DEP_1)
	v_add_co_ci_u32_e64 v37, s1, s11, v26, s1
	v_cmp_gt_u64_e64 s1, s[4:5], v[36:37]
	s_delay_alu instid0(VALU_DEP_1)
	s_and_saveexec_b32 s3, s1
	s_cbranch_execz .LBB70_15
; %bb.14:                               ;   in Loop: Header=BB70_9 Depth=1
	v_add_co_u32 v36, s2, v17, s6
	s_delay_alu instid0(VALU_DEP_1) | instskip(SKIP_2) | instid1(VALU_DEP_1)
	v_add_co_ci_u32_e64 v37, s2, s7, v18, s2
	global_load_u16 v38, v[36:37], off
	v_add_co_u32 v36, s2, v19, s6
	v_add_co_ci_u32_e64 v37, s2, s7, v20, s2
	global_load_u16 v33, v[36:37], off
	s_waitcnt vmcnt(1)
	v_or_b32_e32 v2, v38, v2
.LBB70_15:                              ;   in Loop: Header=BB70_9 Depth=1
	s_or_b32 exec_lo, exec_lo, s3
	v_add_co_u32 v36, s2, v15, s10
	s_delay_alu instid0(VALU_DEP_1) | instskip(NEXT) | instid1(VALU_DEP_1)
	v_add_co_ci_u32_e64 v37, s2, s11, v16, s2
	v_cmp_gt_u64_e64 s2, s[4:5], v[36:37]
	v_mov_b32_e32 v36, 0
	s_delay_alu instid0(VALU_DEP_2)
	s_and_saveexec_b32 s14, s2
	s_cbranch_execnz .LBB70_20
; %bb.16:                               ;   in Loop: Header=BB70_9 Depth=1
	s_or_b32 exec_lo, exec_lo, s14
	s_and_saveexec_b32 s3, vcc_lo
	s_cbranch_execnz .LBB70_21
.LBB70_17:                              ;   in Loop: Header=BB70_9 Depth=1
	s_or_b32 exec_lo, exec_lo, s3
	s_and_saveexec_b32 s3, s0
	s_cbranch_execnz .LBB70_22
.LBB70_18:                              ;   in Loop: Header=BB70_9 Depth=1
	s_or_b32 exec_lo, exec_lo, s3
	s_and_saveexec_b32 s0, s1
	s_cbranch_execnz .LBB70_23
.LBB70_19:                              ;   in Loop: Header=BB70_9 Depth=1
	s_or_b32 exec_lo, exec_lo, s0
	s_and_saveexec_b32 s0, s2
	s_cbranch_execz .LBB70_8
	s_branch .LBB70_24
.LBB70_20:                              ;   in Loop: Header=BB70_9 Depth=1
	v_add_co_u32 v36, s3, v9, s6
	s_delay_alu instid0(VALU_DEP_1) | instskip(SKIP_3) | instid1(VALU_DEP_1)
	v_add_co_ci_u32_e64 v37, s3, s7, v10, s3
	v_mov_b32_e32 v38, 0
	global_load_d16_hi_b16 v38, v[36:37], off
	v_add_co_u32 v36, s3, v11, s6
	v_add_co_ci_u32_e64 v37, s3, s7, v12, s3
	global_load_u16 v36, v[36:37], off
	s_waitcnt vmcnt(1)
	v_or_b32_e32 v2, v38, v2
	s_or_b32 exec_lo, exec_lo, s14
	s_and_saveexec_b32 s3, vcc_lo
	s_cbranch_execz .LBB70_17
.LBB70_21:                              ;   in Loop: Header=BB70_9 Depth=1
	s_waitcnt vmcnt(0)
	v_lshlrev_b32_e32 v34, 16, v34
	s_delay_alu instid0(VALU_DEP_1) | instskip(NEXT) | instid1(VALU_DEP_1)
	v_dual_mul_f32 v34, s16, v34 :: v_dual_lshlrev_b32 v37, 16, v1
	v_mul_f32_e32 v34, v34, v37
	s_delay_alu instid0(VALU_DEP_1) | instskip(NEXT) | instid1(VALU_DEP_1)
	v_bfe_u32 v37, v34, 16, 1
	v_add3_u32 v37, v34, v37, 0x7fff
	s_delay_alu instid0(VALU_DEP_1) | instskip(SKIP_3) | instid1(VALU_DEP_4)
	v_lshrrev_b32_e32 v39, 16, v37
	v_add_co_u32 v37, vcc_lo, v7, s6
	v_add_co_ci_u32_e32 v38, vcc_lo, s7, v8, vcc_lo
	v_cmp_o_f32_e32 vcc_lo, v34, v34
	v_cndmask_b32_e32 v34, 0x7fc0, v39, vcc_lo
	global_store_b16 v[37:38], v34, off
	s_or_b32 exec_lo, exec_lo, s3
	s_and_saveexec_b32 s3, s0
	s_cbranch_execz .LBB70_18
.LBB70_22:                              ;   in Loop: Header=BB70_9 Depth=1
	s_waitcnt vmcnt(0)
	v_lshlrev_b32_e32 v34, 16, v35
	s_delay_alu instid0(VALU_DEP_1) | instskip(NEXT) | instid1(VALU_DEP_1)
	v_dual_mul_f32 v34, s16, v34 :: v_dual_and_b32 v35, 0xffff0000, v1
	v_mul_f32_e32 v34, v34, v35
	s_delay_alu instid0(VALU_DEP_1) | instskip(SKIP_1) | instid1(VALU_DEP_2)
	v_bfe_u32 v35, v34, 16, 1
	v_cmp_o_f32_e32 vcc_lo, v34, v34
	v_add3_u32 v35, v34, v35, 0x7fff
	s_delay_alu instid0(VALU_DEP_1) | instskip(NEXT) | instid1(VALU_DEP_1)
	v_lshrrev_b32_e32 v35, 16, v35
	v_cndmask_b32_e32 v37, 0x7fc0, v35, vcc_lo
	v_add_co_u32 v34, vcc_lo, v31, s6
	v_add_co_ci_u32_e32 v35, vcc_lo, s7, v32, vcc_lo
	global_store_b16 v[34:35], v37, off
	s_or_b32 exec_lo, exec_lo, s3
	s_and_saveexec_b32 s0, s1
	s_cbranch_execz .LBB70_19
.LBB70_23:                              ;   in Loop: Header=BB70_9 Depth=1
	v_alignbit_b32 v1, v2, v1, 16
	s_waitcnt vmcnt(0)
	v_lshlrev_b32_e32 v33, 16, v33
	s_delay_alu instid0(VALU_DEP_2) | instskip(NEXT) | instid1(VALU_DEP_2)
	v_and_b32_e32 v1, 0xffff0000, v1
	v_mul_f32_e32 v33, s16, v33
	s_delay_alu instid0(VALU_DEP_1) | instskip(NEXT) | instid1(VALU_DEP_1)
	v_mul_f32_e32 v1, v33, v1
	v_bfe_u32 v33, v1, 16, 1
	v_cmp_o_f32_e32 vcc_lo, v1, v1
	s_delay_alu instid0(VALU_DEP_2) | instskip(NEXT) | instid1(VALU_DEP_1)
	v_add3_u32 v33, v1, v33, 0x7fff
	v_lshrrev_b32_e32 v33, 16, v33
	s_delay_alu instid0(VALU_DEP_1)
	v_cndmask_b32_e32 v1, 0x7fc0, v33, vcc_lo
	v_add_co_u32 v33, vcc_lo, v22, s6
	v_add_co_ci_u32_e32 v34, vcc_lo, s7, v23, vcc_lo
	global_store_b16 v[33:34], v1, off
	s_or_b32 exec_lo, exec_lo, s0
	s_and_saveexec_b32 s0, s2
	s_cbranch_execz .LBB70_8
.LBB70_24:                              ;   in Loop: Header=BB70_9 Depth=1
	s_waitcnt vmcnt(0)
	v_lshlrev_b32_e32 v1, 16, v36
	s_delay_alu instid0(VALU_DEP_1) | instskip(NEXT) | instid1(VALU_DEP_1)
	v_dual_mul_f32 v1, s16, v1 :: v_dual_and_b32 v2, 0xffff0000, v2
	v_mul_f32_e32 v1, v1, v2
	s_delay_alu instid0(VALU_DEP_1) | instskip(SKIP_1) | instid1(VALU_DEP_2)
	v_bfe_u32 v2, v1, 16, 1
	v_cmp_o_f32_e32 vcc_lo, v1, v1
	v_add3_u32 v2, v1, v2, 0x7fff
	s_delay_alu instid0(VALU_DEP_1) | instskip(NEXT) | instid1(VALU_DEP_1)
	v_lshrrev_b32_e32 v2, 16, v2
	v_cndmask_b32_e32 v33, 0x7fc0, v2, vcc_lo
	v_add_co_u32 v1, vcc_lo, v13, s6
	v_add_co_ci_u32_e32 v2, vcc_lo, s7, v14, vcc_lo
	global_store_b16 v[1:2], v33, off
	s_branch .LBB70_8
.LBB70_25:
	s_nop 0
	s_sendmsg sendmsg(MSG_DEALLOC_VGPRS)
	s_endpgm
	.section	.rodata,"a",@progbits
	.p2align	6, 0x0
	.amdhsa_kernel _ZN2at6native12_GLOBAL__N_125multi_tensor_apply_kernelINS1_18TensorListMetadataILi3EEENS1_24BinaryOpListAlphaFunctorIN3c108BFloat16ELi3ELi2ELi2EEEJSt10multipliesIfEfEEEvT_T0_DpT1_
		.amdhsa_group_segment_fixed_size 0
		.amdhsa_private_segment_fixed_size 0
		.amdhsa_kernarg_size 3408
		.amdhsa_user_sgpr_count 15
		.amdhsa_user_sgpr_dispatch_ptr 0
		.amdhsa_user_sgpr_queue_ptr 0
		.amdhsa_user_sgpr_kernarg_segment_ptr 1
		.amdhsa_user_sgpr_dispatch_id 0
		.amdhsa_user_sgpr_private_segment_size 0
		.amdhsa_wavefront_size32 1
		.amdhsa_uses_dynamic_stack 0
		.amdhsa_enable_private_segment 0
		.amdhsa_system_sgpr_workgroup_id_x 1
		.amdhsa_system_sgpr_workgroup_id_y 0
		.amdhsa_system_sgpr_workgroup_id_z 0
		.amdhsa_system_sgpr_workgroup_info 0
		.amdhsa_system_vgpr_workitem_id 0
		.amdhsa_next_free_vgpr 40
		.amdhsa_next_free_sgpr 22
		.amdhsa_reserve_vcc 1
		.amdhsa_float_round_mode_32 0
		.amdhsa_float_round_mode_16_64 0
		.amdhsa_float_denorm_mode_32 3
		.amdhsa_float_denorm_mode_16_64 3
		.amdhsa_dx10_clamp 1
		.amdhsa_ieee_mode 1
		.amdhsa_fp16_overflow 0
		.amdhsa_workgroup_processor_mode 1
		.amdhsa_memory_ordered 1
		.amdhsa_forward_progress 0
		.amdhsa_shared_vgpr_count 0
		.amdhsa_exception_fp_ieee_invalid_op 0
		.amdhsa_exception_fp_denorm_src 0
		.amdhsa_exception_fp_ieee_div_zero 0
		.amdhsa_exception_fp_ieee_overflow 0
		.amdhsa_exception_fp_ieee_underflow 0
		.amdhsa_exception_fp_ieee_inexact 0
		.amdhsa_exception_int_div_zero 0
	.end_amdhsa_kernel
	.section	.text._ZN2at6native12_GLOBAL__N_125multi_tensor_apply_kernelINS1_18TensorListMetadataILi3EEENS1_24BinaryOpListAlphaFunctorIN3c108BFloat16ELi3ELi2ELi2EEEJSt10multipliesIfEfEEEvT_T0_DpT1_,"axG",@progbits,_ZN2at6native12_GLOBAL__N_125multi_tensor_apply_kernelINS1_18TensorListMetadataILi3EEENS1_24BinaryOpListAlphaFunctorIN3c108BFloat16ELi3ELi2ELi2EEEJSt10multipliesIfEfEEEvT_T0_DpT1_,comdat
.Lfunc_end70:
	.size	_ZN2at6native12_GLOBAL__N_125multi_tensor_apply_kernelINS1_18TensorListMetadataILi3EEENS1_24BinaryOpListAlphaFunctorIN3c108BFloat16ELi3ELi2ELi2EEEJSt10multipliesIfEfEEEvT_T0_DpT1_, .Lfunc_end70-_ZN2at6native12_GLOBAL__N_125multi_tensor_apply_kernelINS1_18TensorListMetadataILi3EEENS1_24BinaryOpListAlphaFunctorIN3c108BFloat16ELi3ELi2ELi2EEEJSt10multipliesIfEfEEEvT_T0_DpT1_
                                        ; -- End function
	.section	.AMDGPU.csdata,"",@progbits
; Kernel info:
; codeLenInByte = 2328
; NumSgprs: 24
; NumVgprs: 40
; ScratchSize: 0
; MemoryBound: 0
; FloatMode: 240
; IeeeMode: 1
; LDSByteSize: 0 bytes/workgroup (compile time only)
; SGPRBlocks: 2
; VGPRBlocks: 4
; NumSGPRsForWavesPerEU: 24
; NumVGPRsForWavesPerEU: 40
; Occupancy: 16
; WaveLimiterHint : 0
; COMPUTE_PGM_RSRC2:SCRATCH_EN: 0
; COMPUTE_PGM_RSRC2:USER_SGPR: 15
; COMPUTE_PGM_RSRC2:TRAP_HANDLER: 0
; COMPUTE_PGM_RSRC2:TGID_X_EN: 1
; COMPUTE_PGM_RSRC2:TGID_Y_EN: 0
; COMPUTE_PGM_RSRC2:TGID_Z_EN: 0
; COMPUTE_PGM_RSRC2:TIDIG_COMP_CNT: 0
	.section	.text._ZN2at6native12_GLOBAL__N_125multi_tensor_apply_kernelINS1_18TensorListMetadataILi3EEENS1_24BinaryOpListAlphaFunctorIN3c104HalfELi3ELi2ELi2EEEJSt10multipliesIfEfEEEvT_T0_DpT1_,"axG",@progbits,_ZN2at6native12_GLOBAL__N_125multi_tensor_apply_kernelINS1_18TensorListMetadataILi3EEENS1_24BinaryOpListAlphaFunctorIN3c104HalfELi3ELi2ELi2EEEJSt10multipliesIfEfEEEvT_T0_DpT1_,comdat
	.globl	_ZN2at6native12_GLOBAL__N_125multi_tensor_apply_kernelINS1_18TensorListMetadataILi3EEENS1_24BinaryOpListAlphaFunctorIN3c104HalfELi3ELi2ELi2EEEJSt10multipliesIfEfEEEvT_T0_DpT1_ ; -- Begin function _ZN2at6native12_GLOBAL__N_125multi_tensor_apply_kernelINS1_18TensorListMetadataILi3EEENS1_24BinaryOpListAlphaFunctorIN3c104HalfELi3ELi2ELi2EEEJSt10multipliesIfEfEEEvT_T0_DpT1_
	.p2align	8
	.type	_ZN2at6native12_GLOBAL__N_125multi_tensor_apply_kernelINS1_18TensorListMetadataILi3EEENS1_24BinaryOpListAlphaFunctorIN3c104HalfELi3ELi2ELi2EEEJSt10multipliesIfEfEEEvT_T0_DpT1_,@function
_ZN2at6native12_GLOBAL__N_125multi_tensor_apply_kernelINS1_18TensorListMetadataILi3EEENS1_24BinaryOpListAlphaFunctorIN3c104HalfELi3ELi2ELi2EEEJSt10multipliesIfEfEEEvT_T0_DpT1_: ; @_ZN2at6native12_GLOBAL__N_125multi_tensor_apply_kernelINS1_18TensorListMetadataILi3EEENS1_24BinaryOpListAlphaFunctorIN3c104HalfELi3ELi2ELi2EEEJSt10multipliesIfEfEEEvT_T0_DpT1_
; %bb.0:
	v_mov_b32_e32 v1, s15
	s_add_u32 s2, s0, s15
	s_mul_hi_u32 s3, s15, 3
	s_mul_i32 s15, s15, 3
	s_addc_u32 s4, s1, 0
	global_load_u8 v1, v1, s[0:1] offset:1536
	s_load_b32 s16, s[0:1], 0xc4c
	s_add_u32 s2, s2, s15
	s_addc_u32 s3, s4, s3
	s_mov_b32 s19, 0
	s_load_b32 s2, s[2:3], 0x740
	s_mov_b32 s21, s19
	s_waitcnt vmcnt(0)
	v_readfirstlane_b32 s3, v1
	s_delay_alu instid0(VALU_DEP_1)
	s_lshl_b32 s3, s3, 3
	s_clause 0x3
	s_load_b64 s[12:13], s[0:1], s3 offset:0x180
	s_load_b64 s[10:11], s[0:1], s3 offset:0x300
	;; [unrolled: 1-line block ×4, first 2 shown]
	s_waitcnt lgkmcnt(0)
	s_ashr_i32 s3, s2, 31
	s_delay_alu instid0(SALU_CYCLE_1) | instskip(NEXT) | instid1(SALU_CYCLE_1)
	s_lshl_b64 s[4:5], s[2:3], 17
	s_add_u32 s6, s12, s4
	s_delay_alu instid0(SALU_CYCLE_1) | instskip(SKIP_2) | instid1(SALU_CYCLE_1)
	s_or_b32 s6, s10, s6
	s_and_b32 s18, s14, 7
	s_and_b32 s6, s6, 7
	s_cmp_lg_u32 s6, 0
	s_cselect_b32 s17, -1, 0
	s_lshl_b64 s[2:3], s[2:3], 16
	s_delay_alu instid0(SALU_CYCLE_1) | instskip(SKIP_2) | instid1(SALU_CYCLE_1)
	s_sub_u32 s6, s8, s2
	s_subb_u32 s7, s9, s3
	s_and_b32 s20, s8, 3
	s_or_b64 s[2:3], s[18:19], s[20:21]
	s_delay_alu instid0(SALU_CYCLE_1) | instskip(SKIP_1) | instid1(SALU_CYCLE_1)
	s_cmp_lg_u64 s[2:3], 0
	s_cselect_b32 s2, -1, 0
	s_or_b32 s2, s17, s2
	s_delay_alu instid0(SALU_CYCLE_1)
	s_and_not1_b32 vcc_lo, exec_lo, s2
	s_mov_b32 s2, -1
	s_cbranch_vccz .LBB71_5
; %bb.1:
	v_dual_mov_b32 v2, 0 :: v_dual_lshlrev_b32 v1, 2, v0
	s_mov_b32 s8, exec_lo
	s_delay_alu instid0(VALU_DEP_1)
	v_cmpx_gt_i64_e64 s[6:7], v[1:2]
	s_cbranch_execz .LBB71_4
; %bb.2:
	s_load_b32 s2, s[0:1], 0xc5c
	v_lshlrev_b32_e32 v1, 3, v0
	s_mov_b32 s9, s16
	s_mov_b32 s17, 0
	s_delay_alu instid0(VALU_DEP_1) | instskip(NEXT) | instid1(VALU_DEP_1)
	v_add_co_u32 v3, s3, s4, v1
	v_add_co_ci_u32_e64 v4, null, s5, 0, s3
	s_waitcnt lgkmcnt(0)
	s_and_b32 s2, s2, 0xffff
	s_delay_alu instid0(SALU_CYCLE_1)
	s_lshl_b32 s18, s2, 2
	v_add_lshl_u32 v1, v0, s2, 2
	s_add_u32 s19, s14, 4
	s_addc_u32 s20, s15, 0
	s_lshl_b32 s21, s2, 3
	s_add_u32 s22, s12, 4
	s_addc_u32 s23, s13, 0
.LBB71_3:                               ; =>This Inner Loop Header: Depth=1
	v_add_co_u32 v5, vcc_lo, s22, v3
	v_add_co_ci_u32_e32 v6, vcc_lo, s23, v4, vcc_lo
	v_add_co_u32 v7, vcc_lo, s19, v3
	v_add_co_ci_u32_e32 v8, vcc_lo, s20, v4, vcc_lo
	global_load_b64 v[5:6], v[5:6], off offset:-4
	v_add_co_u32 v9, vcc_lo, s10, v3
	global_load_b64 v[7:8], v[7:8], off offset:-4
	v_add_co_ci_u32_e32 v10, vcc_lo, s11, v4, vcc_lo
	v_cmp_le_i64_e32 vcc_lo, s[6:7], v[1:2]
	v_cmp_lt_u64_e64 s2, 0xffff, v[1:2]
	v_add_co_u32 v1, s3, v1, s18
	s_delay_alu instid0(VALU_DEP_1) | instskip(SKIP_1) | instid1(VALU_DEP_4)
	v_add_co_ci_u32_e64 v2, s3, 0, v2, s3
	v_add_co_u32 v3, s3, v3, s21
	s_or_b32 s2, vcc_lo, s2
	v_add_co_ci_u32_e64 v4, s3, 0, v4, s3
	s_and_b32 s2, exec_lo, s2
	s_delay_alu instid0(SALU_CYCLE_1)
	s_or_b32 s17, s2, s17
	s_waitcnt vmcnt(1)
	v_lshrrev_b32_e32 v11, 16, v5
	v_cvt_f32_f16_e32 v5, v5
	v_lshrrev_b32_e32 v12, 16, v6
	v_cvt_f32_f16_e32 v6, v6
	s_delay_alu instid0(VALU_DEP_4) | instskip(NEXT) | instid1(VALU_DEP_4)
	v_cvt_f32_f16_e32 v11, v11
	v_mul_f32_e32 v5, s16, v5
	s_delay_alu instid0(VALU_DEP_4) | instskip(NEXT) | instid1(VALU_DEP_3)
	v_cvt_f32_f16_e32 v12, v12
	v_dual_mul_f32 v6, s16, v6 :: v_dual_mul_f32 v11, s9, v11
	s_waitcnt vmcnt(0)
	s_delay_alu instid0(VALU_DEP_3) | instskip(NEXT) | instid1(VALU_DEP_3)
	v_fma_mixlo_f16 v5, v5, v7, 0 op_sel_hi:[0,1,0]
	v_mul_f32_e32 v12, s9, v12
	s_delay_alu instid0(VALU_DEP_3) | instskip(NEXT) | instid1(VALU_DEP_3)
	v_fma_mixlo_f16 v6, v6, v8, 0 op_sel_hi:[0,1,0]
	v_fma_mixhi_f16 v5, v11, v7, 0 op_sel:[0,1,0] op_sel_hi:[0,1,0]
	s_delay_alu instid0(VALU_DEP_2)
	v_fma_mixhi_f16 v6, v12, v8, 0 op_sel:[0,1,0] op_sel_hi:[0,1,0]
	global_store_b64 v[9:10], v[5:6], off
	s_and_not1_b32 exec_lo, exec_lo, s17
	s_cbranch_execnz .LBB71_3
.LBB71_4:
	s_or_b32 exec_lo, exec_lo, s8
	s_mov_b32 s2, 0
.LBB71_5:
	s_delay_alu instid0(SALU_CYCLE_1)
	s_and_not1_b32 vcc_lo, exec_lo, s2
	s_cbranch_vccnz .LBB71_25
; %bb.6:
	v_cmp_lt_i64_e64 s2, s[6:7], 1
	s_delay_alu instid0(VALU_DEP_1)
	s_and_b32 vcc_lo, exec_lo, s2
	s_cbranch_vccnz .LBB71_25
; %bb.7:
	s_load_b32 s0, s[0:1], 0xc5c
	v_dual_mov_b32 v14, 0 :: v_dual_lshlrev_b32 v13, 1, v0
	v_cmp_gt_u64_e64 s1, 0x10000, s[6:7]
	s_delay_alu instid0(VALU_DEP_2) | instskip(NEXT) | instid1(VALU_DEP_1)
	v_add_co_u32 v1, s2, s14, v13
	v_add_co_ci_u32_e64 v2, null, s15, 0, s2
	v_add_co_u32 v3, s2, s12, v13
	s_delay_alu instid0(VALU_DEP_1) | instskip(SKIP_1) | instid1(VALU_DEP_1)
	v_add_co_ci_u32_e64 v4, null, s13, 0, s2
	v_add_co_u32 v5, s2, s10, v13
	v_add_co_ci_u32_e64 v6, null, s11, 0, s2
	s_waitcnt lgkmcnt(0)
	s_and_b32 s0, s0, 0xffff
	s_and_b32 s1, s1, exec_lo
	v_mad_u64_u32 v[11:12], null, s0, 6, v[13:14]
	s_cselect_b32 s9, s7, 0
	s_cselect_b32 s8, s6, 0x10000
	s_mul_i32 s2, s0, 3
	s_lshl_b32 s17, s0, 2
	s_lshl_b32 s1, s0, 1
	v_add_co_u32 v20, s3, s17, v13
	v_add_co_u32 v13, s2, s2, v0
	v_add_co_u32 v7, vcc_lo, s14, v11
	v_add_co_ci_u32_e64 v14, null, 0, 0, s2
	v_add_co_u32 v19, s2, v0, s0
	v_add_co_ci_u32_e32 v8, vcc_lo, s15, v12, vcc_lo
	v_add_co_u32 v9, vcc_lo, s12, v11
	v_add_co_ci_u32_e32 v10, vcc_lo, s13, v12, vcc_lo
	v_add_co_u32 v11, vcc_lo, s10, v11
	v_add_co_ci_u32_e64 v21, null, 0, 0, s3
	v_lshlrev_b32_e32 v29, 1, v19
	v_add_co_ci_u32_e32 v12, vcc_lo, s11, v12, vcc_lo
	v_add_co_u32 v15, vcc_lo, s14, v20
	v_add_co_u32 v23, s1, s1, v0
	v_add_co_ci_u32_e32 v16, vcc_lo, s15, v21, vcc_lo
	v_add_co_ci_u32_e64 v24, null, 0, 0, s1
	v_add_co_u32 v25, s1, s14, v29
	v_add_co_u32 v17, vcc_lo, s12, v20
	v_add_co_ci_u32_e64 v26, null, s15, 0, s1
	v_add_co_u32 v27, s1, s12, v29
	v_add_co_ci_u32_e32 v18, vcc_lo, s13, v21, vcc_lo
	v_add_co_u32 v20, vcc_lo, s10, v20
	v_add_co_ci_u32_e64 v28, null, s13, 0, s1
	v_add_co_u32 v29, s1, s10, v29
	v_add_co_ci_u32_e32 v21, vcc_lo, s11, v21, vcc_lo
	v_add_co_ci_u32_e64 v22, null, 0, 0, s2
	v_add_co_ci_u32_e64 v30, null, s11, 0, s1
	s_lshl_b32 s12, s0, 3
	s_mov_b64 s[10:11], 0
	s_branch .LBB71_9
.LBB71_8:                               ;   in Loop: Header=BB71_9 Depth=1
	s_or_b32 exec_lo, exec_lo, s0
	v_add_co_u32 v1, vcc_lo, v1, s12
	v_add_co_ci_u32_e32 v2, vcc_lo, 0, v2, vcc_lo
	v_add_co_u32 v3, vcc_lo, v3, s12
	v_add_co_ci_u32_e32 v4, vcc_lo, 0, v4, vcc_lo
	;; [unrolled: 2-line block ×9, first 2 shown]
	s_add_u32 s10, s10, s17
	v_add_co_u32 v25, vcc_lo, v25, s12
	s_addc_u32 s11, s11, 0
	v_add_co_ci_u32_e32 v26, vcc_lo, 0, v26, vcc_lo
	v_cmp_ge_i64_e64 s0, s[10:11], s[6:7]
	v_cmp_lt_u64_e64 s1, 0xffff, s[10:11]
	v_add_co_u32 v27, vcc_lo, v27, s12
	v_add_co_ci_u32_e32 v28, vcc_lo, 0, v28, vcc_lo
	v_add_co_u32 v29, vcc_lo, v29, s12
	v_add_co_ci_u32_e32 v30, vcc_lo, 0, v30, vcc_lo
	s_or_b32 s0, s0, s1
	s_delay_alu instid0(SALU_CYCLE_1)
	s_and_b32 vcc_lo, exec_lo, s0
	s_cbranch_vccnz .LBB71_25
.LBB71_9:                               ; =>This Inner Loop Header: Depth=1
	s_waitcnt vmcnt(1)
	v_add_co_u32 v31, s0, v0, s10
	s_delay_alu instid0(VALU_DEP_1) | instskip(SKIP_2) | instid1(VALU_DEP_2)
	v_add_co_ci_u32_e64 v32, null, 0, s11, s0
	s_waitcnt vmcnt(0)
	v_mov_b32_e32 v33, 0
	v_cmp_gt_u64_e32 vcc_lo, s[8:9], v[31:32]
	v_mov_b32_e32 v31, 0
	s_and_saveexec_b32 s1, vcc_lo
	s_cbranch_execz .LBB71_11
; %bb.10:                               ;   in Loop: Header=BB71_9 Depth=1
	v_add_co_u32 v31, s0, v1, s4
	s_delay_alu instid0(VALU_DEP_1) | instskip(SKIP_1) | instid1(VALU_DEP_1)
	v_add_co_ci_u32_e64 v32, s0, s5, v2, s0
	v_add_co_u32 v33, s0, v3, s4
	v_add_co_ci_u32_e64 v34, s0, s5, v4, s0
	global_load_u16 v31, v[31:32], off
	global_load_u16 v33, v[33:34], off
.LBB71_11:                              ;   in Loop: Header=BB71_9 Depth=1
	s_or_b32 exec_lo, exec_lo, s1
	v_add_co_u32 v34, s0, v19, s10
	s_delay_alu instid0(VALU_DEP_1) | instskip(SKIP_1) | instid1(VALU_DEP_2)
	v_add_co_ci_u32_e64 v35, s0, s11, v22, s0
	v_mov_b32_e32 v32, 0
	v_cmp_gt_u64_e64 s0, s[8:9], v[34:35]
	v_dual_mov_b32 v35, 0 :: v_dual_mov_b32 v34, 0
	s_delay_alu instid0(VALU_DEP_2)
	s_and_saveexec_b32 s2, s0
	s_cbranch_execz .LBB71_13
; %bb.12:                               ;   in Loop: Header=BB71_9 Depth=1
	v_add_co_u32 v34, s1, v25, s4
	s_delay_alu instid0(VALU_DEP_1) | instskip(SKIP_1) | instid1(VALU_DEP_1)
	v_add_co_ci_u32_e64 v35, s1, s5, v26, s1
	v_add_co_u32 v36, s1, v27, s4
	v_add_co_ci_u32_e64 v37, s1, s5, v28, s1
	global_load_u16 v34, v[34:35], off
	global_load_u16 v35, v[36:37], off
.LBB71_13:                              ;   in Loop: Header=BB71_9 Depth=1
	s_or_b32 exec_lo, exec_lo, s2
	v_add_co_u32 v36, s1, v23, s10
	s_delay_alu instid0(VALU_DEP_1) | instskip(NEXT) | instid1(VALU_DEP_1)
	v_add_co_ci_u32_e64 v37, s1, s11, v24, s1
	v_cmp_gt_u64_e64 s1, s[8:9], v[36:37]
	v_mov_b32_e32 v36, 0
	s_delay_alu instid0(VALU_DEP_2)
	s_and_saveexec_b32 s3, s1
	s_cbranch_execz .LBB71_15
; %bb.14:                               ;   in Loop: Header=BB71_9 Depth=1
	v_add_co_u32 v36, s2, v15, s4
	s_delay_alu instid0(VALU_DEP_1) | instskip(SKIP_1) | instid1(VALU_DEP_1)
	v_add_co_ci_u32_e64 v37, s2, s5, v16, s2
	v_add_co_u32 v38, s2, v17, s4
	v_add_co_ci_u32_e64 v39, s2, s5, v18, s2
	global_load_u16 v32, v[36:37], off
	global_load_u16 v36, v[38:39], off
.LBB71_15:                              ;   in Loop: Header=BB71_9 Depth=1
	s_or_b32 exec_lo, exec_lo, s3
	v_add_co_u32 v37, s2, v13, s10
	s_delay_alu instid0(VALU_DEP_1) | instskip(NEXT) | instid1(VALU_DEP_1)
	v_add_co_ci_u32_e64 v38, s2, s11, v14, s2
	v_cmp_gt_u64_e64 s2, s[8:9], v[37:38]
	v_dual_mov_b32 v37, 0 :: v_dual_mov_b32 v38, 0
	s_delay_alu instid0(VALU_DEP_2)
	s_and_saveexec_b32 s13, s2
	s_cbranch_execnz .LBB71_20
; %bb.16:                               ;   in Loop: Header=BB71_9 Depth=1
	s_or_b32 exec_lo, exec_lo, s13
	s_and_saveexec_b32 s3, vcc_lo
	s_cbranch_execnz .LBB71_21
.LBB71_17:                              ;   in Loop: Header=BB71_9 Depth=1
	s_or_b32 exec_lo, exec_lo, s3
	s_and_saveexec_b32 s3, s0
	s_cbranch_execnz .LBB71_22
.LBB71_18:                              ;   in Loop: Header=BB71_9 Depth=1
	s_or_b32 exec_lo, exec_lo, s3
	s_and_saveexec_b32 s0, s1
	s_cbranch_execnz .LBB71_23
.LBB71_19:                              ;   in Loop: Header=BB71_9 Depth=1
	s_or_b32 exec_lo, exec_lo, s0
	s_and_saveexec_b32 s0, s2
	s_cbranch_execz .LBB71_8
	s_branch .LBB71_24
.LBB71_20:                              ;   in Loop: Header=BB71_9 Depth=1
	v_add_co_u32 v37, s3, v7, s4
	s_delay_alu instid0(VALU_DEP_1) | instskip(SKIP_1) | instid1(VALU_DEP_1)
	v_add_co_ci_u32_e64 v38, s3, s5, v8, s3
	v_add_co_u32 v39, s3, v9, s4
	v_add_co_ci_u32_e64 v40, s3, s5, v10, s3
	global_load_u16 v37, v[37:38], off
	global_load_u16 v38, v[39:40], off
	s_or_b32 exec_lo, exec_lo, s13
	s_and_saveexec_b32 s3, vcc_lo
	s_cbranch_execz .LBB71_17
.LBB71_21:                              ;   in Loop: Header=BB71_9 Depth=1
	s_waitcnt vmcnt(0)
	v_cvt_f32_f16_e32 v33, v33
	v_add_co_u32 v39, vcc_lo, v5, s4
	v_add_co_ci_u32_e32 v40, vcc_lo, s5, v6, vcc_lo
	s_delay_alu instid0(VALU_DEP_3) | instskip(NEXT) | instid1(VALU_DEP_1)
	v_mul_f32_e32 v33, s16, v33
	v_fma_mixlo_f16 v31, v33, v31, 0 op_sel_hi:[0,1,0]
	global_store_b16 v[39:40], v31, off
	s_or_b32 exec_lo, exec_lo, s3
	s_and_saveexec_b32 s3, s0
	s_cbranch_execz .LBB71_18
.LBB71_22:                              ;   in Loop: Header=BB71_9 Depth=1
	s_waitcnt vmcnt(0)
	v_cvt_f32_f16_e32 v31, v35
	v_add_co_u32 v33, vcc_lo, v29, s4
	s_delay_alu instid0(VALU_DEP_2) | instskip(NEXT) | instid1(VALU_DEP_1)
	v_mul_f32_e32 v31, s16, v31
	v_fma_mixlo_f16 v31, v31, v34, 0 op_sel_hi:[0,1,0]
	v_add_co_ci_u32_e32 v34, vcc_lo, s5, v30, vcc_lo
	global_store_b16 v[33:34], v31, off
	s_or_b32 exec_lo, exec_lo, s3
	s_and_saveexec_b32 s0, s1
	s_cbranch_execz .LBB71_19
.LBB71_23:                              ;   in Loop: Header=BB71_9 Depth=1
	s_waitcnt vmcnt(0)
	v_cvt_f32_f16_e32 v31, v36
	s_delay_alu instid0(VALU_DEP_1) | instskip(NEXT) | instid1(VALU_DEP_1)
	v_mul_f32_e32 v31, s16, v31
	v_fma_mixlo_f16 v33, v31, v32, 0 op_sel_hi:[0,1,0]
	v_add_co_u32 v31, vcc_lo, v20, s4
	v_add_co_ci_u32_e32 v32, vcc_lo, s5, v21, vcc_lo
	global_store_b16 v[31:32], v33, off
	s_or_b32 exec_lo, exec_lo, s0
	s_and_saveexec_b32 s0, s2
	s_cbranch_execz .LBB71_8
.LBB71_24:                              ;   in Loop: Header=BB71_9 Depth=1
	s_waitcnt vmcnt(0)
	v_cvt_f32_f16_e32 v31, v38
	s_delay_alu instid0(VALU_DEP_1) | instskip(NEXT) | instid1(VALU_DEP_1)
	v_mul_f32_e32 v31, s16, v31
	v_fma_mixlo_f16 v33, v31, v37, 0 op_sel_hi:[0,1,0]
	v_add_co_u32 v31, vcc_lo, v11, s4
	v_add_co_ci_u32_e32 v32, vcc_lo, s5, v12, vcc_lo
	global_store_b16 v[31:32], v33, off
	s_branch .LBB71_8
.LBB71_25:
	s_nop 0
	s_sendmsg sendmsg(MSG_DEALLOC_VGPRS)
	s_endpgm
	.section	.rodata,"a",@progbits
	.p2align	6, 0x0
	.amdhsa_kernel _ZN2at6native12_GLOBAL__N_125multi_tensor_apply_kernelINS1_18TensorListMetadataILi3EEENS1_24BinaryOpListAlphaFunctorIN3c104HalfELi3ELi2ELi2EEEJSt10multipliesIfEfEEEvT_T0_DpT1_
		.amdhsa_group_segment_fixed_size 0
		.amdhsa_private_segment_fixed_size 0
		.amdhsa_kernarg_size 3408
		.amdhsa_user_sgpr_count 15
		.amdhsa_user_sgpr_dispatch_ptr 0
		.amdhsa_user_sgpr_queue_ptr 0
		.amdhsa_user_sgpr_kernarg_segment_ptr 1
		.amdhsa_user_sgpr_dispatch_id 0
		.amdhsa_user_sgpr_private_segment_size 0
		.amdhsa_wavefront_size32 1
		.amdhsa_uses_dynamic_stack 0
		.amdhsa_enable_private_segment 0
		.amdhsa_system_sgpr_workgroup_id_x 1
		.amdhsa_system_sgpr_workgroup_id_y 0
		.amdhsa_system_sgpr_workgroup_id_z 0
		.amdhsa_system_sgpr_workgroup_info 0
		.amdhsa_system_vgpr_workitem_id 0
		.amdhsa_next_free_vgpr 41
		.amdhsa_next_free_sgpr 24
		.amdhsa_reserve_vcc 1
		.amdhsa_float_round_mode_32 0
		.amdhsa_float_round_mode_16_64 0
		.amdhsa_float_denorm_mode_32 3
		.amdhsa_float_denorm_mode_16_64 3
		.amdhsa_dx10_clamp 1
		.amdhsa_ieee_mode 1
		.amdhsa_fp16_overflow 0
		.amdhsa_workgroup_processor_mode 1
		.amdhsa_memory_ordered 1
		.amdhsa_forward_progress 0
		.amdhsa_shared_vgpr_count 0
		.amdhsa_exception_fp_ieee_invalid_op 0
		.amdhsa_exception_fp_denorm_src 0
		.amdhsa_exception_fp_ieee_div_zero 0
		.amdhsa_exception_fp_ieee_overflow 0
		.amdhsa_exception_fp_ieee_underflow 0
		.amdhsa_exception_fp_ieee_inexact 0
		.amdhsa_exception_int_div_zero 0
	.end_amdhsa_kernel
	.section	.text._ZN2at6native12_GLOBAL__N_125multi_tensor_apply_kernelINS1_18TensorListMetadataILi3EEENS1_24BinaryOpListAlphaFunctorIN3c104HalfELi3ELi2ELi2EEEJSt10multipliesIfEfEEEvT_T0_DpT1_,"axG",@progbits,_ZN2at6native12_GLOBAL__N_125multi_tensor_apply_kernelINS1_18TensorListMetadataILi3EEENS1_24BinaryOpListAlphaFunctorIN3c104HalfELi3ELi2ELi2EEEJSt10multipliesIfEfEEEvT_T0_DpT1_,comdat
.Lfunc_end71:
	.size	_ZN2at6native12_GLOBAL__N_125multi_tensor_apply_kernelINS1_18TensorListMetadataILi3EEENS1_24BinaryOpListAlphaFunctorIN3c104HalfELi3ELi2ELi2EEEJSt10multipliesIfEfEEEvT_T0_DpT1_, .Lfunc_end71-_ZN2at6native12_GLOBAL__N_125multi_tensor_apply_kernelINS1_18TensorListMetadataILi3EEENS1_24BinaryOpListAlphaFunctorIN3c104HalfELi3ELi2ELi2EEEJSt10multipliesIfEfEEEvT_T0_DpT1_
                                        ; -- End function
	.section	.AMDGPU.csdata,"",@progbits
; Kernel info:
; codeLenInByte = 1832
; NumSgprs: 26
; NumVgprs: 41
; ScratchSize: 0
; MemoryBound: 0
; FloatMode: 240
; IeeeMode: 1
; LDSByteSize: 0 bytes/workgroup (compile time only)
; SGPRBlocks: 3
; VGPRBlocks: 5
; NumSGPRsForWavesPerEU: 26
; NumVGPRsForWavesPerEU: 41
; Occupancy: 16
; WaveLimiterHint : 0
; COMPUTE_PGM_RSRC2:SCRATCH_EN: 0
; COMPUTE_PGM_RSRC2:USER_SGPR: 15
; COMPUTE_PGM_RSRC2:TRAP_HANDLER: 0
; COMPUTE_PGM_RSRC2:TGID_X_EN: 1
; COMPUTE_PGM_RSRC2:TGID_Y_EN: 0
; COMPUTE_PGM_RSRC2:TGID_Z_EN: 0
; COMPUTE_PGM_RSRC2:TIDIG_COMP_CNT: 0
	.section	.text._ZN2at6native12_GLOBAL__N_125multi_tensor_apply_kernelINS1_18TensorListMetadataILi2EEENS1_24BinaryOpListAlphaFunctorIhLi2ELi2ELi0EEEJSt7dividesIhEhEEEvT_T0_DpT1_,"axG",@progbits,_ZN2at6native12_GLOBAL__N_125multi_tensor_apply_kernelINS1_18TensorListMetadataILi2EEENS1_24BinaryOpListAlphaFunctorIhLi2ELi2ELi0EEEJSt7dividesIhEhEEEvT_T0_DpT1_,comdat
	.globl	_ZN2at6native12_GLOBAL__N_125multi_tensor_apply_kernelINS1_18TensorListMetadataILi2EEENS1_24BinaryOpListAlphaFunctorIhLi2ELi2ELi0EEEJSt7dividesIhEhEEEvT_T0_DpT1_ ; -- Begin function _ZN2at6native12_GLOBAL__N_125multi_tensor_apply_kernelINS1_18TensorListMetadataILi2EEENS1_24BinaryOpListAlphaFunctorIhLi2ELi2ELi0EEEJSt7dividesIhEhEEEvT_T0_DpT1_
	.p2align	8
	.type	_ZN2at6native12_GLOBAL__N_125multi_tensor_apply_kernelINS1_18TensorListMetadataILi2EEENS1_24BinaryOpListAlphaFunctorIhLi2ELi2ELi0EEEJSt7dividesIhEhEEEvT_T0_DpT1_,@function
_ZN2at6native12_GLOBAL__N_125multi_tensor_apply_kernelINS1_18TensorListMetadataILi2EEENS1_24BinaryOpListAlphaFunctorIhLi2ELi2ELi0EEEJSt7dividesIhEhEEEvT_T0_DpT1_: ; @_ZN2at6native12_GLOBAL__N_125multi_tensor_apply_kernelINS1_18TensorListMetadataILi2EEENS1_24BinaryOpListAlphaFunctorIhLi2ELi2ELi0EEEJSt7dividesIhEhEEEvT_T0_DpT1_
; %bb.0:
	v_mov_b32_e32 v1, s15
	s_add_u32 s2, s0, s15
	s_mul_hi_u32 s3, s15, 3
	s_mul_i32 s15, s15, 3
	s_addc_u32 s4, s1, 0
	global_load_u8 v1, v1, s[0:1] offset:1536
	s_add_u32 s2, s2, s15
	s_addc_u32 s3, s4, s3
	s_load_b32 s4, s[2:3], 0x740
	s_waitcnt lgkmcnt(0)
	s_ashr_i32 s5, s4, 31
	s_delay_alu instid0(SALU_CYCLE_1) | instskip(SKIP_2) | instid1(VALU_DEP_1)
	s_lshl_b64 s[12:13], s[4:5], 16
	s_waitcnt vmcnt(0)
	v_readfirstlane_b32 s2, v1
	s_lshl_b32 s2, s2, 3
	s_clause 0x3
	s_load_b64 s[8:9], s[0:1], s2 offset:0x0
	s_load_b64 s[10:11], s[0:1], s2 offset:0x200
	;; [unrolled: 1-line block ×3, first 2 shown]
	s_load_b32 s3, s[0:1], 0xc48
	s_waitcnt lgkmcnt(0)
	s_add_u32 s6, s8, s12
	s_addc_u32 s7, s9, s13
	s_add_u32 s14, s10, s12
	s_addc_u32 s15, s11, s13
	s_or_b64 s[4:5], s[16:17], s[6:7]
	s_delay_alu instid0(SALU_CYCLE_1) | instskip(NEXT) | instid1(SALU_CYCLE_1)
	s_or_b32 s2, s14, s4
	s_and_b32 s2, s2, 3
	s_sub_u32 s4, s16, s12
	s_subb_u32 s5, s17, s13
	s_cmp_eq_u32 s2, 0
	s_mov_b32 s2, -1
	s_cbranch_scc0 .LBB72_5
; %bb.1:
	v_dual_mov_b32 v2, 0 :: v_dual_lshlrev_b32 v1, 2, v0
	s_mov_b32 s16, exec_lo
	s_delay_alu instid0(VALU_DEP_1)
	v_cmpx_gt_i64_e64 s[4:5], v[1:2]
	s_cbranch_execz .LBB72_4
; %bb.2:
	s_load_b32 s2, s[0:1], 0xc5c
	s_mov_b32 s17, 0
	s_lshr_b32 s19, s3, 16
	s_waitcnt lgkmcnt(0)
	s_and_b32 s2, s2, 0xffff
	s_delay_alu instid0(SALU_CYCLE_1)
	s_lshl_b32 s18, s2, 2
.LBB72_3:                               ; =>This Inner Loop Header: Depth=1
	v_add_co_u32 v3, vcc_lo, s14, v1
	v_add_co_ci_u32_e32 v4, vcc_lo, s15, v2, vcc_lo
	v_add_co_u32 v5, vcc_lo, s6, v1
	v_add_co_ci_u32_e32 v6, vcc_lo, s7, v2, vcc_lo
	v_add_co_u32 v1, vcc_lo, s18, v1
	global_load_b32 v3, v[3:4], off
	global_load_b32 v4, v[5:6], off
	v_add_co_ci_u32_e32 v2, vcc_lo, 0, v2, vcc_lo
	s_delay_alu instid0(VALU_DEP_1)
	v_cmp_lt_u64_e64 s2, 0xffff, v[1:2]
	s_waitcnt vmcnt(1)
	v_mul_lo_u16 v7, v3, s19
	v_lshrrev_b32_e32 v9, 8, v3
	s_waitcnt vmcnt(0)
	v_cvt_f32_ubyte0_e32 v8, v4
	v_cvt_f32_ubyte1_e32 v10, v4
	v_lshrrev_b32_e32 v11, 16, v3
	v_cvt_f32_ubyte0_e32 v7, v7
	v_mul_lo_u16 v9, v9, s19
	v_lshrrev_b32_e32 v3, 24, v3
	v_cvt_f32_ubyte2_e32 v12, v4
	v_mul_lo_u16 v11, v11, s19
	v_rcp_iflag_f32_e32 v13, v7
	v_cvt_f32_ubyte0_e32 v9, v9
	v_mul_lo_u16 v3, v3, s19
	v_cvt_f32_ubyte3_e32 v4, v4
	v_cvt_f32_ubyte0_e32 v11, v11
	s_delay_alu instid0(VALU_DEP_4) | instskip(NEXT) | instid1(VALU_DEP_3)
	v_rcp_iflag_f32_e32 v14, v9
	v_cvt_f32_ubyte0_e32 v3, v3
	s_delay_alu instid0(VALU_DEP_2) | instskip(NEXT) | instid1(TRANS32_DEP_3)
	v_rcp_iflag_f32_e32 v15, v11
	v_mul_f32_e32 v13, v8, v13
	s_delay_alu instid0(VALU_DEP_2) | instskip(NEXT) | instid1(TRANS32_DEP_3)
	v_rcp_iflag_f32_e32 v16, v3
	v_mul_f32_e32 v14, v10, v14
	s_delay_alu instid0(VALU_DEP_2) | instskip(NEXT) | instid1(VALU_DEP_2)
	v_trunc_f32_e32 v13, v13
	v_trunc_f32_e32 v14, v14
	s_delay_alu instid0(VALU_DEP_2)
	v_fma_f32 v8, -v13, v7, v8
	v_cvt_u32_f32_e32 v13, v13
	s_waitcnt_depctr 0xfff
	v_mul_f32_e32 v16, v4, v16
	v_cmp_ge_f32_e64 vcc_lo, |v8|, v7
	v_fma_f32 v8, -v14, v9, v10
	v_cvt_u32_f32_e32 v10, v14
	s_delay_alu instid0(VALU_DEP_4) | instskip(SKIP_1) | instid1(VALU_DEP_4)
	v_trunc_f32_e32 v16, v16
	v_add_co_ci_u32_e32 v7, vcc_lo, 0, v13, vcc_lo
	v_cmp_ge_f32_e64 vcc_lo, |v8|, v9
	s_delay_alu instid0(VALU_DEP_3) | instskip(SKIP_3) | instid1(VALU_DEP_1)
	v_fma_f32 v4, -v16, v3, v4
	v_cvt_u32_f32_e32 v14, v16
	v_add_co_ci_u32_e32 v8, vcc_lo, 0, v10, vcc_lo
	v_mul_f32_e32 v15, v12, v15
	v_trunc_f32_e32 v15, v15
	s_delay_alu instid0(VALU_DEP_1) | instskip(SKIP_1) | instid1(VALU_DEP_2)
	v_fma_f32 v12, -v15, v11, v12
	v_cvt_u32_f32_e32 v13, v15
	v_cmp_ge_f32_e64 vcc_lo, |v12|, v11
	s_delay_alu instid0(VALU_DEP_2) | instskip(SKIP_2) | instid1(VALU_DEP_3)
	v_add_co_ci_u32_e32 v9, vcc_lo, 0, v13, vcc_lo
	v_cmp_ge_f32_e64 vcc_lo, |v4|, v3
	v_and_b32_e32 v4, 0xff, v8
	v_and_b32_e32 v8, 0xff, v9
	v_add_co_ci_u32_e32 v3, vcc_lo, 0, v14, vcc_lo
	v_cmp_le_i64_e32 vcc_lo, s[4:5], v[1:2]
	s_delay_alu instid0(VALU_DEP_4) | instskip(NEXT) | instid1(VALU_DEP_4)
	v_perm_b32 v4, v4, v7, 0x6050400
	v_lshlrev_b32_e32 v7, 16, v8
	s_delay_alu instid0(VALU_DEP_4) | instskip(SKIP_1) | instid1(VALU_DEP_1)
	v_lshlrev_b32_e32 v3, 24, v3
	s_or_b32 s2, vcc_lo, s2
	v_or3_b32 v3, v4, v7, v3
	s_and_b32 s2, exec_lo, s2
	s_delay_alu instid0(SALU_CYCLE_1)
	s_or_b32 s17, s2, s17
	global_store_b32 v[5:6], v3, off
	s_and_not1_b32 exec_lo, exec_lo, s17
	s_cbranch_execnz .LBB72_3
.LBB72_4:
	s_or_b32 exec_lo, exec_lo, s16
	s_mov_b32 s2, 0
.LBB72_5:
	s_delay_alu instid0(SALU_CYCLE_1)
	s_and_not1_b32 vcc_lo, exec_lo, s2
	s_cbranch_vccnz .LBB72_25
; %bb.6:
	v_cmp_lt_i64_e64 s2, s[4:5], 1
	s_delay_alu instid0(VALU_DEP_1)
	s_and_b32 vcc_lo, exec_lo, s2
	s_cbranch_vccnz .LBB72_25
; %bb.7:
	s_load_b32 s0, s[0:1], 0xc5c
	v_add_co_u32 v15, s1, s12, v0
	s_delay_alu instid0(VALU_DEP_1) | instskip(SKIP_1) | instid1(VALU_DEP_3)
	v_add_co_ci_u32_e64 v16, null, s13, 0, s1
	v_cmp_gt_u64_e64 s1, 0x10000, s[4:5]
	v_add_co_u32 v1, vcc_lo, s8, v15
	s_delay_alu instid0(VALU_DEP_3)
	v_add_co_ci_u32_e32 v2, vcc_lo, s9, v16, vcc_lo
	v_add_co_u32 v3, vcc_lo, s10, v15
	v_add_co_ci_u32_e32 v4, vcc_lo, s11, v16, vcc_lo
	s_waitcnt lgkmcnt(0)
	s_and_b32 s0, s0, 0xffff
	s_and_b32 s1, s1, exec_lo
	s_mul_i32 s2, s0, 3
	s_cselect_b32 s7, s5, 0
	s_cselect_b32 s6, s4, 0x10000
	s_lshl_b32 s1, s0, 1
	s_lshl_b32 s14, s0, 2
	s_add_u32 s15, s12, s2
	s_addc_u32 s16, s13, 0
	v_add_co_u32 v7, s15, s15, v0
	s_delay_alu instid0(VALU_DEP_1) | instskip(SKIP_1) | instid1(VALU_DEP_2)
	v_add_co_ci_u32_e64 v8, null, s16, 0, s15
	s_add_u32 s12, s12, s1
	v_add_co_u32 v5, vcc_lo, s8, v7
	s_addc_u32 s13, s13, 0
	v_add_co_u32 v13, s12, s12, v0
	v_add_co_ci_u32_e32 v6, vcc_lo, s9, v8, vcc_lo
	v_add_co_u32 v7, vcc_lo, s10, v7
	v_add_co_ci_u32_e64 v14, null, s13, 0, s12
	v_add_co_ci_u32_e32 v8, vcc_lo, s11, v8, vcc_lo
	v_add_co_u32 v11, vcc_lo, s8, v13
	s_delay_alu instid0(VALU_DEP_3)
	v_add_co_ci_u32_e32 v12, vcc_lo, s9, v14, vcc_lo
	v_add_co_u32 v13, vcc_lo, s10, v13
	v_add_co_ci_u32_e32 v14, vcc_lo, s11, v14, vcc_lo
	v_add_co_u32 v19, vcc_lo, v15, s0
	v_add_co_ci_u32_e32 v20, vcc_lo, 0, v16, vcc_lo
	v_add_co_u32 v9, s2, s2, v0
	s_delay_alu instid0(VALU_DEP_3) | instskip(NEXT) | instid1(VALU_DEP_3)
	v_add_co_u32 v17, vcc_lo, s8, v19
	v_add_co_ci_u32_e32 v18, vcc_lo, s9, v20, vcc_lo
	v_add_co_u32 v15, s1, s1, v0
	v_add_co_u32 v19, vcc_lo, s10, v19
	v_add_co_u32 v21, s0, v0, s0
	v_add_co_ci_u32_e64 v10, null, 0, 0, s2
	v_add_co_ci_u32_e64 v16, null, 0, 0, s1
	v_add_co_ci_u32_e32 v20, vcc_lo, s11, v20, vcc_lo
	v_add_co_ci_u32_e64 v22, null, 0, 0, s0
	s_mov_b64 s[8:9], 0
	s_lshr_b32 s10, s3, 16
	s_branch .LBB72_9
.LBB72_8:                               ;   in Loop: Header=BB72_9 Depth=1
	s_or_b32 exec_lo, exec_lo, s0
	s_add_u32 s8, s8, s14
	s_addc_u32 s9, s9, 0
	s_delay_alu instid0(SALU_CYCLE_1) | instskip(SKIP_1) | instid1(VALU_DEP_1)
	v_cmp_ge_i64_e64 s0, s[8:9], s[4:5]
	v_cmp_lt_u64_e64 s1, 0xffff, s[8:9]
	s_or_b32 s0, s0, s1
	s_delay_alu instid0(SALU_CYCLE_1)
	s_and_b32 vcc_lo, exec_lo, s0
	s_cbranch_vccnz .LBB72_25
.LBB72_9:                               ; =>This Inner Loop Header: Depth=1
	s_waitcnt vmcnt(0)
	v_add_co_u32 v25, s0, v0, s8
	s_delay_alu instid0(VALU_DEP_1) | instskip(SKIP_1) | instid1(VALU_DEP_2)
	v_add_co_ci_u32_e64 v26, null, 0, s9, s0
	v_dual_mov_b32 v24, 0 :: v_dual_mov_b32 v23, 0
	v_cmp_gt_u64_e32 vcc_lo, s[6:7], v[25:26]
	v_mov_b32_e32 v26, 0
	s_and_saveexec_b32 s1, vcc_lo
	s_cbranch_execz .LBB72_11
; %bb.10:                               ;   in Loop: Header=BB72_9 Depth=1
	v_add_co_u32 v25, s0, v1, s8
	s_delay_alu instid0(VALU_DEP_1) | instskip(SKIP_1) | instid1(VALU_DEP_1)
	v_add_co_ci_u32_e64 v26, s0, s9, v2, s0
	v_add_co_u32 v27, s0, v3, s8
	v_add_co_ci_u32_e64 v28, s0, s9, v4, s0
	global_load_u8 v23, v[25:26], off
	global_load_u8 v26, v[27:28], off
.LBB72_11:                              ;   in Loop: Header=BB72_9 Depth=1
	s_or_b32 exec_lo, exec_lo, s1
	v_add_co_u32 v27, s0, v21, s8
	s_delay_alu instid0(VALU_DEP_1) | instskip(NEXT) | instid1(VALU_DEP_1)
	v_add_co_ci_u32_e64 v28, s0, s9, v22, s0
	v_cmp_gt_u64_e64 s0, s[6:7], v[27:28]
	s_delay_alu instid0(VALU_DEP_1)
	s_and_saveexec_b32 s2, s0
	s_cbranch_execz .LBB72_13
; %bb.12:                               ;   in Loop: Header=BB72_9 Depth=1
	v_add_co_u32 v24, s1, v17, s8
	s_delay_alu instid0(VALU_DEP_1) | instskip(SKIP_2) | instid1(VALU_DEP_1)
	v_add_co_ci_u32_e64 v25, s1, s9, v18, s1
	global_load_u8 v27, v[24:25], off
	v_add_co_u32 v24, s1, v19, s8
	v_add_co_ci_u32_e64 v25, s1, s9, v20, s1
	global_load_u8 v24, v[24:25], off
	s_waitcnt vmcnt(1)
	v_lshl_or_b32 v23, v27, 8, v23
.LBB72_13:                              ;   in Loop: Header=BB72_9 Depth=1
	s_or_b32 exec_lo, exec_lo, s2
	v_add_co_u32 v27, s1, v15, s8
	s_delay_alu instid0(VALU_DEP_1) | instskip(SKIP_1) | instid1(VALU_DEP_2)
	v_add_co_ci_u32_e64 v28, s1, s9, v16, s1
	v_mov_b32_e32 v25, 0
	v_cmp_gt_u64_e64 s1, s[6:7], v[27:28]
	v_mov_b32_e32 v27, 0
	s_delay_alu instid0(VALU_DEP_2)
	s_and_saveexec_b32 s3, s1
	s_cbranch_execz .LBB72_15
; %bb.14:                               ;   in Loop: Header=BB72_9 Depth=1
	v_add_co_u32 v27, s2, v11, s8
	s_delay_alu instid0(VALU_DEP_1) | instskip(SKIP_2) | instid1(VALU_DEP_1)
	v_add_co_ci_u32_e64 v28, s2, s9, v12, s2
	global_load_u8 v29, v[27:28], off
	v_add_co_u32 v27, s2, v13, s8
	v_add_co_ci_u32_e64 v28, s2, s9, v14, s2
	global_load_u8 v27, v[27:28], off
	s_waitcnt vmcnt(1)
	v_lshl_or_b32 v23, v29, 16, v23
.LBB72_15:                              ;   in Loop: Header=BB72_9 Depth=1
	s_or_b32 exec_lo, exec_lo, s3
	v_add_co_u32 v28, s2, v9, s8
	s_delay_alu instid0(VALU_DEP_1) | instskip(NEXT) | instid1(VALU_DEP_1)
	v_add_co_ci_u32_e64 v29, s2, s9, v10, s2
	v_cmp_gt_u64_e64 s2, s[6:7], v[28:29]
	s_delay_alu instid0(VALU_DEP_1)
	s_and_saveexec_b32 s11, s2
	s_cbranch_execnz .LBB72_20
; %bb.16:                               ;   in Loop: Header=BB72_9 Depth=1
	s_or_b32 exec_lo, exec_lo, s11
	s_and_saveexec_b32 s3, vcc_lo
	s_cbranch_execnz .LBB72_21
.LBB72_17:                              ;   in Loop: Header=BB72_9 Depth=1
	s_or_b32 exec_lo, exec_lo, s3
	s_and_saveexec_b32 s3, s0
	s_cbranch_execnz .LBB72_22
.LBB72_18:                              ;   in Loop: Header=BB72_9 Depth=1
	s_or_b32 exec_lo, exec_lo, s3
	s_and_saveexec_b32 s0, s1
	s_cbranch_execnz .LBB72_23
.LBB72_19:                              ;   in Loop: Header=BB72_9 Depth=1
	s_or_b32 exec_lo, exec_lo, s0
	s_and_saveexec_b32 s0, s2
	s_cbranch_execz .LBB72_8
	s_branch .LBB72_24
.LBB72_20:                              ;   in Loop: Header=BB72_9 Depth=1
	v_add_co_u32 v28, s3, v5, s8
	s_delay_alu instid0(VALU_DEP_1) | instskip(SKIP_2) | instid1(VALU_DEP_1)
	v_add_co_ci_u32_e64 v29, s3, s9, v6, s3
	global_load_u8 v30, v[28:29], off
	v_add_co_u32 v28, s3, v7, s8
	v_add_co_ci_u32_e64 v29, s3, s9, v8, s3
	global_load_u8 v25, v[28:29], off
	s_waitcnt vmcnt(1)
	v_lshl_or_b32 v23, v30, 24, v23
	s_or_b32 exec_lo, exec_lo, s11
	s_and_saveexec_b32 s3, vcc_lo
	s_cbranch_execz .LBB72_17
.LBB72_21:                              ;   in Loop: Header=BB72_9 Depth=1
	s_waitcnt vmcnt(0)
	v_mul_lo_u16 v26, v26, s10
	v_cvt_f32_ubyte0_e32 v29, v23
	s_delay_alu instid0(VALU_DEP_2) | instskip(NEXT) | instid1(VALU_DEP_1)
	v_cvt_f32_ubyte0_e32 v26, v26
	v_rcp_iflag_f32_e32 v28, v26
	s_waitcnt_depctr 0xfff
	v_mul_f32_e32 v28, v29, v28
	s_delay_alu instid0(VALU_DEP_1) | instskip(NEXT) | instid1(VALU_DEP_1)
	v_trunc_f32_e32 v28, v28
	v_fma_f32 v30, -v28, v26, v29
	v_cvt_u32_f32_e32 v31, v28
	v_add_co_u32 v28, vcc_lo, v1, s8
	v_add_co_ci_u32_e32 v29, vcc_lo, s9, v2, vcc_lo
	s_delay_alu instid0(VALU_DEP_4) | instskip(NEXT) | instid1(VALU_DEP_4)
	v_cmp_ge_f32_e64 vcc_lo, |v30|, v26
	v_add_co_ci_u32_e32 v26, vcc_lo, 0, v31, vcc_lo
	global_store_b8 v[28:29], v26, off
	s_or_b32 exec_lo, exec_lo, s3
	s_and_saveexec_b32 s3, s0
	s_cbranch_execz .LBB72_18
.LBB72_22:                              ;   in Loop: Header=BB72_9 Depth=1
	s_waitcnt vmcnt(0)
	v_mul_lo_u16 v24, v24, s10
	v_cvt_f32_ubyte1_e32 v28, v23
	s_delay_alu instid0(VALU_DEP_2) | instskip(NEXT) | instid1(VALU_DEP_1)
	v_cvt_f32_ubyte0_e32 v24, v24
	v_rcp_iflag_f32_e32 v26, v24
	s_waitcnt_depctr 0xfff
	v_mul_f32_e32 v26, v28, v26
	s_delay_alu instid0(VALU_DEP_1) | instskip(NEXT) | instid1(VALU_DEP_1)
	v_trunc_f32_e32 v26, v26
	v_fma_f32 v28, -v26, v24, v28
	v_cvt_u32_f32_e32 v26, v26
	s_delay_alu instid0(VALU_DEP_2) | instskip(NEXT) | instid1(VALU_DEP_2)
	v_cmp_ge_f32_e64 vcc_lo, |v28|, v24
	v_add_co_ci_u32_e32 v24, vcc_lo, 0, v26, vcc_lo
	v_add_co_u32 v28, vcc_lo, v17, s8
	v_add_co_ci_u32_e32 v29, vcc_lo, s9, v18, vcc_lo
	global_store_b8 v[28:29], v24, off
	s_or_b32 exec_lo, exec_lo, s3
	s_and_saveexec_b32 s0, s1
	s_cbranch_execz .LBB72_19
.LBB72_23:                              ;   in Loop: Header=BB72_9 Depth=1
	s_waitcnt vmcnt(0)
	v_mul_lo_u16 v24, v27, s10
	v_cvt_f32_ubyte2_e32 v27, v23
	s_delay_alu instid0(VALU_DEP_2) | instskip(NEXT) | instid1(VALU_DEP_1)
	v_cvt_f32_ubyte0_e32 v24, v24
	v_rcp_iflag_f32_e32 v26, v24
	s_waitcnt_depctr 0xfff
	v_mul_f32_e32 v26, v27, v26
	s_delay_alu instid0(VALU_DEP_1) | instskip(NEXT) | instid1(VALU_DEP_1)
	v_trunc_f32_e32 v26, v26
	v_fma_f32 v27, -v26, v24, v27
	v_cvt_u32_f32_e32 v26, v26
	s_delay_alu instid0(VALU_DEP_2) | instskip(NEXT) | instid1(VALU_DEP_2)
	v_cmp_ge_f32_e64 vcc_lo, |v27|, v24
	v_add_co_ci_u32_e32 v24, vcc_lo, 0, v26, vcc_lo
	v_add_co_u32 v26, vcc_lo, v11, s8
	v_add_co_ci_u32_e32 v27, vcc_lo, s9, v12, vcc_lo
	global_store_b8 v[26:27], v24, off
	s_or_b32 exec_lo, exec_lo, s0
	s_and_saveexec_b32 s0, s2
	s_cbranch_execz .LBB72_8
.LBB72_24:                              ;   in Loop: Header=BB72_9 Depth=1
	s_waitcnt vmcnt(0)
	v_mul_lo_u16 v24, v25, s10
	v_cvt_f32_ubyte3_e32 v23, v23
	s_delay_alu instid0(VALU_DEP_2) | instskip(NEXT) | instid1(VALU_DEP_1)
	v_cvt_f32_ubyte0_e32 v24, v24
	v_rcp_iflag_f32_e32 v25, v24
	s_waitcnt_depctr 0xfff
	v_mul_f32_e32 v25, v23, v25
	s_delay_alu instid0(VALU_DEP_1) | instskip(NEXT) | instid1(VALU_DEP_1)
	v_trunc_f32_e32 v25, v25
	v_fma_f32 v23, -v25, v24, v23
	v_cvt_u32_f32_e32 v25, v25
	s_delay_alu instid0(VALU_DEP_2) | instskip(NEXT) | instid1(VALU_DEP_2)
	v_cmp_ge_f32_e64 vcc_lo, |v23|, v24
	v_add_co_ci_u32_e32 v25, vcc_lo, 0, v25, vcc_lo
	v_add_co_u32 v23, vcc_lo, v5, s8
	v_add_co_ci_u32_e32 v24, vcc_lo, s9, v6, vcc_lo
	global_store_b8 v[23:24], v25, off
	s_branch .LBB72_8
.LBB72_25:
	s_nop 0
	s_sendmsg sendmsg(MSG_DEALLOC_VGPRS)
	s_endpgm
	.section	.rodata,"a",@progbits
	.p2align	6, 0x0
	.amdhsa_kernel _ZN2at6native12_GLOBAL__N_125multi_tensor_apply_kernelINS1_18TensorListMetadataILi2EEENS1_24BinaryOpListAlphaFunctorIhLi2ELi2ELi0EEEJSt7dividesIhEhEEEvT_T0_DpT1_
		.amdhsa_group_segment_fixed_size 0
		.amdhsa_private_segment_fixed_size 0
		.amdhsa_kernarg_size 3408
		.amdhsa_user_sgpr_count 15
		.amdhsa_user_sgpr_dispatch_ptr 0
		.amdhsa_user_sgpr_queue_ptr 0
		.amdhsa_user_sgpr_kernarg_segment_ptr 1
		.amdhsa_user_sgpr_dispatch_id 0
		.amdhsa_user_sgpr_private_segment_size 0
		.amdhsa_wavefront_size32 1
		.amdhsa_uses_dynamic_stack 0
		.amdhsa_enable_private_segment 0
		.amdhsa_system_sgpr_workgroup_id_x 1
		.amdhsa_system_sgpr_workgroup_id_y 0
		.amdhsa_system_sgpr_workgroup_id_z 0
		.amdhsa_system_sgpr_workgroup_info 0
		.amdhsa_system_vgpr_workitem_id 0
		.amdhsa_next_free_vgpr 32
		.amdhsa_next_free_sgpr 20
		.amdhsa_reserve_vcc 1
		.amdhsa_float_round_mode_32 0
		.amdhsa_float_round_mode_16_64 0
		.amdhsa_float_denorm_mode_32 3
		.amdhsa_float_denorm_mode_16_64 3
		.amdhsa_dx10_clamp 1
		.amdhsa_ieee_mode 1
		.amdhsa_fp16_overflow 0
		.amdhsa_workgroup_processor_mode 1
		.amdhsa_memory_ordered 1
		.amdhsa_forward_progress 0
		.amdhsa_shared_vgpr_count 0
		.amdhsa_exception_fp_ieee_invalid_op 0
		.amdhsa_exception_fp_denorm_src 0
		.amdhsa_exception_fp_ieee_div_zero 0
		.amdhsa_exception_fp_ieee_overflow 0
		.amdhsa_exception_fp_ieee_underflow 0
		.amdhsa_exception_fp_ieee_inexact 0
		.amdhsa_exception_int_div_zero 0
	.end_amdhsa_kernel
	.section	.text._ZN2at6native12_GLOBAL__N_125multi_tensor_apply_kernelINS1_18TensorListMetadataILi2EEENS1_24BinaryOpListAlphaFunctorIhLi2ELi2ELi0EEEJSt7dividesIhEhEEEvT_T0_DpT1_,"axG",@progbits,_ZN2at6native12_GLOBAL__N_125multi_tensor_apply_kernelINS1_18TensorListMetadataILi2EEENS1_24BinaryOpListAlphaFunctorIhLi2ELi2ELi0EEEJSt7dividesIhEhEEEvT_T0_DpT1_,comdat
.Lfunc_end72:
	.size	_ZN2at6native12_GLOBAL__N_125multi_tensor_apply_kernelINS1_18TensorListMetadataILi2EEENS1_24BinaryOpListAlphaFunctorIhLi2ELi2ELi0EEEJSt7dividesIhEhEEEvT_T0_DpT1_, .Lfunc_end72-_ZN2at6native12_GLOBAL__N_125multi_tensor_apply_kernelINS1_18TensorListMetadataILi2EEENS1_24BinaryOpListAlphaFunctorIhLi2ELi2ELi0EEEJSt7dividesIhEhEEEvT_T0_DpT1_
                                        ; -- End function
	.section	.AMDGPU.csdata,"",@progbits
; Kernel info:
; codeLenInByte = 1972
; NumSgprs: 22
; NumVgprs: 32
; ScratchSize: 0
; MemoryBound: 0
; FloatMode: 240
; IeeeMode: 1
; LDSByteSize: 0 bytes/workgroup (compile time only)
; SGPRBlocks: 2
; VGPRBlocks: 3
; NumSGPRsForWavesPerEU: 22
; NumVGPRsForWavesPerEU: 32
; Occupancy: 16
; WaveLimiterHint : 0
; COMPUTE_PGM_RSRC2:SCRATCH_EN: 0
; COMPUTE_PGM_RSRC2:USER_SGPR: 15
; COMPUTE_PGM_RSRC2:TRAP_HANDLER: 0
; COMPUTE_PGM_RSRC2:TGID_X_EN: 1
; COMPUTE_PGM_RSRC2:TGID_Y_EN: 0
; COMPUTE_PGM_RSRC2:TGID_Z_EN: 0
; COMPUTE_PGM_RSRC2:TIDIG_COMP_CNT: 0
	.section	.text._ZN2at6native12_GLOBAL__N_125multi_tensor_apply_kernelINS1_18TensorListMetadataILi2EEENS1_24BinaryOpListAlphaFunctorIaLi2ELi2ELi0EEEJSt7dividesIaEaEEEvT_T0_DpT1_,"axG",@progbits,_ZN2at6native12_GLOBAL__N_125multi_tensor_apply_kernelINS1_18TensorListMetadataILi2EEENS1_24BinaryOpListAlphaFunctorIaLi2ELi2ELi0EEEJSt7dividesIaEaEEEvT_T0_DpT1_,comdat
	.globl	_ZN2at6native12_GLOBAL__N_125multi_tensor_apply_kernelINS1_18TensorListMetadataILi2EEENS1_24BinaryOpListAlphaFunctorIaLi2ELi2ELi0EEEJSt7dividesIaEaEEEvT_T0_DpT1_ ; -- Begin function _ZN2at6native12_GLOBAL__N_125multi_tensor_apply_kernelINS1_18TensorListMetadataILi2EEENS1_24BinaryOpListAlphaFunctorIaLi2ELi2ELi0EEEJSt7dividesIaEaEEEvT_T0_DpT1_
	.p2align	8
	.type	_ZN2at6native12_GLOBAL__N_125multi_tensor_apply_kernelINS1_18TensorListMetadataILi2EEENS1_24BinaryOpListAlphaFunctorIaLi2ELi2ELi0EEEJSt7dividesIaEaEEEvT_T0_DpT1_,@function
_ZN2at6native12_GLOBAL__N_125multi_tensor_apply_kernelINS1_18TensorListMetadataILi2EEENS1_24BinaryOpListAlphaFunctorIaLi2ELi2ELi0EEEJSt7dividesIaEaEEEvT_T0_DpT1_: ; @_ZN2at6native12_GLOBAL__N_125multi_tensor_apply_kernelINS1_18TensorListMetadataILi2EEENS1_24BinaryOpListAlphaFunctorIaLi2ELi2ELi0EEEJSt7dividesIaEaEEEvT_T0_DpT1_
; %bb.0:
	v_mov_b32_e32 v1, s15
	s_add_u32 s2, s0, s15
	s_mul_hi_u32 s3, s15, 3
	s_mul_i32 s15, s15, 3
	s_addc_u32 s4, s1, 0
	global_load_u8 v1, v1, s[0:1] offset:1536
	s_add_u32 s2, s2, s15
	s_addc_u32 s3, s4, s3
	s_load_b32 s4, s[2:3], 0x740
	s_waitcnt lgkmcnt(0)
	s_ashr_i32 s5, s4, 31
	s_delay_alu instid0(SALU_CYCLE_1) | instskip(SKIP_2) | instid1(VALU_DEP_1)
	s_lshl_b64 s[12:13], s[4:5], 16
	s_waitcnt vmcnt(0)
	v_readfirstlane_b32 s2, v1
	s_lshl_b32 s2, s2, 3
	s_clause 0x3
	s_load_b64 s[8:9], s[0:1], s2 offset:0x0
	s_load_b64 s[10:11], s[0:1], s2 offset:0x200
	;; [unrolled: 1-line block ×3, first 2 shown]
	s_load_b32 s3, s[0:1], 0xc48
	s_waitcnt lgkmcnt(0)
	s_add_u32 s6, s8, s12
	s_addc_u32 s7, s9, s13
	s_add_u32 s14, s10, s12
	s_addc_u32 s15, s11, s13
	s_or_b64 s[4:5], s[16:17], s[6:7]
	s_delay_alu instid0(SALU_CYCLE_1) | instskip(NEXT) | instid1(SALU_CYCLE_1)
	s_or_b32 s2, s14, s4
	s_and_b32 s2, s2, 3
	s_sub_u32 s4, s16, s12
	s_subb_u32 s5, s17, s13
	s_cmp_eq_u32 s2, 0
	s_mov_b32 s2, -1
	s_cbranch_scc0 .LBB73_5
; %bb.1:
	v_dual_mov_b32 v2, 0 :: v_dual_lshlrev_b32 v1, 2, v0
	s_mov_b32 s16, exec_lo
	s_delay_alu instid0(VALU_DEP_1)
	v_cmpx_gt_i64_e64 s[4:5], v[1:2]
	s_cbranch_execz .LBB73_4
; %bb.2:
	s_load_b32 s2, s[0:1], 0xc5c
	s_mov_b32 s17, 0
	s_lshr_b32 s19, s3, 16
	s_waitcnt lgkmcnt(0)
	s_and_b32 s2, s2, 0xffff
	s_delay_alu instid0(SALU_CYCLE_1)
	s_lshl_b32 s18, s2, 2
.LBB73_3:                               ; =>This Inner Loop Header: Depth=1
	v_add_co_u32 v3, vcc_lo, s14, v1
	v_add_co_ci_u32_e32 v4, vcc_lo, s15, v2, vcc_lo
	v_add_co_u32 v5, vcc_lo, s6, v1
	v_add_co_ci_u32_e32 v6, vcc_lo, s7, v2, vcc_lo
	v_add_co_u32 v1, vcc_lo, s18, v1
	global_load_b32 v3, v[3:4], off
	global_load_b32 v4, v[5:6], off
	v_add_co_ci_u32_e32 v2, vcc_lo, 0, v2, vcc_lo
	s_delay_alu instid0(VALU_DEP_1)
	v_cmp_lt_u64_e64 s2, 0xffff, v[1:2]
	s_waitcnt vmcnt(1)
	v_mul_lo_u16 v7, v3, s19
	v_lshrrev_b32_e32 v9, 8, v3
	s_waitcnt vmcnt(0)
	v_bfe_i32 v8, v4, 0, 8
	v_lshrrev_b32_e32 v11, 16, v3
	v_bfe_i32 v10, v4, 8, 8
	v_bfe_i32 v7, v7, 0, 8
	v_mul_lo_u16 v9, v9, s19
	v_lshrrev_b32_e32 v3, 24, v3
	v_cvt_f32_i32_e32 v13, v8
	v_mul_lo_u16 v11, v11, s19
	v_xor_b32_e32 v8, v8, v7
	v_cvt_f32_i32_e32 v7, v7
	v_bfe_i32 v9, v9, 0, 8
	v_bfe_i32 v12, v4, 16, 8
	v_cvt_f32_i32_e32 v14, v10
	v_mul_lo_u16 v3, v3, s19
	v_bfe_i32 v11, v11, 0, 8
	v_rcp_iflag_f32_e32 v17, v7
	v_xor_b32_e32 v10, v10, v9
	v_cvt_f32_i32_e32 v9, v9
	v_ashrrev_i32_e32 v4, 24, v4
	v_cvt_f32_i32_e32 v15, v12
	v_bfe_i32 v3, v3, 0, 8
	v_xor_b32_e32 v12, v12, v11
	v_cvt_f32_i32_e32 v11, v11
	v_rcp_iflag_f32_e32 v18, v9
	v_cvt_f32_i32_e32 v16, v4
	v_xor_b32_e32 v4, v4, v3
	v_cvt_f32_i32_e32 v3, v3
	v_rcp_iflag_f32_e32 v19, v11
	v_mul_f32_e32 v17, v13, v17
	v_ashrrev_i32_e32 v8, 30, v8
	v_ashrrev_i32_e32 v10, 30, v10
	v_rcp_iflag_f32_e32 v20, v3
	v_ashrrev_i32_e32 v12, 30, v12
	v_mul_f32_e32 v18, v14, v18
	v_trunc_f32_e32 v17, v17
	v_or_b32_e32 v8, 1, v8
	v_or_b32_e32 v10, 1, v10
	v_mul_f32_e32 v19, v15, v19
	v_trunc_f32_e32 v18, v18
	v_fma_f32 v13, -v17, v7, v13
	v_or_b32_e32 v12, 1, v12
	v_mul_f32_e32 v20, v16, v20
	v_trunc_f32_e32 v19, v19
	v_fma_f32 v14, -v18, v9, v14
	v_cmp_ge_f32_e64 vcc_lo, |v13|, |v7|
	v_cvt_i32_f32_e32 v17, v17
	v_trunc_f32_e32 v20, v20
	v_fma_f32 v13, -v19, v11, v15
	v_ashrrev_i32_e32 v4, 30, v4
	v_cndmask_b32_e32 v7, 0, v8, vcc_lo
	v_cmp_ge_f32_e64 vcc_lo, |v14|, |v9|
	v_cvt_i32_f32_e32 v8, v18
	s_delay_alu instid0(VALU_DEP_4) | instskip(SKIP_4) | instid1(VALU_DEP_1)
	v_or_b32_e32 v4, 1, v4
	v_cndmask_b32_e32 v9, 0, v10, vcc_lo
	v_cmp_ge_f32_e64 vcc_lo, |v13|, |v11|
	v_cvt_i32_f32_e32 v10, v19
	v_cndmask_b32_e32 v11, 0, v12, vcc_lo
	v_add_nc_u32_e32 v10, v10, v11
	v_add_nc_u32_e32 v8, v8, v9
	;; [unrolled: 1-line block ×3, first 2 shown]
	v_fma_f32 v9, -v20, v3, v16
	v_cvt_i32_f32_e32 v11, v20
	s_delay_alu instid0(VALU_DEP_4) | instskip(NEXT) | instid1(VALU_DEP_4)
	v_lshlrev_b16 v8, 8, v8
	v_and_b32_e32 v7, 0xff, v7
	s_delay_alu instid0(VALU_DEP_4) | instskip(NEXT) | instid1(VALU_DEP_2)
	v_cmp_ge_f32_e64 vcc_lo, |v9|, |v3|
	v_or_b32_e32 v7, v8, v7
	v_dual_cndmask_b32 v3, 0, v4 :: v_dual_and_b32 v4, 0xff, v10
	v_cmp_le_i64_e32 vcc_lo, s[4:5], v[1:2]
	s_delay_alu instid0(VALU_DEP_3) | instskip(NEXT) | instid1(VALU_DEP_3)
	v_and_b32_e32 v7, 0xffff, v7
	v_add_lshl_u32 v3, v11, v3, 24
	s_delay_alu instid0(VALU_DEP_4) | instskip(SKIP_1) | instid1(SALU_CYCLE_1)
	v_lshlrev_b32_e32 v4, 16, v4
	s_or_b32 s2, vcc_lo, s2
	s_and_b32 s2, exec_lo, s2
	s_delay_alu instid0(VALU_DEP_1)
	v_or3_b32 v3, v4, v7, v3
	s_or_b32 s17, s2, s17
	global_store_b32 v[5:6], v3, off
	s_and_not1_b32 exec_lo, exec_lo, s17
	s_cbranch_execnz .LBB73_3
.LBB73_4:
	s_or_b32 exec_lo, exec_lo, s16
	s_mov_b32 s2, 0
.LBB73_5:
	s_delay_alu instid0(SALU_CYCLE_1)
	s_and_not1_b32 vcc_lo, exec_lo, s2
	s_cbranch_vccnz .LBB73_25
; %bb.6:
	v_cmp_lt_i64_e64 s2, s[4:5], 1
	s_delay_alu instid0(VALU_DEP_1)
	s_and_b32 vcc_lo, exec_lo, s2
	s_cbranch_vccnz .LBB73_25
; %bb.7:
	s_load_b32 s0, s[0:1], 0xc5c
	v_add_co_u32 v15, s1, s12, v0
	s_delay_alu instid0(VALU_DEP_1) | instskip(SKIP_1) | instid1(VALU_DEP_3)
	v_add_co_ci_u32_e64 v16, null, s13, 0, s1
	v_cmp_gt_u64_e64 s1, 0x10000, s[4:5]
	v_add_co_u32 v1, vcc_lo, s8, v15
	s_delay_alu instid0(VALU_DEP_3)
	v_add_co_ci_u32_e32 v2, vcc_lo, s9, v16, vcc_lo
	v_add_co_u32 v3, vcc_lo, s10, v15
	v_add_co_ci_u32_e32 v4, vcc_lo, s11, v16, vcc_lo
	s_waitcnt lgkmcnt(0)
	s_and_b32 s0, s0, 0xffff
	s_and_b32 s1, s1, exec_lo
	s_mul_i32 s2, s0, 3
	s_cselect_b32 s7, s5, 0
	s_cselect_b32 s6, s4, 0x10000
	s_lshl_b32 s1, s0, 1
	s_lshl_b32 s14, s0, 2
	s_add_u32 s15, s12, s2
	s_addc_u32 s16, s13, 0
	v_add_co_u32 v7, s15, s15, v0
	s_delay_alu instid0(VALU_DEP_1) | instskip(SKIP_1) | instid1(VALU_DEP_2)
	v_add_co_ci_u32_e64 v8, null, s16, 0, s15
	s_add_u32 s12, s12, s1
	v_add_co_u32 v5, vcc_lo, s8, v7
	s_addc_u32 s13, s13, 0
	v_add_co_u32 v13, s12, s12, v0
	v_add_co_ci_u32_e32 v6, vcc_lo, s9, v8, vcc_lo
	v_add_co_u32 v7, vcc_lo, s10, v7
	v_add_co_ci_u32_e64 v14, null, s13, 0, s12
	v_add_co_ci_u32_e32 v8, vcc_lo, s11, v8, vcc_lo
	v_add_co_u32 v11, vcc_lo, s8, v13
	s_delay_alu instid0(VALU_DEP_3)
	v_add_co_ci_u32_e32 v12, vcc_lo, s9, v14, vcc_lo
	v_add_co_u32 v13, vcc_lo, s10, v13
	v_add_co_ci_u32_e32 v14, vcc_lo, s11, v14, vcc_lo
	v_add_co_u32 v19, vcc_lo, v15, s0
	v_add_co_ci_u32_e32 v20, vcc_lo, 0, v16, vcc_lo
	v_add_co_u32 v9, s2, s2, v0
	s_delay_alu instid0(VALU_DEP_3) | instskip(NEXT) | instid1(VALU_DEP_3)
	v_add_co_u32 v17, vcc_lo, s8, v19
	v_add_co_ci_u32_e32 v18, vcc_lo, s9, v20, vcc_lo
	v_add_co_u32 v15, s1, s1, v0
	v_add_co_u32 v19, vcc_lo, s10, v19
	v_add_co_u32 v21, s0, v0, s0
	v_add_co_ci_u32_e64 v10, null, 0, 0, s2
	v_add_co_ci_u32_e64 v16, null, 0, 0, s1
	v_add_co_ci_u32_e32 v20, vcc_lo, s11, v20, vcc_lo
	v_add_co_ci_u32_e64 v22, null, 0, 0, s0
	s_mov_b64 s[8:9], 0
	s_lshr_b32 s10, s3, 16
	s_branch .LBB73_9
.LBB73_8:                               ;   in Loop: Header=BB73_9 Depth=1
	s_or_b32 exec_lo, exec_lo, s0
	s_add_u32 s8, s8, s14
	s_addc_u32 s9, s9, 0
	s_delay_alu instid0(SALU_CYCLE_1) | instskip(SKIP_1) | instid1(VALU_DEP_1)
	v_cmp_ge_i64_e64 s0, s[8:9], s[4:5]
	v_cmp_lt_u64_e64 s1, 0xffff, s[8:9]
	s_or_b32 s0, s0, s1
	s_delay_alu instid0(SALU_CYCLE_1)
	s_and_b32 vcc_lo, exec_lo, s0
	s_cbranch_vccnz .LBB73_25
.LBB73_9:                               ; =>This Inner Loop Header: Depth=1
	s_waitcnt vmcnt(1)
	v_add_co_u32 v23, s0, v0, s8
	s_waitcnt vmcnt(0)
	v_add_co_ci_u32_e64 v24, null, 0, s9, s0
	v_mov_b32_e32 v25, 0
	v_mov_b32_e32 v27, 0
	s_delay_alu instid0(VALU_DEP_3) | instskip(SKIP_1) | instid1(VALU_DEP_2)
	v_cmp_gt_u64_e64 s2, s[6:7], v[23:24]
	v_mov_b32_e32 v23, 0
	s_and_saveexec_b32 s0, s2
	s_cbranch_execz .LBB73_11
; %bb.10:                               ;   in Loop: Header=BB73_9 Depth=1
	v_add_co_u32 v23, vcc_lo, v1, s8
	v_add_co_ci_u32_e32 v24, vcc_lo, s9, v2, vcc_lo
	v_add_co_u32 v26, vcc_lo, v3, s8
	v_add_co_ci_u32_e32 v27, vcc_lo, s9, v4, vcc_lo
	global_load_u8 v23, v[23:24], off
	global_load_u8 v27, v[26:27], off
.LBB73_11:                              ;   in Loop: Header=BB73_9 Depth=1
	s_or_b32 exec_lo, exec_lo, s0
	v_add_co_u32 v28, vcc_lo, v21, s8
	v_add_co_ci_u32_e32 v29, vcc_lo, s9, v22, vcc_lo
	s_delay_alu instid0(VALU_DEP_1) | instskip(NEXT) | instid1(VALU_DEP_1)
	v_cmp_gt_u64_e64 s1, s[6:7], v[28:29]
	s_and_saveexec_b32 s0, s1
	s_cbranch_execz .LBB73_13
; %bb.12:                               ;   in Loop: Header=BB73_9 Depth=1
	v_add_co_u32 v24, vcc_lo, v17, s8
	v_add_co_ci_u32_e32 v25, vcc_lo, s9, v18, vcc_lo
	global_load_u8 v26, v[24:25], off
	v_add_co_u32 v24, vcc_lo, v19, s8
	v_add_co_ci_u32_e32 v25, vcc_lo, s9, v20, vcc_lo
	global_load_u8 v25, v[24:25], off
	s_waitcnt vmcnt(1)
	v_lshl_or_b32 v23, v26, 8, v23
.LBB73_13:                              ;   in Loop: Header=BB73_9 Depth=1
	s_or_b32 exec_lo, exec_lo, s0
	v_add_co_u32 v28, vcc_lo, v15, s8
	v_add_co_ci_u32_e32 v29, vcc_lo, s9, v16, vcc_lo
	v_mov_b32_e32 v24, 0
	v_mov_b32_e32 v26, 0
	s_delay_alu instid0(VALU_DEP_3) | instskip(NEXT) | instid1(VALU_DEP_1)
	v_cmp_gt_u64_e64 s0, s[6:7], v[28:29]
	s_and_saveexec_b32 s3, s0
	s_cbranch_execz .LBB73_15
; %bb.14:                               ;   in Loop: Header=BB73_9 Depth=1
	v_add_co_u32 v28, vcc_lo, v11, s8
	v_add_co_ci_u32_e32 v29, vcc_lo, s9, v12, vcc_lo
	global_load_u8 v30, v[28:29], off
	v_add_co_u32 v28, vcc_lo, v13, s8
	v_add_co_ci_u32_e32 v29, vcc_lo, s9, v14, vcc_lo
	global_load_u8 v26, v[28:29], off
	s_waitcnt vmcnt(1)
	v_lshl_or_b32 v23, v30, 16, v23
.LBB73_15:                              ;   in Loop: Header=BB73_9 Depth=1
	s_or_b32 exec_lo, exec_lo, s3
	v_add_co_u32 v28, vcc_lo, v9, s8
	v_add_co_ci_u32_e32 v29, vcc_lo, s9, v10, vcc_lo
	s_delay_alu instid0(VALU_DEP_1)
	v_cmp_gt_u64_e32 vcc_lo, s[6:7], v[28:29]
	s_and_saveexec_b32 s11, vcc_lo
	s_cbranch_execnz .LBB73_20
; %bb.16:                               ;   in Loop: Header=BB73_9 Depth=1
	s_or_b32 exec_lo, exec_lo, s11
	s_and_saveexec_b32 s3, s2
	s_cbranch_execnz .LBB73_21
.LBB73_17:                              ;   in Loop: Header=BB73_9 Depth=1
	s_or_b32 exec_lo, exec_lo, s3
	s_and_saveexec_b32 s2, s1
	s_cbranch_execnz .LBB73_22
.LBB73_18:                              ;   in Loop: Header=BB73_9 Depth=1
	s_or_b32 exec_lo, exec_lo, s2
	s_and_saveexec_b32 s1, s0
	s_cbranch_execnz .LBB73_23
.LBB73_19:                              ;   in Loop: Header=BB73_9 Depth=1
	s_or_b32 exec_lo, exec_lo, s1
	s_and_saveexec_b32 s0, vcc_lo
	s_cbranch_execz .LBB73_8
	s_branch .LBB73_24
.LBB73_20:                              ;   in Loop: Header=BB73_9 Depth=1
	v_add_co_u32 v28, s3, v5, s8
	s_delay_alu instid0(VALU_DEP_1) | instskip(SKIP_2) | instid1(VALU_DEP_1)
	v_add_co_ci_u32_e64 v29, s3, s9, v6, s3
	global_load_u8 v30, v[28:29], off
	v_add_co_u32 v28, s3, v7, s8
	v_add_co_ci_u32_e64 v29, s3, s9, v8, s3
	global_load_u8 v24, v[28:29], off
	s_waitcnt vmcnt(1)
	v_lshl_or_b32 v23, v30, 24, v23
	s_or_b32 exec_lo, exec_lo, s11
	s_and_saveexec_b32 s3, s2
	s_cbranch_execz .LBB73_17
.LBB73_21:                              ;   in Loop: Header=BB73_9 Depth=1
	s_waitcnt vmcnt(0)
	v_mul_lo_u16 v27, v27, s10
	v_bfe_i32 v29, v23, 0, 8
	s_delay_alu instid0(VALU_DEP_2) | instskip(NEXT) | instid1(VALU_DEP_2)
	v_bfe_i32 v27, v27, 0, 8
	v_cvt_f32_i32_e32 v31, v29
	s_delay_alu instid0(VALU_DEP_2) | instskip(SKIP_1) | instid1(VALU_DEP_2)
	v_cvt_f32_i32_e32 v28, v27
	v_xor_b32_e32 v27, v29, v27
	v_rcp_iflag_f32_e32 v30, v28
	s_delay_alu instid0(VALU_DEP_1) | instskip(NEXT) | instid1(VALU_DEP_1)
	v_ashrrev_i32_e32 v27, 30, v27
	v_or_b32_e32 v27, 1, v27
	s_waitcnt_depctr 0xfff
	v_mul_f32_e32 v30, v31, v30
	s_delay_alu instid0(VALU_DEP_1) | instskip(NEXT) | instid1(VALU_DEP_1)
	v_trunc_f32_e32 v29, v30
	v_fma_f32 v30, -v29, v28, v31
	v_cvt_i32_f32_e32 v29, v29
	s_delay_alu instid0(VALU_DEP_2) | instskip(NEXT) | instid1(VALU_DEP_1)
	v_cmp_ge_f32_e64 s2, |v30|, |v28|
	v_cndmask_b32_e64 v27, 0, v27, s2
	s_delay_alu instid0(VALU_DEP_1) | instskip(SKIP_1) | instid1(VALU_DEP_1)
	v_add_nc_u32_e32 v29, v29, v27
	v_add_co_u32 v27, s2, v1, s8
	v_add_co_ci_u32_e64 v28, s2, s9, v2, s2
	global_store_b8 v[27:28], v29, off
	s_or_b32 exec_lo, exec_lo, s3
	s_and_saveexec_b32 s2, s1
	s_cbranch_execz .LBB73_18
.LBB73_22:                              ;   in Loop: Header=BB73_9 Depth=1
	s_waitcnt vmcnt(0)
	v_mul_lo_u16 v25, v25, s10
	v_bfe_i32 v28, v23, 8, 8
	s_delay_alu instid0(VALU_DEP_2) | instskip(NEXT) | instid1(VALU_DEP_2)
	v_bfe_i32 v25, v25, 0, 8
	v_cvt_f32_i32_e32 v30, v28
	s_delay_alu instid0(VALU_DEP_2) | instskip(SKIP_1) | instid1(VALU_DEP_2)
	v_cvt_f32_i32_e32 v27, v25
	v_xor_b32_e32 v25, v28, v25
	v_rcp_iflag_f32_e32 v29, v27
	s_delay_alu instid0(VALU_DEP_1) | instskip(NEXT) | instid1(VALU_DEP_1)
	v_ashrrev_i32_e32 v25, 30, v25
	v_or_b32_e32 v25, 1, v25
	s_waitcnt_depctr 0xfff
	v_mul_f32_e32 v29, v30, v29
	s_delay_alu instid0(VALU_DEP_1) | instskip(NEXT) | instid1(VALU_DEP_1)
	v_trunc_f32_e32 v28, v29
	v_fma_f32 v29, -v28, v27, v30
	v_cvt_i32_f32_e32 v28, v28
	s_delay_alu instid0(VALU_DEP_2) | instskip(NEXT) | instid1(VALU_DEP_1)
	v_cmp_ge_f32_e64 s1, |v29|, |v27|
	v_cndmask_b32_e64 v25, 0, v25, s1
	v_add_co_u32 v27, s1, v17, s8
	s_delay_alu instid0(VALU_DEP_2)
	v_add_nc_u32_e32 v25, v28, v25
	v_add_co_ci_u32_e64 v28, s1, s9, v18, s1
	global_store_b8 v[27:28], v25, off
	s_or_b32 exec_lo, exec_lo, s2
	s_and_saveexec_b32 s1, s0
	s_cbranch_execz .LBB73_19
.LBB73_23:                              ;   in Loop: Header=BB73_9 Depth=1
	s_waitcnt vmcnt(0)
	v_mul_lo_u16 v25, v26, s10
	v_bfe_i32 v27, v23, 16, 8
	s_delay_alu instid0(VALU_DEP_2) | instskip(NEXT) | instid1(VALU_DEP_2)
	v_bfe_i32 v25, v25, 0, 8
	v_cvt_f32_i32_e32 v29, v27
	s_delay_alu instid0(VALU_DEP_2) | instskip(SKIP_1) | instid1(VALU_DEP_2)
	v_cvt_f32_i32_e32 v26, v25
	v_xor_b32_e32 v25, v27, v25
	v_rcp_iflag_f32_e32 v28, v26
	s_delay_alu instid0(VALU_DEP_1) | instskip(NEXT) | instid1(VALU_DEP_1)
	v_ashrrev_i32_e32 v25, 30, v25
	v_or_b32_e32 v25, 1, v25
	s_waitcnt_depctr 0xfff
	v_mul_f32_e32 v28, v29, v28
	s_delay_alu instid0(VALU_DEP_1) | instskip(NEXT) | instid1(VALU_DEP_1)
	v_trunc_f32_e32 v27, v28
	v_fma_f32 v28, -v27, v26, v29
	v_cvt_i32_f32_e32 v27, v27
	s_delay_alu instid0(VALU_DEP_2) | instskip(NEXT) | instid1(VALU_DEP_1)
	v_cmp_ge_f32_e64 s0, |v28|, |v26|
	v_cndmask_b32_e64 v25, 0, v25, s0
	s_delay_alu instid0(VALU_DEP_1) | instskip(SKIP_1) | instid1(VALU_DEP_1)
	v_add_nc_u32_e32 v27, v27, v25
	v_add_co_u32 v25, s0, v11, s8
	v_add_co_ci_u32_e64 v26, s0, s9, v12, s0
	global_store_b8 v[25:26], v27, off
	s_or_b32 exec_lo, exec_lo, s1
	s_and_saveexec_b32 s0, vcc_lo
	s_cbranch_execz .LBB73_8
.LBB73_24:                              ;   in Loop: Header=BB73_9 Depth=1
	s_waitcnt vmcnt(0)
	v_mul_lo_u16 v24, v24, s10
	v_ashrrev_i32_e32 v23, 24, v23
	s_delay_alu instid0(VALU_DEP_2) | instskip(NEXT) | instid1(VALU_DEP_2)
	v_bfe_i32 v24, v24, 0, 8
	v_cvt_f32_i32_e32 v27, v23
	s_delay_alu instid0(VALU_DEP_2) | instskip(SKIP_1) | instid1(VALU_DEP_2)
	v_cvt_f32_i32_e32 v25, v24
	v_xor_b32_e32 v23, v23, v24
	v_rcp_iflag_f32_e32 v26, v25
	s_delay_alu instid0(VALU_DEP_1) | instskip(NEXT) | instid1(VALU_DEP_1)
	v_ashrrev_i32_e32 v23, 30, v23
	v_or_b32_e32 v23, 1, v23
	s_waitcnt_depctr 0xfff
	v_mul_f32_e32 v26, v27, v26
	s_delay_alu instid0(VALU_DEP_1) | instskip(NEXT) | instid1(VALU_DEP_1)
	v_trunc_f32_e32 v24, v26
	v_fma_f32 v26, -v24, v25, v27
	v_cvt_i32_f32_e32 v24, v24
	s_delay_alu instid0(VALU_DEP_2) | instskip(SKIP_1) | instid1(VALU_DEP_1)
	v_cmp_ge_f32_e64 vcc_lo, |v26|, |v25|
	v_cndmask_b32_e32 v23, 0, v23, vcc_lo
	v_add_nc_u32_e32 v25, v24, v23
	v_add_co_u32 v23, vcc_lo, v5, s8
	v_add_co_ci_u32_e32 v24, vcc_lo, s9, v6, vcc_lo
	global_store_b8 v[23:24], v25, off
	s_branch .LBB73_8
.LBB73_25:
	s_nop 0
	s_sendmsg sendmsg(MSG_DEALLOC_VGPRS)
	s_endpgm
	.section	.rodata,"a",@progbits
	.p2align	6, 0x0
	.amdhsa_kernel _ZN2at6native12_GLOBAL__N_125multi_tensor_apply_kernelINS1_18TensorListMetadataILi2EEENS1_24BinaryOpListAlphaFunctorIaLi2ELi2ELi0EEEJSt7dividesIaEaEEEvT_T0_DpT1_
		.amdhsa_group_segment_fixed_size 0
		.amdhsa_private_segment_fixed_size 0
		.amdhsa_kernarg_size 3408
		.amdhsa_user_sgpr_count 15
		.amdhsa_user_sgpr_dispatch_ptr 0
		.amdhsa_user_sgpr_queue_ptr 0
		.amdhsa_user_sgpr_kernarg_segment_ptr 1
		.amdhsa_user_sgpr_dispatch_id 0
		.amdhsa_user_sgpr_private_segment_size 0
		.amdhsa_wavefront_size32 1
		.amdhsa_uses_dynamic_stack 0
		.amdhsa_enable_private_segment 0
		.amdhsa_system_sgpr_workgroup_id_x 1
		.amdhsa_system_sgpr_workgroup_id_y 0
		.amdhsa_system_sgpr_workgroup_id_z 0
		.amdhsa_system_sgpr_workgroup_info 0
		.amdhsa_system_vgpr_workitem_id 0
		.amdhsa_next_free_vgpr 32
		.amdhsa_next_free_sgpr 20
		.amdhsa_reserve_vcc 1
		.amdhsa_float_round_mode_32 0
		.amdhsa_float_round_mode_16_64 0
		.amdhsa_float_denorm_mode_32 3
		.amdhsa_float_denorm_mode_16_64 3
		.amdhsa_dx10_clamp 1
		.amdhsa_ieee_mode 1
		.amdhsa_fp16_overflow 0
		.amdhsa_workgroup_processor_mode 1
		.amdhsa_memory_ordered 1
		.amdhsa_forward_progress 0
		.amdhsa_shared_vgpr_count 0
		.amdhsa_exception_fp_ieee_invalid_op 0
		.amdhsa_exception_fp_denorm_src 0
		.amdhsa_exception_fp_ieee_div_zero 0
		.amdhsa_exception_fp_ieee_overflow 0
		.amdhsa_exception_fp_ieee_underflow 0
		.amdhsa_exception_fp_ieee_inexact 0
		.amdhsa_exception_int_div_zero 0
	.end_amdhsa_kernel
	.section	.text._ZN2at6native12_GLOBAL__N_125multi_tensor_apply_kernelINS1_18TensorListMetadataILi2EEENS1_24BinaryOpListAlphaFunctorIaLi2ELi2ELi0EEEJSt7dividesIaEaEEEvT_T0_DpT1_,"axG",@progbits,_ZN2at6native12_GLOBAL__N_125multi_tensor_apply_kernelINS1_18TensorListMetadataILi2EEENS1_24BinaryOpListAlphaFunctorIaLi2ELi2ELi0EEEJSt7dividesIaEaEEEvT_T0_DpT1_,comdat
.Lfunc_end73:
	.size	_ZN2at6native12_GLOBAL__N_125multi_tensor_apply_kernelINS1_18TensorListMetadataILi2EEENS1_24BinaryOpListAlphaFunctorIaLi2ELi2ELi0EEEJSt7dividesIaEaEEEvT_T0_DpT1_, .Lfunc_end73-_ZN2at6native12_GLOBAL__N_125multi_tensor_apply_kernelINS1_18TensorListMetadataILi2EEENS1_24BinaryOpListAlphaFunctorIaLi2ELi2ELi0EEEJSt7dividesIaEaEEEvT_T0_DpT1_
                                        ; -- End function
	.section	.AMDGPU.csdata,"",@progbits
; Kernel info:
; codeLenInByte = 2212
; NumSgprs: 22
; NumVgprs: 32
; ScratchSize: 0
; MemoryBound: 0
; FloatMode: 240
; IeeeMode: 1
; LDSByteSize: 0 bytes/workgroup (compile time only)
; SGPRBlocks: 2
; VGPRBlocks: 3
; NumSGPRsForWavesPerEU: 22
; NumVGPRsForWavesPerEU: 32
; Occupancy: 16
; WaveLimiterHint : 0
; COMPUTE_PGM_RSRC2:SCRATCH_EN: 0
; COMPUTE_PGM_RSRC2:USER_SGPR: 15
; COMPUTE_PGM_RSRC2:TRAP_HANDLER: 0
; COMPUTE_PGM_RSRC2:TGID_X_EN: 1
; COMPUTE_PGM_RSRC2:TGID_Y_EN: 0
; COMPUTE_PGM_RSRC2:TGID_Z_EN: 0
; COMPUTE_PGM_RSRC2:TIDIG_COMP_CNT: 0
	.section	.text._ZN2at6native12_GLOBAL__N_125multi_tensor_apply_kernelINS1_18TensorListMetadataILi2EEENS1_24BinaryOpListAlphaFunctorIiLi2ELi2ELi0EEEJSt7dividesIiEiEEEvT_T0_DpT1_,"axG",@progbits,_ZN2at6native12_GLOBAL__N_125multi_tensor_apply_kernelINS1_18TensorListMetadataILi2EEENS1_24BinaryOpListAlphaFunctorIiLi2ELi2ELi0EEEJSt7dividesIiEiEEEvT_T0_DpT1_,comdat
	.globl	_ZN2at6native12_GLOBAL__N_125multi_tensor_apply_kernelINS1_18TensorListMetadataILi2EEENS1_24BinaryOpListAlphaFunctorIiLi2ELi2ELi0EEEJSt7dividesIiEiEEEvT_T0_DpT1_ ; -- Begin function _ZN2at6native12_GLOBAL__N_125multi_tensor_apply_kernelINS1_18TensorListMetadataILi2EEENS1_24BinaryOpListAlphaFunctorIiLi2ELi2ELi0EEEJSt7dividesIiEiEEEvT_T0_DpT1_
	.p2align	8
	.type	_ZN2at6native12_GLOBAL__N_125multi_tensor_apply_kernelINS1_18TensorListMetadataILi2EEENS1_24BinaryOpListAlphaFunctorIiLi2ELi2ELi0EEEJSt7dividesIiEiEEEvT_T0_DpT1_,@function
_ZN2at6native12_GLOBAL__N_125multi_tensor_apply_kernelINS1_18TensorListMetadataILi2EEENS1_24BinaryOpListAlphaFunctorIiLi2ELi2ELi0EEEJSt7dividesIiEiEEEvT_T0_DpT1_: ; @_ZN2at6native12_GLOBAL__N_125multi_tensor_apply_kernelINS1_18TensorListMetadataILi2EEENS1_24BinaryOpListAlphaFunctorIiLi2ELi2ELi0EEEJSt7dividesIiEiEEEvT_T0_DpT1_
; %bb.0:
	v_mov_b32_e32 v1, s15
	s_add_u32 s2, s0, s15
	s_mul_hi_u32 s3, s15, 3
	s_mul_i32 s15, s15, 3
	s_addc_u32 s4, s1, 0
	global_load_u8 v1, v1, s[0:1] offset:1536
	s_add_u32 s2, s2, s15
	s_addc_u32 s3, s4, s3
	s_mov_b32 s19, 0
	s_load_b32 s2, s[2:3], 0x740
	s_mov_b32 s21, s19
	s_mov_b32 s23, s19
	s_waitcnt vmcnt(0)
	v_readfirstlane_b32 s3, v1
	s_delay_alu instid0(VALU_DEP_1)
	s_lshl_b32 s3, s3, 3
	s_clause 0x3
	s_load_b64 s[10:11], s[0:1], s3 offset:0x0
	s_load_b64 s[12:13], s[0:1], s3 offset:0x200
	;; [unrolled: 1-line block ×3, first 2 shown]
	s_load_b32 s14, s[0:1], 0xc4c
	s_waitcnt lgkmcnt(0)
	s_ashr_i32 s3, s2, 31
	s_delay_alu instid0(SALU_CYCLE_1) | instskip(NEXT) | instid1(SALU_CYCLE_1)
	s_lshl_b64 s[6:7], s[2:3], 18
	s_add_u32 s5, s10, s6
	s_addc_u32 s15, s11, s7
	s_and_b32 s18, s5, 15
	s_add_u32 s16, s12, s6
	s_addc_u32 s17, s13, s7
	s_and_b32 s20, s8, 3
	s_and_b32 s22, s16, 15
	s_or_b64 s[18:19], s[18:19], s[20:21]
	s_lshl_b64 s[2:3], s[2:3], 16
	s_or_b64 s[18:19], s[22:23], s[18:19]
	s_sub_u32 s8, s8, s2
	s_subb_u32 s9, s9, s3
	s_cmp_eq_u64 s[18:19], 0
	s_mov_b32 s2, -1
	s_cbranch_scc0 .LBB74_5
; %bb.1:
	v_dual_mov_b32 v2, 0 :: v_dual_lshlrev_b32 v1, 2, v0
	s_mov_b32 s18, exec_lo
	s_delay_alu instid0(VALU_DEP_1)
	v_cmpx_gt_i64_e64 s[8:9], v[1:2]
	s_cbranch_execz .LBB74_4
; %bb.2:
	s_load_b32 s2, s[0:1], 0xc5c
	v_lshlrev_b32_e32 v3, 4, v0
	s_mov_b32 s19, 0
	s_waitcnt lgkmcnt(0)
	s_and_b32 s2, s2, 0xffff
	s_delay_alu instid0(SALU_CYCLE_1)
	v_add_lshl_u32 v1, v0, s2, 2
	s_lshl_b32 s20, s2, 2
	s_lshl_b32 s21, s2, 4
.LBB74_3:                               ; =>This Inner Loop Header: Depth=1
	v_add_co_u32 v4, s2, s16, v3
	s_delay_alu instid0(VALU_DEP_1) | instskip(SKIP_1) | instid1(VALU_DEP_1)
	v_add_co_ci_u32_e64 v5, null, s17, 0, s2
	v_add_co_u32 v12, s2, s5, v3
	v_add_co_ci_u32_e64 v13, null, s15, 0, s2
	global_load_b128 v[4:7], v[4:5], off
	global_load_b128 v[8:11], v[12:13], off
	v_cmp_le_i64_e32 vcc_lo, s[8:9], v[1:2]
	v_cmp_lt_u64_e64 s2, 0xffff, v[1:2]
	v_add_co_u32 v1, s3, v1, s20
	s_delay_alu instid0(VALU_DEP_1) | instskip(NEXT) | instid1(VALU_DEP_3)
	v_add_co_ci_u32_e64 v2, s3, 0, v2, s3
	s_or_b32 s22, vcc_lo, s2
	s_add_u32 s5, s5, s21
	s_addc_u32 s15, s15, 0
	s_add_u32 s16, s16, s21
	s_addc_u32 s17, s17, 0
	s_waitcnt vmcnt(1)
	v_mul_lo_u32 v7, v7, s14
	s_waitcnt vmcnt(0)
	v_sub_nc_u32_e32 v17, 0, v11
	v_mul_lo_u32 v5, v5, s14
	v_mul_lo_u32 v6, v6, s14
	v_sub_nc_u32_e32 v15, 0, v9
	v_sub_nc_u32_e32 v16, 0, v10
	v_max_i32_e32 v17, v11, v17
	v_mul_lo_u32 v4, v4, s14
	v_sub_nc_u32_e32 v21, 0, v7
	v_xor_b32_e32 v11, v11, v7
	v_sub_nc_u32_e32 v19, 0, v5
	v_max_i32_e32 v15, v9, v15
	v_xor_b32_e32 v9, v9, v5
	v_max_i32_e32 v7, v7, v21
	v_sub_nc_u32_e32 v20, 0, v6
	v_max_i32_e32 v5, v5, v19
	v_max_i32_e32 v16, v10, v16
	v_xor_b32_e32 v10, v10, v6
	v_cvt_f32_u32_e32 v24, v7
	v_max_i32_e32 v6, v6, v20
	v_cvt_f32_u32_e32 v20, v5
	v_sub_nc_u32_e32 v25, 0, v7
	v_sub_nc_u32_e32 v14, 0, v8
	v_rcp_iflag_f32_e32 v24, v24
	v_sub_nc_u32_e32 v18, 0, v4
	v_rcp_iflag_f32_e32 v20, v20
	v_sub_nc_u32_e32 v21, 0, v5
	v_max_i32_e32 v14, v8, v14
	v_xor_b32_e32 v8, v8, v4
	v_max_i32_e32 v4, v4, v18
	v_cvt_f32_u32_e32 v22, v6
	v_sub_nc_u32_e32 v23, 0, v6
	v_ashrrev_i32_e32 v9, 31, v9
	v_mul_f32_e32 v24, 0x4f7ffffe, v24
	v_cvt_f32_u32_e32 v18, v4
	v_sub_nc_u32_e32 v19, 0, v4
	v_rcp_iflag_f32_e32 v22, v22
	v_ashrrev_i32_e32 v8, 31, v8
	v_cvt_u32_f32_e32 v24, v24
	v_rcp_iflag_f32_e32 v18, v18
	v_ashrrev_i32_e32 v10, 31, v10
	v_ashrrev_i32_e32 v11, 31, v11
	s_delay_alu instid0(VALU_DEP_3) | instskip(NEXT) | instid1(VALU_DEP_1)
	v_mul_lo_u32 v25, v25, v24
	v_mul_hi_u32 v25, v24, v25
	v_mul_f32_e32 v20, 0x4f7ffffe, v20
	s_delay_alu instid0(VALU_DEP_1) | instskip(NEXT) | instid1(VALU_DEP_1)
	v_cvt_u32_f32_e32 v20, v20
	v_mul_lo_u32 v21, v21, v20
	s_delay_alu instid0(VALU_DEP_1) | instskip(NEXT) | instid1(TRANS32_DEP_1)
	v_mul_hi_u32 v21, v20, v21
	v_mul_f32_e32 v18, 0x4f7ffffe, v18
	s_delay_alu instid0(VALU_DEP_1) | instskip(NEXT) | instid1(VALU_DEP_1)
	v_cvt_u32_f32_e32 v18, v18
	v_mul_lo_u32 v19, v19, v18
	s_delay_alu instid0(VALU_DEP_1) | instskip(NEXT) | instid1(VALU_DEP_1)
	v_mul_hi_u32 v19, v18, v19
	v_add_nc_u32_e32 v18, v18, v19
	v_add_nc_u32_e32 v19, v20, v21
	;; [unrolled: 1-line block ×3, first 2 shown]
	s_delay_alu instid0(VALU_DEP_3) | instskip(NEXT) | instid1(VALU_DEP_3)
	v_mul_hi_u32 v18, v14, v18
	v_mul_hi_u32 v19, v15, v19
	v_mul_f32_e32 v22, 0x4f7ffffe, v22
	s_delay_alu instid0(VALU_DEP_4) | instskip(NEXT) | instid1(VALU_DEP_3)
	v_mul_hi_u32 v21, v17, v21
	v_add_nc_u32_e32 v27, 1, v19
	s_delay_alu instid0(VALU_DEP_3) | instskip(SKIP_1) | instid1(VALU_DEP_4)
	v_cvt_u32_f32_e32 v22, v22
	v_mul_lo_u32 v24, v19, v5
	v_mul_lo_u32 v26, v21, v7
	s_delay_alu instid0(VALU_DEP_3) | instskip(NEXT) | instid1(VALU_DEP_3)
	v_mul_lo_u32 v23, v23, v22
	v_sub_nc_u32_e32 v15, v15, v24
	s_delay_alu instid0(VALU_DEP_3) | instskip(NEXT) | instid1(VALU_DEP_3)
	v_sub_nc_u32_e32 v17, v17, v26
	v_mul_hi_u32 v23, v22, v23
	s_delay_alu instid0(VALU_DEP_3) | instskip(NEXT) | instid1(VALU_DEP_3)
	v_cmp_ge_u32_e64 s2, v15, v5
	v_cmp_ge_u32_e64 s4, v17, v7
	s_delay_alu instid0(VALU_DEP_2) | instskip(NEXT) | instid1(VALU_DEP_4)
	v_cndmask_b32_e64 v19, v19, v27, s2
	v_add_nc_u32_e32 v20, v22, v23
	v_mul_lo_u32 v22, v18, v4
	v_add_nc_u32_e32 v23, 1, v18
	s_delay_alu instid0(VALU_DEP_3) | instskip(NEXT) | instid1(VALU_DEP_3)
	v_mul_hi_u32 v20, v16, v20
	v_sub_nc_u32_e32 v14, v14, v22
	s_delay_alu instid0(VALU_DEP_2) | instskip(NEXT) | instid1(VALU_DEP_2)
	v_mul_lo_u32 v25, v20, v6
	v_cmp_ge_u32_e32 vcc_lo, v14, v4
	v_sub_nc_u32_e32 v22, v14, v4
	v_dual_cndmask_b32 v18, v18, v23 :: v_dual_add_nc_u32 v29, 1, v21
	v_sub_nc_u32_e32 v23, v15, v5
	s_delay_alu instid0(VALU_DEP_3) | instskip(SKIP_1) | instid1(VALU_DEP_4)
	v_cndmask_b32_e32 v14, v14, v22, vcc_lo
	v_sub_nc_u32_e32 v16, v16, v25
	v_cndmask_b32_e64 v21, v21, v29, s4
	v_sub_nc_u32_e32 v25, v17, v7
	v_add_nc_u32_e32 v22, 1, v18
	v_cndmask_b32_e64 v15, v15, v23, s2
	v_add_nc_u32_e32 v23, 1, v19
	v_cmp_ge_u32_e32 vcc_lo, v14, v4
	v_cmp_ge_u32_e64 s3, v16, v6
	v_sub_nc_u32_e32 v24, v16, v6
	v_cndmask_b32_e64 v17, v17, v25, s4
	v_dual_cndmask_b32 v4, v18, v22 :: v_dual_add_nc_u32 v25, 1, v21
	v_cmp_ge_u32_e32 vcc_lo, v15, v5
	v_add_nc_u32_e32 v28, 1, v20
	v_cndmask_b32_e64 v16, v16, v24, s3
	s_and_b32 s2, exec_lo, s22
	v_xor_b32_e32 v4, v4, v8
	v_cndmask_b32_e32 v5, v19, v23, vcc_lo
	v_cndmask_b32_e64 v20, v20, v28, s3
	v_cmp_ge_u32_e32 vcc_lo, v16, v6
	s_or_b32 s19, s2, s19
	v_sub_nc_u32_e32 v4, v4, v8
	v_xor_b32_e32 v5, v5, v9
	v_add_nc_u32_e32 v24, 1, v20
	s_delay_alu instid0(VALU_DEP_2) | instskip(NEXT) | instid1(VALU_DEP_2)
	v_sub_nc_u32_e32 v5, v5, v9
	v_cndmask_b32_e32 v6, v20, v24, vcc_lo
	v_cmp_ge_u32_e32 vcc_lo, v17, v7
	s_delay_alu instid0(VALU_DEP_2) | instskip(SKIP_1) | instid1(VALU_DEP_2)
	v_xor_b32_e32 v6, v6, v10
	v_cndmask_b32_e32 v7, v21, v25, vcc_lo
	v_sub_nc_u32_e32 v6, v6, v10
	s_delay_alu instid0(VALU_DEP_2) | instskip(NEXT) | instid1(VALU_DEP_1)
	v_xor_b32_e32 v7, v7, v11
	v_sub_nc_u32_e32 v7, v7, v11
	global_store_b128 v[12:13], v[4:7], off
	s_and_not1_b32 exec_lo, exec_lo, s19
	s_cbranch_execnz .LBB74_3
.LBB74_4:
	s_or_b32 exec_lo, exec_lo, s18
	s_mov_b32 s2, 0
.LBB74_5:
	s_delay_alu instid0(SALU_CYCLE_1)
	s_and_not1_b32 vcc_lo, exec_lo, s2
	s_cbranch_vccnz .LBB74_25
; %bb.6:
	v_cmp_lt_i64_e64 s2, s[8:9], 1
	s_delay_alu instid0(VALU_DEP_1)
	s_and_b32 vcc_lo, exec_lo, s2
	s_cbranch_vccnz .LBB74_25
; %bb.7:
	s_load_b32 s0, s[0:1], 0xc5c
	v_dual_mov_b32 v10, 0 :: v_dual_lshlrev_b32 v9, 2, v0
	v_cmp_gt_u64_e64 s1, 0x10000, s[8:9]
	s_delay_alu instid0(VALU_DEP_2) | instskip(NEXT) | instid1(VALU_DEP_1)
	v_add_co_u32 v1, s2, s10, v9
	v_add_co_ci_u32_e64 v2, null, s11, 0, s2
	v_add_co_u32 v3, s2, s12, v9
	s_delay_alu instid0(VALU_DEP_1)
	v_add_co_ci_u32_e64 v4, null, s13, 0, s2
	s_waitcnt lgkmcnt(0)
	s_and_b32 s0, s0, 0xffff
	s_and_b32 s1, s1, exec_lo
	v_mad_u64_u32 v[7:8], null, s0, 12, v[9:10]
	s_cselect_b32 s5, s9, 0
	s_cselect_b32 s4, s8, 0x10000
	s_mul_i32 s2, s0, 3
	s_lshl_b32 s3, s0, 3
	s_lshl_b32 s1, s0, 1
	v_add_co_u32 v14, s3, s3, v9
	v_add_co_u32 v9, s2, s2, v0
	s_delay_alu instid0(VALU_DEP_1) | instskip(SKIP_3) | instid1(VALU_DEP_3)
	v_add_co_ci_u32_e64 v10, null, 0, 0, s2
	v_add_co_u32 v13, s2, v0, s0
	v_add_co_u32 v5, vcc_lo, s10, v7
	v_add_co_ci_u32_e32 v6, vcc_lo, s11, v8, vcc_lo
	v_lshlrev_b32_e32 v21, 2, v13
	v_add_co_u32 v7, vcc_lo, s12, v7
	v_add_co_ci_u32_e64 v15, null, 0, 0, s3
	v_add_co_ci_u32_e32 v8, vcc_lo, s13, v8, vcc_lo
	v_add_co_u32 v17, s1, s1, v0
	v_add_co_u32 v11, vcc_lo, s10, v14
	v_add_co_ci_u32_e64 v18, null, 0, 0, s1
	v_add_co_u32 v19, s1, s10, v21
	v_add_co_ci_u32_e32 v12, vcc_lo, s11, v15, vcc_lo
	v_add_co_u32 v14, vcc_lo, s12, v14
	v_add_co_ci_u32_e64 v20, null, s11, 0, s1
	v_add_co_u32 v21, s1, s12, v21
	v_add_co_ci_u32_e32 v15, vcc_lo, s13, v15, vcc_lo
	v_add_co_ci_u32_e64 v16, null, 0, 0, s2
	v_add_co_ci_u32_e64 v22, null, s13, 0, s1
	s_lshl_b32 s12, s0, 2
	s_lshl_b32 s13, s0, 4
	s_mov_b64 s[10:11], 0
	s_branch .LBB74_9
.LBB74_8:                               ;   in Loop: Header=BB74_9 Depth=1
	s_or_b32 exec_lo, exec_lo, s0
	v_add_co_u32 v1, vcc_lo, v1, s13
	v_add_co_ci_u32_e32 v2, vcc_lo, 0, v2, vcc_lo
	v_add_co_u32 v3, vcc_lo, v3, s13
	v_add_co_ci_u32_e32 v4, vcc_lo, 0, v4, vcc_lo
	;; [unrolled: 2-line block ×5, first 2 shown]
	s_add_u32 s10, s10, s12
	v_add_co_u32 v14, vcc_lo, v14, s13
	s_addc_u32 s11, s11, 0
	v_add_co_ci_u32_e32 v15, vcc_lo, 0, v15, vcc_lo
	v_cmp_ge_i64_e64 s0, s[10:11], s[8:9]
	v_cmp_lt_u64_e64 s1, 0xffff, s[10:11]
	v_add_co_u32 v19, vcc_lo, v19, s13
	v_add_co_ci_u32_e32 v20, vcc_lo, 0, v20, vcc_lo
	v_add_co_u32 v21, vcc_lo, v21, s13
	v_add_co_ci_u32_e32 v22, vcc_lo, 0, v22, vcc_lo
	s_or_b32 s0, s0, s1
	s_delay_alu instid0(SALU_CYCLE_1)
	s_and_b32 vcc_lo, exec_lo, s0
	s_cbranch_vccnz .LBB74_25
.LBB74_9:                               ; =>This Inner Loop Header: Depth=1
	s_waitcnt vmcnt(1)
	v_add_co_u32 v23, s0, v0, s10
	s_delay_alu instid0(VALU_DEP_1) | instskip(SKIP_3) | instid1(VALU_DEP_3)
	v_add_co_ci_u32_e64 v24, null, 0, s11, s0
	v_mov_b32_e32 v28, 0
	s_waitcnt vmcnt(0)
	v_mov_b32_e32 v30, 0
	v_cmp_gt_u64_e64 s2, s[4:5], v[23:24]
	s_delay_alu instid0(VALU_DEP_1)
	s_and_saveexec_b32 s0, s2
	s_cbranch_execz .LBB74_11
; %bb.10:                               ;   in Loop: Header=BB74_9 Depth=1
	v_add_co_u32 v23, vcc_lo, v1, s6
	v_add_co_ci_u32_e32 v24, vcc_lo, s7, v2, vcc_lo
	v_add_co_u32 v25, vcc_lo, v3, s6
	v_add_co_ci_u32_e32 v26, vcc_lo, s7, v4, vcc_lo
	global_load_b32 v28, v[23:24], off
	global_load_b32 v30, v[25:26], off
.LBB74_11:                              ;   in Loop: Header=BB74_9 Depth=1
	s_or_b32 exec_lo, exec_lo, s0
	v_add_co_u32 v24, vcc_lo, v13, s10
	v_add_co_ci_u32_e32 v25, vcc_lo, s11, v16, vcc_lo
	v_dual_mov_b32 v23, 0 :: v_dual_mov_b32 v26, 0
	v_mov_b32_e32 v29, 0
	s_delay_alu instid0(VALU_DEP_3) | instskip(NEXT) | instid1(VALU_DEP_1)
	v_cmp_gt_u64_e64 s1, s[4:5], v[24:25]
	s_and_saveexec_b32 s0, s1
	s_cbranch_execz .LBB74_13
; %bb.12:                               ;   in Loop: Header=BB74_9 Depth=1
	v_add_co_u32 v24, vcc_lo, v19, s6
	v_add_co_ci_u32_e32 v25, vcc_lo, s7, v20, vcc_lo
	v_add_co_u32 v31, vcc_lo, v21, s6
	v_add_co_ci_u32_e32 v32, vcc_lo, s7, v22, vcc_lo
	global_load_b32 v26, v[24:25], off
	global_load_b32 v29, v[31:32], off
.LBB74_13:                              ;   in Loop: Header=BB74_9 Depth=1
	s_or_b32 exec_lo, exec_lo, s0
	v_add_co_u32 v24, vcc_lo, v17, s10
	v_add_co_ci_u32_e32 v25, vcc_lo, s11, v18, vcc_lo
	v_mov_b32_e32 v27, 0
	s_delay_alu instid0(VALU_DEP_2) | instskip(NEXT) | instid1(VALU_DEP_1)
	v_cmp_gt_u64_e64 s0, s[4:5], v[24:25]
	s_and_saveexec_b32 s3, s0
	s_cbranch_execz .LBB74_15
; %bb.14:                               ;   in Loop: Header=BB74_9 Depth=1
	v_add_co_u32 v23, vcc_lo, v11, s6
	v_add_co_ci_u32_e32 v24, vcc_lo, s7, v12, vcc_lo
	v_add_co_u32 v31, vcc_lo, v14, s6
	v_add_co_ci_u32_e32 v32, vcc_lo, s7, v15, vcc_lo
	global_load_b32 v23, v[23:24], off
	global_load_b32 v27, v[31:32], off
.LBB74_15:                              ;   in Loop: Header=BB74_9 Depth=1
	s_or_b32 exec_lo, exec_lo, s3
	v_add_co_u32 v24, vcc_lo, v9, s10
	v_add_co_ci_u32_e32 v25, vcc_lo, s11, v10, vcc_lo
	s_delay_alu instid0(VALU_DEP_1)
	v_cmp_gt_u64_e32 vcc_lo, s[4:5], v[24:25]
	v_dual_mov_b32 v24, 0 :: v_dual_mov_b32 v25, 0
	s_and_saveexec_b32 s15, vcc_lo
	s_cbranch_execnz .LBB74_20
; %bb.16:                               ;   in Loop: Header=BB74_9 Depth=1
	s_or_b32 exec_lo, exec_lo, s15
	s_and_saveexec_b32 s3, s2
	s_cbranch_execnz .LBB74_21
.LBB74_17:                              ;   in Loop: Header=BB74_9 Depth=1
	s_or_b32 exec_lo, exec_lo, s3
	s_and_saveexec_b32 s2, s1
	s_cbranch_execnz .LBB74_22
.LBB74_18:                              ;   in Loop: Header=BB74_9 Depth=1
	s_or_b32 exec_lo, exec_lo, s2
	s_and_saveexec_b32 s1, s0
	s_cbranch_execnz .LBB74_23
.LBB74_19:                              ;   in Loop: Header=BB74_9 Depth=1
	s_or_b32 exec_lo, exec_lo, s1
	s_and_saveexec_b32 s0, vcc_lo
	s_cbranch_execz .LBB74_8
	s_branch .LBB74_24
.LBB74_20:                              ;   in Loop: Header=BB74_9 Depth=1
	v_add_co_u32 v24, s3, v5, s6
	s_delay_alu instid0(VALU_DEP_1) | instskip(SKIP_1) | instid1(VALU_DEP_1)
	v_add_co_ci_u32_e64 v25, s3, s7, v6, s3
	v_add_co_u32 v31, s3, v7, s6
	v_add_co_ci_u32_e64 v32, s3, s7, v8, s3
	global_load_b32 v24, v[24:25], off
	global_load_b32 v25, v[31:32], off
	s_or_b32 exec_lo, exec_lo, s15
	s_and_saveexec_b32 s3, s2
	s_cbranch_execz .LBB74_17
.LBB74_21:                              ;   in Loop: Header=BB74_9 Depth=1
	s_waitcnt vmcnt(0)
	v_mul_lo_u32 v30, v30, s14
	v_sub_nc_u32_e32 v34, 0, v28
	s_delay_alu instid0(VALU_DEP_1) | instskip(NEXT) | instid1(VALU_DEP_3)
	v_max_i32_e32 v34, v28, v34
	v_sub_nc_u32_e32 v31, 0, v30
	v_xor_b32_e32 v28, v28, v30
	s_delay_alu instid0(VALU_DEP_2) | instskip(NEXT) | instid1(VALU_DEP_2)
	v_max_i32_e32 v31, v30, v31
	v_ashrrev_i32_e32 v28, 31, v28
	s_delay_alu instid0(VALU_DEP_2) | instskip(SKIP_1) | instid1(VALU_DEP_2)
	v_cvt_f32_u32_e32 v32, v31
	v_sub_nc_u32_e32 v33, 0, v31
	v_rcp_iflag_f32_e32 v32, v32
	s_waitcnt_depctr 0xfff
	v_mul_f32_e32 v32, 0x4f7ffffe, v32
	s_delay_alu instid0(VALU_DEP_1) | instskip(NEXT) | instid1(VALU_DEP_1)
	v_cvt_u32_f32_e32 v32, v32
	v_mul_lo_u32 v33, v33, v32
	s_delay_alu instid0(VALU_DEP_1) | instskip(NEXT) | instid1(VALU_DEP_1)
	v_mul_hi_u32 v33, v32, v33
	v_add_nc_u32_e32 v32, v32, v33
	s_delay_alu instid0(VALU_DEP_1) | instskip(NEXT) | instid1(VALU_DEP_1)
	v_mul_hi_u32 v32, v34, v32
	v_mul_lo_u32 v33, v32, v31
	s_delay_alu instid0(VALU_DEP_1) | instskip(SKIP_1) | instid1(VALU_DEP_2)
	v_sub_nc_u32_e32 v33, v34, v33
	v_add_nc_u32_e32 v34, 1, v32
	v_sub_nc_u32_e32 v35, v33, v31
	v_cmp_ge_u32_e64 s2, v33, v31
	s_delay_alu instid0(VALU_DEP_1) | instskip(NEXT) | instid1(VALU_DEP_3)
	v_cndmask_b32_e64 v32, v32, v34, s2
	v_cndmask_b32_e64 v30, v33, v35, s2
	s_delay_alu instid0(VALU_DEP_2) | instskip(NEXT) | instid1(VALU_DEP_2)
	v_add_nc_u32_e32 v33, 1, v32
	v_cmp_ge_u32_e64 s2, v30, v31
	s_delay_alu instid0(VALU_DEP_1) | instskip(NEXT) | instid1(VALU_DEP_1)
	v_cndmask_b32_e64 v30, v32, v33, s2
	v_xor_b32_e32 v32, v30, v28
	v_add_co_u32 v30, s2, v1, s6
	s_delay_alu instid0(VALU_DEP_1) | instskip(NEXT) | instid1(VALU_DEP_3)
	v_add_co_ci_u32_e64 v31, s2, s7, v2, s2
	v_sub_nc_u32_e32 v28, v32, v28
	global_store_b32 v[30:31], v28, off
	s_or_b32 exec_lo, exec_lo, s3
	s_and_saveexec_b32 s2, s1
	s_cbranch_execz .LBB74_18
.LBB74_22:                              ;   in Loop: Header=BB74_9 Depth=1
	s_waitcnt vmcnt(0)
	v_mul_lo_u32 v28, v29, s14
	v_sub_nc_u32_e32 v32, 0, v26
	s_delay_alu instid0(VALU_DEP_1) | instskip(NEXT) | instid1(VALU_DEP_3)
	v_max_i32_e32 v32, v26, v32
	v_sub_nc_u32_e32 v29, 0, v28
	v_xor_b32_e32 v26, v26, v28
	s_delay_alu instid0(VALU_DEP_2) | instskip(NEXT) | instid1(VALU_DEP_2)
	v_max_i32_e32 v29, v28, v29
	v_ashrrev_i32_e32 v26, 31, v26
	s_delay_alu instid0(VALU_DEP_2) | instskip(SKIP_1) | instid1(VALU_DEP_2)
	v_cvt_f32_u32_e32 v30, v29
	v_sub_nc_u32_e32 v31, 0, v29
	v_rcp_iflag_f32_e32 v30, v30
	s_waitcnt_depctr 0xfff
	v_mul_f32_e32 v30, 0x4f7ffffe, v30
	s_delay_alu instid0(VALU_DEP_1) | instskip(NEXT) | instid1(VALU_DEP_1)
	v_cvt_u32_f32_e32 v30, v30
	v_mul_lo_u32 v31, v31, v30
	s_delay_alu instid0(VALU_DEP_1) | instskip(NEXT) | instid1(VALU_DEP_1)
	v_mul_hi_u32 v31, v30, v31
	v_add_nc_u32_e32 v30, v30, v31
	s_delay_alu instid0(VALU_DEP_1) | instskip(NEXT) | instid1(VALU_DEP_1)
	v_mul_hi_u32 v30, v32, v30
	v_mul_lo_u32 v31, v30, v29
	s_delay_alu instid0(VALU_DEP_1) | instskip(SKIP_1) | instid1(VALU_DEP_2)
	v_sub_nc_u32_e32 v31, v32, v31
	v_add_nc_u32_e32 v32, 1, v30
	v_sub_nc_u32_e32 v33, v31, v29
	v_cmp_ge_u32_e64 s1, v31, v29
	s_delay_alu instid0(VALU_DEP_1) | instskip(NEXT) | instid1(VALU_DEP_3)
	v_cndmask_b32_e64 v30, v30, v32, s1
	v_cndmask_b32_e64 v28, v31, v33, s1
	s_delay_alu instid0(VALU_DEP_2) | instskip(NEXT) | instid1(VALU_DEP_2)
	v_add_nc_u32_e32 v31, 1, v30
	v_cmp_ge_u32_e64 s1, v28, v29
	s_delay_alu instid0(VALU_DEP_1) | instskip(NEXT) | instid1(VALU_DEP_1)
	v_cndmask_b32_e64 v28, v30, v31, s1
	v_xor_b32_e32 v28, v28, v26
	s_delay_alu instid0(VALU_DEP_1) | instskip(SKIP_1) | instid1(VALU_DEP_1)
	v_sub_nc_u32_e32 v26, v28, v26
	v_add_co_u32 v28, s1, v19, s6
	v_add_co_ci_u32_e64 v29, s1, s7, v20, s1
	global_store_b32 v[28:29], v26, off
	s_or_b32 exec_lo, exec_lo, s2
	s_and_saveexec_b32 s1, s0
	s_cbranch_execz .LBB74_19
.LBB74_23:                              ;   in Loop: Header=BB74_9 Depth=1
	s_waitcnt vmcnt(0)
	v_mul_lo_u32 v26, v27, s14
	v_sub_nc_u32_e32 v30, 0, v23
	s_delay_alu instid0(VALU_DEP_1) | instskip(NEXT) | instid1(VALU_DEP_3)
	v_max_i32_e32 v30, v23, v30
	v_sub_nc_u32_e32 v27, 0, v26
	v_xor_b32_e32 v23, v23, v26
	s_delay_alu instid0(VALU_DEP_2) | instskip(NEXT) | instid1(VALU_DEP_2)
	v_max_i32_e32 v27, v26, v27
	v_ashrrev_i32_e32 v23, 31, v23
	s_delay_alu instid0(VALU_DEP_2) | instskip(SKIP_1) | instid1(VALU_DEP_2)
	v_cvt_f32_u32_e32 v28, v27
	v_sub_nc_u32_e32 v29, 0, v27
	v_rcp_iflag_f32_e32 v28, v28
	s_waitcnt_depctr 0xfff
	v_mul_f32_e32 v28, 0x4f7ffffe, v28
	s_delay_alu instid0(VALU_DEP_1) | instskip(NEXT) | instid1(VALU_DEP_1)
	v_cvt_u32_f32_e32 v28, v28
	v_mul_lo_u32 v29, v29, v28
	s_delay_alu instid0(VALU_DEP_1) | instskip(NEXT) | instid1(VALU_DEP_1)
	v_mul_hi_u32 v29, v28, v29
	v_add_nc_u32_e32 v28, v28, v29
	s_delay_alu instid0(VALU_DEP_1) | instskip(NEXT) | instid1(VALU_DEP_1)
	v_mul_hi_u32 v28, v30, v28
	v_mul_lo_u32 v29, v28, v27
	s_delay_alu instid0(VALU_DEP_1) | instskip(SKIP_1) | instid1(VALU_DEP_2)
	v_sub_nc_u32_e32 v29, v30, v29
	v_add_nc_u32_e32 v30, 1, v28
	v_sub_nc_u32_e32 v31, v29, v27
	v_cmp_ge_u32_e64 s0, v29, v27
	s_delay_alu instid0(VALU_DEP_1) | instskip(NEXT) | instid1(VALU_DEP_3)
	v_cndmask_b32_e64 v28, v28, v30, s0
	v_cndmask_b32_e64 v26, v29, v31, s0
	s_delay_alu instid0(VALU_DEP_2) | instskip(NEXT) | instid1(VALU_DEP_2)
	v_add_nc_u32_e32 v29, 1, v28
	v_cmp_ge_u32_e64 s0, v26, v27
	s_delay_alu instid0(VALU_DEP_1) | instskip(NEXT) | instid1(VALU_DEP_1)
	v_cndmask_b32_e64 v26, v28, v29, s0
	v_xor_b32_e32 v26, v26, v23
	s_delay_alu instid0(VALU_DEP_1) | instskip(SKIP_1) | instid1(VALU_DEP_1)
	v_sub_nc_u32_e32 v23, v26, v23
	v_add_co_u32 v26, s0, v11, s6
	v_add_co_ci_u32_e64 v27, s0, s7, v12, s0
	global_store_b32 v[26:27], v23, off
	s_or_b32 exec_lo, exec_lo, s1
	s_and_saveexec_b32 s0, vcc_lo
	s_cbranch_execz .LBB74_8
.LBB74_24:                              ;   in Loop: Header=BB74_9 Depth=1
	s_waitcnt vmcnt(0)
	v_mul_lo_u32 v23, v25, s14
	v_sub_nc_u32_e32 v28, 0, v24
	s_delay_alu instid0(VALU_DEP_1) | instskip(NEXT) | instid1(VALU_DEP_3)
	v_max_i32_e32 v28, v24, v28
	v_sub_nc_u32_e32 v25, 0, v23
	s_delay_alu instid0(VALU_DEP_1) | instskip(SKIP_1) | instid1(VALU_DEP_2)
	v_max_i32_e32 v25, v23, v25
	v_xor_b32_e32 v23, v24, v23
	v_cvt_f32_u32_e32 v26, v25
	v_sub_nc_u32_e32 v27, 0, v25
	s_delay_alu instid0(VALU_DEP_3) | instskip(NEXT) | instid1(VALU_DEP_3)
	v_ashrrev_i32_e32 v23, 31, v23
	v_rcp_iflag_f32_e32 v26, v26
	s_waitcnt_depctr 0xfff
	v_mul_f32_e32 v26, 0x4f7ffffe, v26
	s_delay_alu instid0(VALU_DEP_1) | instskip(NEXT) | instid1(VALU_DEP_1)
	v_cvt_u32_f32_e32 v26, v26
	v_mul_lo_u32 v27, v27, v26
	s_delay_alu instid0(VALU_DEP_1) | instskip(NEXT) | instid1(VALU_DEP_1)
	v_mul_hi_u32 v27, v26, v27
	v_add_nc_u32_e32 v26, v26, v27
	s_delay_alu instid0(VALU_DEP_1) | instskip(NEXT) | instid1(VALU_DEP_1)
	v_mul_hi_u32 v26, v28, v26
	v_mul_lo_u32 v27, v26, v25
	s_delay_alu instid0(VALU_DEP_1) | instskip(SKIP_1) | instid1(VALU_DEP_2)
	v_sub_nc_u32_e32 v27, v28, v27
	v_add_nc_u32_e32 v28, 1, v26
	v_sub_nc_u32_e32 v29, v27, v25
	v_cmp_ge_u32_e32 vcc_lo, v27, v25
	s_delay_alu instid0(VALU_DEP_3) | instskip(NEXT) | instid1(VALU_DEP_1)
	v_cndmask_b32_e32 v26, v26, v28, vcc_lo
	v_dual_cndmask_b32 v24, v27, v29 :: v_dual_add_nc_u32 v27, 1, v26
	s_delay_alu instid0(VALU_DEP_1) | instskip(NEXT) | instid1(VALU_DEP_2)
	v_cmp_ge_u32_e32 vcc_lo, v24, v25
	v_cndmask_b32_e32 v24, v26, v27, vcc_lo
	s_delay_alu instid0(VALU_DEP_1) | instskip(NEXT) | instid1(VALU_DEP_1)
	v_xor_b32_e32 v24, v24, v23
	v_sub_nc_u32_e32 v25, v24, v23
	v_add_co_u32 v23, vcc_lo, v5, s6
	v_add_co_ci_u32_e32 v24, vcc_lo, s7, v6, vcc_lo
	global_store_b32 v[23:24], v25, off
	s_branch .LBB74_8
.LBB74_25:
	s_nop 0
	s_sendmsg sendmsg(MSG_DEALLOC_VGPRS)
	s_endpgm
	.section	.rodata,"a",@progbits
	.p2align	6, 0x0
	.amdhsa_kernel _ZN2at6native12_GLOBAL__N_125multi_tensor_apply_kernelINS1_18TensorListMetadataILi2EEENS1_24BinaryOpListAlphaFunctorIiLi2ELi2ELi0EEEJSt7dividesIiEiEEEvT_T0_DpT1_
		.amdhsa_group_segment_fixed_size 0
		.amdhsa_private_segment_fixed_size 0
		.amdhsa_kernarg_size 3408
		.amdhsa_user_sgpr_count 15
		.amdhsa_user_sgpr_dispatch_ptr 0
		.amdhsa_user_sgpr_queue_ptr 0
		.amdhsa_user_sgpr_kernarg_segment_ptr 1
		.amdhsa_user_sgpr_dispatch_id 0
		.amdhsa_user_sgpr_private_segment_size 0
		.amdhsa_wavefront_size32 1
		.amdhsa_uses_dynamic_stack 0
		.amdhsa_enable_private_segment 0
		.amdhsa_system_sgpr_workgroup_id_x 1
		.amdhsa_system_sgpr_workgroup_id_y 0
		.amdhsa_system_sgpr_workgroup_id_z 0
		.amdhsa_system_sgpr_workgroup_info 0
		.amdhsa_system_vgpr_workitem_id 0
		.amdhsa_next_free_vgpr 36
		.amdhsa_next_free_sgpr 24
		.amdhsa_reserve_vcc 1
		.amdhsa_float_round_mode_32 0
		.amdhsa_float_round_mode_16_64 0
		.amdhsa_float_denorm_mode_32 3
		.amdhsa_float_denorm_mode_16_64 3
		.amdhsa_dx10_clamp 1
		.amdhsa_ieee_mode 1
		.amdhsa_fp16_overflow 0
		.amdhsa_workgroup_processor_mode 1
		.amdhsa_memory_ordered 1
		.amdhsa_forward_progress 0
		.amdhsa_shared_vgpr_count 0
		.amdhsa_exception_fp_ieee_invalid_op 0
		.amdhsa_exception_fp_denorm_src 0
		.amdhsa_exception_fp_ieee_div_zero 0
		.amdhsa_exception_fp_ieee_overflow 0
		.amdhsa_exception_fp_ieee_underflow 0
		.amdhsa_exception_fp_ieee_inexact 0
		.amdhsa_exception_int_div_zero 0
	.end_amdhsa_kernel
	.section	.text._ZN2at6native12_GLOBAL__N_125multi_tensor_apply_kernelINS1_18TensorListMetadataILi2EEENS1_24BinaryOpListAlphaFunctorIiLi2ELi2ELi0EEEJSt7dividesIiEiEEEvT_T0_DpT1_,"axG",@progbits,_ZN2at6native12_GLOBAL__N_125multi_tensor_apply_kernelINS1_18TensorListMetadataILi2EEENS1_24BinaryOpListAlphaFunctorIiLi2ELi2ELi0EEEJSt7dividesIiEiEEEvT_T0_DpT1_,comdat
.Lfunc_end74:
	.size	_ZN2at6native12_GLOBAL__N_125multi_tensor_apply_kernelINS1_18TensorListMetadataILi2EEENS1_24BinaryOpListAlphaFunctorIiLi2ELi2ELi0EEEJSt7dividesIiEiEEEvT_T0_DpT1_, .Lfunc_end74-_ZN2at6native12_GLOBAL__N_125multi_tensor_apply_kernelINS1_18TensorListMetadataILi2EEENS1_24BinaryOpListAlphaFunctorIiLi2ELi2ELi0EEEJSt7dividesIiEiEEEvT_T0_DpT1_
                                        ; -- End function
	.section	.AMDGPU.csdata,"",@progbits
; Kernel info:
; codeLenInByte = 2892
; NumSgprs: 26
; NumVgprs: 36
; ScratchSize: 0
; MemoryBound: 0
; FloatMode: 240
; IeeeMode: 1
; LDSByteSize: 0 bytes/workgroup (compile time only)
; SGPRBlocks: 3
; VGPRBlocks: 4
; NumSGPRsForWavesPerEU: 26
; NumVGPRsForWavesPerEU: 36
; Occupancy: 16
; WaveLimiterHint : 0
; COMPUTE_PGM_RSRC2:SCRATCH_EN: 0
; COMPUTE_PGM_RSRC2:USER_SGPR: 15
; COMPUTE_PGM_RSRC2:TRAP_HANDLER: 0
; COMPUTE_PGM_RSRC2:TGID_X_EN: 1
; COMPUTE_PGM_RSRC2:TGID_Y_EN: 0
; COMPUTE_PGM_RSRC2:TGID_Z_EN: 0
; COMPUTE_PGM_RSRC2:TIDIG_COMP_CNT: 0
	.section	.text._ZN2at6native12_GLOBAL__N_125multi_tensor_apply_kernelINS1_18TensorListMetadataILi2EEENS1_24BinaryOpListAlphaFunctorIlLi2ELi2ELi0EEEJSt7dividesIlElEEEvT_T0_DpT1_,"axG",@progbits,_ZN2at6native12_GLOBAL__N_125multi_tensor_apply_kernelINS1_18TensorListMetadataILi2EEENS1_24BinaryOpListAlphaFunctorIlLi2ELi2ELi0EEEJSt7dividesIlElEEEvT_T0_DpT1_,comdat
	.globl	_ZN2at6native12_GLOBAL__N_125multi_tensor_apply_kernelINS1_18TensorListMetadataILi2EEENS1_24BinaryOpListAlphaFunctorIlLi2ELi2ELi0EEEJSt7dividesIlElEEEvT_T0_DpT1_ ; -- Begin function _ZN2at6native12_GLOBAL__N_125multi_tensor_apply_kernelINS1_18TensorListMetadataILi2EEENS1_24BinaryOpListAlphaFunctorIlLi2ELi2ELi0EEEJSt7dividesIlElEEEvT_T0_DpT1_
	.p2align	8
	.type	_ZN2at6native12_GLOBAL__N_125multi_tensor_apply_kernelINS1_18TensorListMetadataILi2EEENS1_24BinaryOpListAlphaFunctorIlLi2ELi2ELi0EEEJSt7dividesIlElEEEvT_T0_DpT1_,@function
_ZN2at6native12_GLOBAL__N_125multi_tensor_apply_kernelINS1_18TensorListMetadataILi2EEENS1_24BinaryOpListAlphaFunctorIlLi2ELi2ELi0EEEJSt7dividesIlElEEEvT_T0_DpT1_: ; @_ZN2at6native12_GLOBAL__N_125multi_tensor_apply_kernelINS1_18TensorListMetadataILi2EEENS1_24BinaryOpListAlphaFunctorIlLi2ELi2ELi0EEEJSt7dividesIlElEEEvT_T0_DpT1_
; %bb.0:
	v_mov_b32_e32 v1, s15
	s_add_u32 s2, s0, s15
	s_mul_hi_u32 s3, s15, 3
	s_mul_i32 s15, s15, 3
	s_addc_u32 s4, s1, 0
	global_load_u8 v1, v1, s[0:1] offset:1536
	s_add_u32 s2, s2, s15
	s_addc_u32 s3, s4, s3
	s_mov_b32 s21, 0
	s_load_b32 s10, s[2:3], 0x740
	s_mov_b32 s23, s21
	s_mov_b32 s25, s21
	s_waitcnt lgkmcnt(0)
	s_ashr_i32 s11, s10, 31
	s_delay_alu instid0(SALU_CYCLE_1) | instskip(SKIP_2) | instid1(VALU_DEP_1)
	s_lshl_b64 s[8:9], s[10:11], 19
	s_waitcnt vmcnt(0)
	v_readfirstlane_b32 s2, v1
	s_lshl_b32 s2, s2, 3
	s_clause 0x3
	s_load_b64 s[4:5], s[0:1], s2 offset:0x0
	s_load_b64 s[14:15], s[0:1], s2 offset:0x200
	;; [unrolled: 1-line block ×3, first 2 shown]
	s_load_b64 s[6:7], s[0:1], 0xc50
	s_mov_b32 s2, -1
	s_waitcnt lgkmcnt(0)
	s_add_u32 s3, s4, s8
	s_addc_u32 s12, s5, s9
	s_and_b32 s20, s3, 31
	s_add_u32 s13, s14, s8
	s_addc_u32 s16, s15, s9
	s_and_b32 s22, s18, 3
	s_and_b32 s24, s13, 31
	s_or_b64 s[20:21], s[20:21], s[22:23]
	s_lshl_b64 s[10:11], s[10:11], 16
	s_or_b64 s[20:21], s[24:25], s[20:21]
	s_sub_u32 s10, s18, s10
	s_subb_u32 s11, s19, s11
	s_cmp_eq_u64 s[20:21], 0
	s_cbranch_scc0 .LBB75_21
; %bb.1:
	v_mov_b32_e32 v17, 0
	v_lshlrev_b32_e32 v1, 2, v0
	s_mov_b32 s17, exec_lo
	s_delay_alu instid0(VALU_DEP_2) | instskip(NEXT) | instid1(VALU_DEP_1)
	v_mov_b32_e32 v2, v17
	v_cmpx_gt_i64_e64 s[10:11], v[1:2]
	s_cbranch_execz .LBB75_20
; %bb.2:
	s_load_b32 s2, s[0:1], 0xc64
	v_dual_mov_b32 v20, v17 :: v_dual_lshlrev_b32 v25, 5, v0
	s_mov_b32 s18, 0
	s_waitcnt lgkmcnt(0)
	s_and_b32 s2, s2, 0xffff
	s_delay_alu instid0(SALU_CYCLE_1)
	v_add_lshl_u32 v19, v0, s2, 2
	s_lshl_b32 s19, s2, 2
	s_lshl_b32 s20, s2, 5
	s_branch .LBB75_4
.LBB75_3:                               ;   in Loop: Header=BB75_4 Depth=1
	s_or_b32 exec_lo, exec_lo, s2
	v_cmp_le_i64_e32 vcc_lo, s[10:11], v[19:20]
	v_cmp_lt_u64_e64 s2, 0xffff, v[19:20]
	s_clause 0x1
	global_store_b128 v[21:22], v[5:8], off
	global_store_b128 v[21:22], v[9:12], off offset:16
	s_or_b32 s2, vcc_lo, s2
	s_add_u32 s3, s3, s20
	v_add_co_u32 v19, vcc_lo, v19, s19
	s_addc_u32 s12, s12, 0
	s_add_u32 s13, s13, s20
	v_add_co_ci_u32_e32 v20, vcc_lo, 0, v20, vcc_lo
	s_addc_u32 s16, s16, 0
	s_and_b32 s2, exec_lo, s2
	s_delay_alu instid0(SALU_CYCLE_1) | instskip(NEXT) | instid1(SALU_CYCLE_1)
	s_or_b32 s18, s2, s18
	s_and_not1_b32 exec_lo, exec_lo, s18
	s_cbranch_execz .LBB75_20
.LBB75_4:                               ; =>This Inner Loop Header: Depth=1
	v_add_co_u32 v1, s2, s13, v25
	s_delay_alu instid0(VALU_DEP_1) | instskip(SKIP_1) | instid1(VALU_DEP_1)
	v_add_co_ci_u32_e64 v2, null, s16, 0, s2
	v_add_co_u32 v21, s2, s3, v25
	v_add_co_ci_u32_e64 v22, null, s12, 0, s2
	global_load_b128 v[5:8], v[1:2], off
	global_load_b128 v[13:16], v[21:22], off
	global_load_b128 v[9:12], v[1:2], off offset:16
	global_load_b128 v[1:4], v[21:22], off offset:16
	s_mov_b32 s2, exec_lo
	s_waitcnt vmcnt(3)
	v_mul_lo_u32 v6, v6, s6
	v_mul_lo_u32 v18, v5, s7
	v_mad_u64_u32 v[23:24], null, v5, s6, 0
	s_delay_alu instid0(VALU_DEP_1) | instskip(SKIP_1) | instid1(VALU_DEP_1)
	v_add3_u32 v24, v24, v18, v6
                                        ; implicit-def: $vgpr5_vgpr6
	s_waitcnt vmcnt(2)
	v_or_b32_e32 v18, v14, v24
	s_delay_alu instid0(VALU_DEP_1)
	v_cmpx_ne_u64_e32 0, v[17:18]
	s_xor_b32 s21, exec_lo, s2
	s_cbranch_execz .LBB75_6
; %bb.5:                                ;   in Loop: Header=BB75_4 Depth=1
	v_ashrrev_i32_e32 v18, 31, v24
	s_delay_alu instid0(VALU_DEP_1) | instskip(SKIP_1) | instid1(VALU_DEP_2)
	v_add_co_u32 v5, vcc_lo, v23, v18
	v_add_co_ci_u32_e32 v6, vcc_lo, v24, v18, vcc_lo
	v_xor_b32_e32 v28, v5, v18
	s_delay_alu instid0(VALU_DEP_2) | instskip(NEXT) | instid1(VALU_DEP_2)
	v_xor_b32_e32 v29, v6, v18
	v_cvt_f32_u32_e32 v5, v28
	v_sub_co_u32 v30, vcc_lo, 0, v28
	s_delay_alu instid0(VALU_DEP_3) | instskip(SKIP_1) | instid1(VALU_DEP_2)
	v_cvt_f32_u32_e32 v6, v29
	v_sub_co_ci_u32_e32 v31, vcc_lo, 0, v29, vcc_lo
	v_fmac_f32_e32 v5, 0x4f800000, v6
	s_delay_alu instid0(VALU_DEP_1) | instskip(SKIP_2) | instid1(VALU_DEP_1)
	v_rcp_f32_e32 v5, v5
	s_waitcnt_depctr 0xfff
	v_mul_f32_e32 v5, 0x5f7ffffc, v5
	v_mul_f32_e32 v6, 0x2f800000, v5
	s_delay_alu instid0(VALU_DEP_1) | instskip(NEXT) | instid1(VALU_DEP_1)
	v_trunc_f32_e32 v6, v6
	v_fmac_f32_e32 v5, 0xcf800000, v6
	v_cvt_u32_f32_e32 v32, v6
	s_delay_alu instid0(VALU_DEP_2) | instskip(NEXT) | instid1(VALU_DEP_2)
	v_cvt_u32_f32_e32 v33, v5
	v_mul_lo_u32 v23, v30, v32
	s_delay_alu instid0(VALU_DEP_2) | instskip(SKIP_1) | instid1(VALU_DEP_1)
	v_mul_lo_u32 v24, v31, v33
	v_mad_u64_u32 v[5:6], null, v30, v33, 0
	v_add3_u32 v34, v6, v23, v24
	s_delay_alu instid0(VALU_DEP_2) | instskip(SKIP_1) | instid1(VALU_DEP_3)
	v_mul_hi_u32 v35, v33, v5
	v_mad_u64_u32 v[26:27], null, v32, v5, 0
	v_mad_u64_u32 v[23:24], null, v33, v34, 0
	;; [unrolled: 1-line block ×3, first 2 shown]
	s_delay_alu instid0(VALU_DEP_2) | instskip(NEXT) | instid1(VALU_DEP_3)
	v_add_co_u32 v23, vcc_lo, v35, v23
	v_add_co_ci_u32_e32 v24, vcc_lo, 0, v24, vcc_lo
	s_delay_alu instid0(VALU_DEP_2) | instskip(NEXT) | instid1(VALU_DEP_2)
	v_add_co_u32 v23, vcc_lo, v23, v26
	v_add_co_ci_u32_e32 v23, vcc_lo, v24, v27, vcc_lo
	v_add_co_ci_u32_e32 v6, vcc_lo, 0, v6, vcc_lo
	s_delay_alu instid0(VALU_DEP_2) | instskip(NEXT) | instid1(VALU_DEP_2)
	v_add_co_u32 v5, vcc_lo, v23, v5
	v_add_co_ci_u32_e32 v6, vcc_lo, 0, v6, vcc_lo
	s_delay_alu instid0(VALU_DEP_2) | instskip(NEXT) | instid1(VALU_DEP_2)
	v_add_co_u32 v33, vcc_lo, v33, v5
	v_add_co_ci_u32_e32 v32, vcc_lo, v32, v6, vcc_lo
	s_delay_alu instid0(VALU_DEP_2) | instskip(SKIP_1) | instid1(VALU_DEP_3)
	v_mul_lo_u32 v23, v31, v33
	v_mad_u64_u32 v[5:6], null, v30, v33, 0
	v_mul_lo_u32 v24, v30, v32
	s_delay_alu instid0(VALU_DEP_2) | instskip(SKIP_1) | instid1(VALU_DEP_3)
	v_mul_hi_u32 v31, v33, v5
	v_mad_u64_u32 v[26:27], null, v32, v5, 0
	v_add3_u32 v30, v6, v24, v23
	s_delay_alu instid0(VALU_DEP_1) | instskip(SKIP_2) | instid1(VALU_DEP_3)
	v_mad_u64_u32 v[23:24], null, v33, v30, 0
	v_mad_u64_u32 v[5:6], null, v32, v30, 0
	v_ashrrev_i32_e32 v30, 31, v14
	v_add_co_u32 v23, vcc_lo, v31, v23
	s_delay_alu instid0(VALU_DEP_4) | instskip(NEXT) | instid1(VALU_DEP_3)
	v_add_co_ci_u32_e32 v24, vcc_lo, 0, v24, vcc_lo
	v_xor_b32_e32 v18, v30, v18
	s_delay_alu instid0(VALU_DEP_3) | instskip(NEXT) | instid1(VALU_DEP_3)
	v_add_co_u32 v23, vcc_lo, v23, v26
	v_add_co_ci_u32_e32 v23, vcc_lo, v24, v27, vcc_lo
	v_add_co_ci_u32_e32 v6, vcc_lo, 0, v6, vcc_lo
	v_add_co_u32 v13, vcc_lo, v13, v30
	v_add_co_ci_u32_e32 v14, vcc_lo, v14, v30, vcc_lo
	s_delay_alu instid0(VALU_DEP_4) | instskip(NEXT) | instid1(VALU_DEP_4)
	v_add_co_u32 v5, vcc_lo, v23, v5
	v_add_co_ci_u32_e32 v6, vcc_lo, 0, v6, vcc_lo
	s_delay_alu instid0(VALU_DEP_4) | instskip(NEXT) | instid1(VALU_DEP_3)
	v_xor_b32_e32 v26, v13, v30
	v_add_co_u32 v23, vcc_lo, v33, v5
	s_delay_alu instid0(VALU_DEP_3) | instskip(SKIP_1) | instid1(VALU_DEP_3)
	v_add_co_ci_u32_e32 v27, vcc_lo, v32, v6, vcc_lo
	v_xor_b32_e32 v31, v14, v30
	v_mul_hi_u32 v32, v26, v23
	s_delay_alu instid0(VALU_DEP_3) | instskip(NEXT) | instid1(VALU_DEP_3)
	v_mad_u64_u32 v[5:6], null, v26, v27, 0
	v_mad_u64_u32 v[13:14], null, v31, v23, 0
	;; [unrolled: 1-line block ×3, first 2 shown]
	s_delay_alu instid0(VALU_DEP_3) | instskip(NEXT) | instid1(VALU_DEP_4)
	v_add_co_u32 v5, vcc_lo, v32, v5
	v_add_co_ci_u32_e32 v6, vcc_lo, 0, v6, vcc_lo
	s_delay_alu instid0(VALU_DEP_2) | instskip(NEXT) | instid1(VALU_DEP_2)
	v_add_co_u32 v5, vcc_lo, v5, v13
	v_add_co_ci_u32_e32 v5, vcc_lo, v6, v14, vcc_lo
	v_add_co_ci_u32_e32 v6, vcc_lo, 0, v24, vcc_lo
	s_delay_alu instid0(VALU_DEP_2) | instskip(NEXT) | instid1(VALU_DEP_2)
	v_add_co_u32 v13, vcc_lo, v5, v23
	v_add_co_ci_u32_e32 v14, vcc_lo, 0, v6, vcc_lo
	s_delay_alu instid0(VALU_DEP_2) | instskip(SKIP_1) | instid1(VALU_DEP_3)
	v_mul_lo_u32 v23, v29, v13
	v_mad_u64_u32 v[5:6], null, v28, v13, 0
	v_mul_lo_u32 v24, v28, v14
	s_delay_alu instid0(VALU_DEP_2) | instskip(NEXT) | instid1(VALU_DEP_2)
	v_sub_co_u32 v5, vcc_lo, v26, v5
	v_add3_u32 v6, v6, v24, v23
	s_delay_alu instid0(VALU_DEP_1) | instskip(NEXT) | instid1(VALU_DEP_1)
	v_sub_nc_u32_e32 v23, v31, v6
	v_sub_co_ci_u32_e64 v23, s2, v23, v29, vcc_lo
	v_add_co_u32 v24, s2, v13, 2
	s_delay_alu instid0(VALU_DEP_1) | instskip(SKIP_3) | instid1(VALU_DEP_3)
	v_add_co_ci_u32_e64 v26, s2, 0, v14, s2
	v_sub_co_u32 v27, s2, v5, v28
	v_sub_co_ci_u32_e32 v6, vcc_lo, v31, v6, vcc_lo
	v_subrev_co_ci_u32_e64 v23, s2, 0, v23, s2
	v_cmp_ge_u32_e32 vcc_lo, v27, v28
	s_delay_alu instid0(VALU_DEP_3) | instskip(SKIP_1) | instid1(VALU_DEP_4)
	v_cmp_eq_u32_e64 s2, v6, v29
	v_cndmask_b32_e64 v27, 0, -1, vcc_lo
	v_cmp_ge_u32_e32 vcc_lo, v23, v29
	v_cndmask_b32_e64 v31, 0, -1, vcc_lo
	v_cmp_ge_u32_e32 vcc_lo, v5, v28
	;; [unrolled: 2-line block ×3, first 2 shown]
	v_cndmask_b32_e64 v28, 0, -1, vcc_lo
	v_cmp_eq_u32_e32 vcc_lo, v23, v29
	s_delay_alu instid0(VALU_DEP_2) | instskip(SKIP_3) | instid1(VALU_DEP_3)
	v_cndmask_b32_e64 v5, v28, v5, s2
	v_cndmask_b32_e32 v23, v31, v27, vcc_lo
	v_add_co_u32 v27, vcc_lo, v13, 1
	v_add_co_ci_u32_e32 v31, vcc_lo, 0, v14, vcc_lo
	v_cmp_ne_u32_e32 vcc_lo, 0, v23
	s_delay_alu instid0(VALU_DEP_2) | instskip(NEXT) | instid1(VALU_DEP_4)
	v_cndmask_b32_e32 v6, v31, v26, vcc_lo
	v_cndmask_b32_e32 v23, v27, v24, vcc_lo
	v_cmp_ne_u32_e32 vcc_lo, 0, v5
	s_delay_alu instid0(VALU_DEP_2) | instskip(NEXT) | instid1(VALU_DEP_1)
	v_dual_cndmask_b32 v5, v14, v6 :: v_dual_cndmask_b32 v6, v13, v23
                                        ; implicit-def: $vgpr23_vgpr24
	v_xor_b32_e32 v13, v5, v18
	s_delay_alu instid0(VALU_DEP_2) | instskip(NEXT) | instid1(VALU_DEP_1)
	v_xor_b32_e32 v6, v6, v18
	v_sub_co_u32 v5, vcc_lo, v6, v18
	s_delay_alu instid0(VALU_DEP_3)
	v_sub_co_ci_u32_e32 v6, vcc_lo, v13, v18, vcc_lo
.LBB75_6:                               ;   in Loop: Header=BB75_4 Depth=1
	s_and_not1_saveexec_b32 s2, s21
	s_cbranch_execz .LBB75_8
; %bb.7:                                ;   in Loop: Header=BB75_4 Depth=1
	v_cvt_f32_u32_e32 v5, v23
	v_sub_nc_u32_e32 v6, 0, v23
	s_delay_alu instid0(VALU_DEP_2) | instskip(SKIP_2) | instid1(VALU_DEP_1)
	v_rcp_iflag_f32_e32 v5, v5
	s_waitcnt_depctr 0xfff
	v_mul_f32_e32 v5, 0x4f7ffffe, v5
	v_cvt_u32_f32_e32 v5, v5
	s_delay_alu instid0(VALU_DEP_1) | instskip(NEXT) | instid1(VALU_DEP_1)
	v_mul_lo_u32 v6, v6, v5
	v_mul_hi_u32 v6, v5, v6
	s_delay_alu instid0(VALU_DEP_1) | instskip(NEXT) | instid1(VALU_DEP_1)
	v_add_nc_u32_e32 v5, v5, v6
	v_mul_hi_u32 v5, v13, v5
	s_delay_alu instid0(VALU_DEP_1) | instskip(NEXT) | instid1(VALU_DEP_1)
	v_mul_lo_u32 v6, v5, v23
	v_sub_nc_u32_e32 v6, v13, v6
	v_add_nc_u32_e32 v13, 1, v5
	s_delay_alu instid0(VALU_DEP_2) | instskip(SKIP_1) | instid1(VALU_DEP_2)
	v_sub_nc_u32_e32 v14, v6, v23
	v_cmp_ge_u32_e32 vcc_lo, v6, v23
	v_dual_cndmask_b32 v6, v6, v14 :: v_dual_cndmask_b32 v5, v5, v13
	s_delay_alu instid0(VALU_DEP_1) | instskip(NEXT) | instid1(VALU_DEP_2)
	v_cmp_ge_u32_e32 vcc_lo, v6, v23
	v_dual_mov_b32 v6, v17 :: v_dual_add_nc_u32 v13, 1, v5
	s_delay_alu instid0(VALU_DEP_1)
	v_cndmask_b32_e32 v5, v5, v13, vcc_lo
.LBB75_8:                               ;   in Loop: Header=BB75_4 Depth=1
	s_or_b32 exec_lo, exec_lo, s2
	v_mul_lo_u32 v8, v8, s6
	v_mul_lo_u32 v18, v7, s7
	v_mad_u64_u32 v[13:14], null, v7, s6, 0
	s_mov_b32 s2, exec_lo
	s_delay_alu instid0(VALU_DEP_1) | instskip(NEXT) | instid1(VALU_DEP_1)
	v_add3_u32 v14, v14, v18, v8
	v_or_b32_e32 v18, v16, v14
	s_delay_alu instid0(VALU_DEP_1)
	v_cmpx_ne_u64_e32 0, v[17:18]
	s_xor_b32 s21, exec_lo, s2
	s_cbranch_execz .LBB75_10
; %bb.9:                                ;   in Loop: Header=BB75_4 Depth=1
	v_ashrrev_i32_e32 v18, 31, v14
	s_delay_alu instid0(VALU_DEP_1) | instskip(SKIP_1) | instid1(VALU_DEP_2)
	v_add_co_u32 v7, vcc_lo, v13, v18
	v_add_co_ci_u32_e32 v8, vcc_lo, v14, v18, vcc_lo
	v_xor_b32_e32 v26, v7, v18
	s_delay_alu instid0(VALU_DEP_2) | instskip(NEXT) | instid1(VALU_DEP_2)
	v_xor_b32_e32 v27, v8, v18
	v_cvt_f32_u32_e32 v7, v26
	v_sub_co_u32 v28, vcc_lo, 0, v26
	s_delay_alu instid0(VALU_DEP_3) | instskip(SKIP_1) | instid1(VALU_DEP_2)
	v_cvt_f32_u32_e32 v8, v27
	v_sub_co_ci_u32_e32 v29, vcc_lo, 0, v27, vcc_lo
	v_fmac_f32_e32 v7, 0x4f800000, v8
	s_delay_alu instid0(VALU_DEP_1) | instskip(SKIP_2) | instid1(VALU_DEP_1)
	v_rcp_f32_e32 v7, v7
	s_waitcnt_depctr 0xfff
	v_mul_f32_e32 v7, 0x5f7ffffc, v7
	v_mul_f32_e32 v8, 0x2f800000, v7
	s_delay_alu instid0(VALU_DEP_1) | instskip(NEXT) | instid1(VALU_DEP_1)
	v_trunc_f32_e32 v8, v8
	v_fmac_f32_e32 v7, 0xcf800000, v8
	v_cvt_u32_f32_e32 v30, v8
	s_delay_alu instid0(VALU_DEP_2) | instskip(NEXT) | instid1(VALU_DEP_2)
	v_cvt_u32_f32_e32 v31, v7
	v_mul_lo_u32 v13, v28, v30
	s_delay_alu instid0(VALU_DEP_2) | instskip(SKIP_1) | instid1(VALU_DEP_1)
	v_mul_lo_u32 v14, v29, v31
	v_mad_u64_u32 v[7:8], null, v28, v31, 0
	v_add3_u32 v32, v8, v13, v14
	s_delay_alu instid0(VALU_DEP_2) | instskip(SKIP_1) | instid1(VALU_DEP_3)
	v_mul_hi_u32 v33, v31, v7
	v_mad_u64_u32 v[23:24], null, v30, v7, 0
	v_mad_u64_u32 v[13:14], null, v31, v32, 0
	;; [unrolled: 1-line block ×3, first 2 shown]
	s_delay_alu instid0(VALU_DEP_2) | instskip(NEXT) | instid1(VALU_DEP_3)
	v_add_co_u32 v13, vcc_lo, v33, v13
	v_add_co_ci_u32_e32 v14, vcc_lo, 0, v14, vcc_lo
	s_delay_alu instid0(VALU_DEP_2) | instskip(NEXT) | instid1(VALU_DEP_2)
	v_add_co_u32 v13, vcc_lo, v13, v23
	v_add_co_ci_u32_e32 v13, vcc_lo, v14, v24, vcc_lo
	v_add_co_ci_u32_e32 v8, vcc_lo, 0, v8, vcc_lo
	s_delay_alu instid0(VALU_DEP_2) | instskip(NEXT) | instid1(VALU_DEP_2)
	v_add_co_u32 v7, vcc_lo, v13, v7
	v_add_co_ci_u32_e32 v8, vcc_lo, 0, v8, vcc_lo
	s_delay_alu instid0(VALU_DEP_2) | instskip(NEXT) | instid1(VALU_DEP_2)
	v_add_co_u32 v31, vcc_lo, v31, v7
	v_add_co_ci_u32_e32 v30, vcc_lo, v30, v8, vcc_lo
	s_delay_alu instid0(VALU_DEP_2) | instskip(SKIP_1) | instid1(VALU_DEP_3)
	v_mul_lo_u32 v13, v29, v31
	v_mad_u64_u32 v[7:8], null, v28, v31, 0
	v_mul_lo_u32 v14, v28, v30
	s_delay_alu instid0(VALU_DEP_2) | instskip(SKIP_1) | instid1(VALU_DEP_3)
	v_mul_hi_u32 v29, v31, v7
	v_mad_u64_u32 v[23:24], null, v30, v7, 0
	v_add3_u32 v28, v8, v14, v13
	s_delay_alu instid0(VALU_DEP_1) | instskip(SKIP_2) | instid1(VALU_DEP_3)
	v_mad_u64_u32 v[13:14], null, v31, v28, 0
	v_mad_u64_u32 v[7:8], null, v30, v28, 0
	v_ashrrev_i32_e32 v28, 31, v16
	v_add_co_u32 v13, vcc_lo, v29, v13
	s_delay_alu instid0(VALU_DEP_4) | instskip(NEXT) | instid1(VALU_DEP_2)
	v_add_co_ci_u32_e32 v14, vcc_lo, 0, v14, vcc_lo
	v_add_co_u32 v13, vcc_lo, v13, v23
	s_delay_alu instid0(VALU_DEP_2) | instskip(SKIP_3) | instid1(VALU_DEP_4)
	v_add_co_ci_u32_e32 v13, vcc_lo, v14, v24, vcc_lo
	v_add_co_ci_u32_e32 v8, vcc_lo, 0, v8, vcc_lo
	v_add_co_u32 v14, vcc_lo, v15, v28
	v_add_co_ci_u32_e32 v15, vcc_lo, v16, v28, vcc_lo
	v_add_co_u32 v7, vcc_lo, v13, v7
	s_delay_alu instid0(VALU_DEP_4) | instskip(NEXT) | instid1(VALU_DEP_4)
	v_add_co_ci_u32_e32 v8, vcc_lo, 0, v8, vcc_lo
	v_xor_b32_e32 v23, v14, v28
	s_delay_alu instid0(VALU_DEP_3) | instskip(NEXT) | instid1(VALU_DEP_3)
	v_add_co_u32 v16, vcc_lo, v31, v7
	v_add_co_ci_u32_e32 v24, vcc_lo, v30, v8, vcc_lo
	v_xor_b32_e32 v29, v15, v28
	s_delay_alu instid0(VALU_DEP_3) | instskip(NEXT) | instid1(VALU_DEP_3)
	v_mul_hi_u32 v30, v23, v16
	v_mad_u64_u32 v[7:8], null, v23, v24, 0
	s_delay_alu instid0(VALU_DEP_3) | instskip(SKIP_1) | instid1(VALU_DEP_3)
	v_mad_u64_u32 v[13:14], null, v29, v16, 0
	v_mad_u64_u32 v[15:16], null, v29, v24, 0
	v_add_co_u32 v7, vcc_lo, v30, v7
	s_delay_alu instid0(VALU_DEP_4) | instskip(NEXT) | instid1(VALU_DEP_2)
	v_add_co_ci_u32_e32 v8, vcc_lo, 0, v8, vcc_lo
	v_add_co_u32 v7, vcc_lo, v7, v13
	s_delay_alu instid0(VALU_DEP_2) | instskip(SKIP_1) | instid1(VALU_DEP_2)
	v_add_co_ci_u32_e32 v7, vcc_lo, v8, v14, vcc_lo
	v_add_co_ci_u32_e32 v8, vcc_lo, 0, v16, vcc_lo
	v_add_co_u32 v13, vcc_lo, v7, v15
	s_delay_alu instid0(VALU_DEP_2) | instskip(NEXT) | instid1(VALU_DEP_2)
	v_add_co_ci_u32_e32 v14, vcc_lo, 0, v8, vcc_lo
	v_mul_lo_u32 v15, v27, v13
	v_mad_u64_u32 v[7:8], null, v26, v13, 0
	s_delay_alu instid0(VALU_DEP_3) | instskip(NEXT) | instid1(VALU_DEP_2)
	v_mul_lo_u32 v16, v26, v14
	v_sub_co_u32 v7, vcc_lo, v23, v7
	s_delay_alu instid0(VALU_DEP_2) | instskip(NEXT) | instid1(VALU_DEP_1)
	v_add3_u32 v8, v8, v16, v15
	v_sub_nc_u32_e32 v15, v29, v8
	s_delay_alu instid0(VALU_DEP_1) | instskip(SKIP_1) | instid1(VALU_DEP_1)
	v_sub_co_ci_u32_e64 v15, s2, v15, v27, vcc_lo
	v_add_co_u32 v16, s2, v13, 2
	v_add_co_ci_u32_e64 v23, s2, 0, v14, s2
	v_sub_co_u32 v24, s2, v7, v26
	v_sub_co_ci_u32_e32 v8, vcc_lo, v29, v8, vcc_lo
	v_subrev_co_ci_u32_e64 v15, s2, 0, v15, s2
	s_delay_alu instid0(VALU_DEP_3) | instskip(NEXT) | instid1(VALU_DEP_3)
	v_cmp_ge_u32_e32 vcc_lo, v24, v26
	v_cmp_eq_u32_e64 s2, v8, v27
	v_cndmask_b32_e64 v24, 0, -1, vcc_lo
	s_delay_alu instid0(VALU_DEP_4)
	v_cmp_ge_u32_e32 vcc_lo, v15, v27
	v_cndmask_b32_e64 v29, 0, -1, vcc_lo
	v_cmp_ge_u32_e32 vcc_lo, v7, v26
	v_cndmask_b32_e64 v7, 0, -1, vcc_lo
	;; [unrolled: 2-line block ×3, first 2 shown]
	v_cmp_eq_u32_e32 vcc_lo, v15, v27
	s_delay_alu instid0(VALU_DEP_2) | instskip(SKIP_3) | instid1(VALU_DEP_3)
	v_cndmask_b32_e64 v7, v26, v7, s2
	v_cndmask_b32_e32 v15, v29, v24, vcc_lo
	v_add_co_u32 v24, vcc_lo, v13, 1
	v_add_co_ci_u32_e32 v29, vcc_lo, 0, v14, vcc_lo
	v_cmp_ne_u32_e32 vcc_lo, 0, v15
	s_delay_alu instid0(VALU_DEP_2) | instskip(SKIP_2) | instid1(VALU_DEP_3)
	v_dual_cndmask_b32 v8, v29, v23 :: v_dual_cndmask_b32 v15, v24, v16
	v_cmp_ne_u32_e32 vcc_lo, 0, v7
	v_xor_b32_e32 v16, v28, v18
	v_dual_cndmask_b32 v7, v14, v8 :: v_dual_cndmask_b32 v8, v13, v15
	s_delay_alu instid0(VALU_DEP_1) | instskip(NEXT) | instid1(VALU_DEP_2)
	v_xor_b32_e32 v13, v7, v16
	v_xor_b32_e32 v8, v8, v16
	s_delay_alu instid0(VALU_DEP_1) | instskip(NEXT) | instid1(VALU_DEP_3)
	v_sub_co_u32 v7, vcc_lo, v8, v16
	v_sub_co_ci_u32_e32 v8, vcc_lo, v13, v16, vcc_lo
                                        ; implicit-def: $vgpr13_vgpr14
                                        ; implicit-def: $vgpr15_vgpr16
.LBB75_10:                              ;   in Loop: Header=BB75_4 Depth=1
	s_and_not1_saveexec_b32 s2, s21
	s_cbranch_execz .LBB75_12
; %bb.11:                               ;   in Loop: Header=BB75_4 Depth=1
	v_cvt_f32_u32_e32 v7, v13
	v_sub_nc_u32_e32 v8, 0, v13
	s_delay_alu instid0(VALU_DEP_2) | instskip(SKIP_2) | instid1(VALU_DEP_1)
	v_rcp_iflag_f32_e32 v7, v7
	s_waitcnt_depctr 0xfff
	v_mul_f32_e32 v7, 0x4f7ffffe, v7
	v_cvt_u32_f32_e32 v7, v7
	s_delay_alu instid0(VALU_DEP_1) | instskip(NEXT) | instid1(VALU_DEP_1)
	v_mul_lo_u32 v8, v8, v7
	v_mul_hi_u32 v8, v7, v8
	s_delay_alu instid0(VALU_DEP_1) | instskip(NEXT) | instid1(VALU_DEP_1)
	v_add_nc_u32_e32 v7, v7, v8
	v_mul_hi_u32 v7, v15, v7
	s_delay_alu instid0(VALU_DEP_1) | instskip(SKIP_1) | instid1(VALU_DEP_2)
	v_mul_lo_u32 v8, v7, v13
	v_add_nc_u32_e32 v14, 1, v7
	v_sub_nc_u32_e32 v8, v15, v8
	s_delay_alu instid0(VALU_DEP_1) | instskip(SKIP_1) | instid1(VALU_DEP_2)
	v_sub_nc_u32_e32 v15, v8, v13
	v_cmp_ge_u32_e32 vcc_lo, v8, v13
	v_dual_cndmask_b32 v8, v8, v15 :: v_dual_cndmask_b32 v7, v7, v14
	s_delay_alu instid0(VALU_DEP_1) | instskip(NEXT) | instid1(VALU_DEP_2)
	v_cmp_ge_u32_e32 vcc_lo, v8, v13
	v_add_nc_u32_e32 v14, 1, v7
	s_delay_alu instid0(VALU_DEP_1)
	v_dual_mov_b32 v8, v17 :: v_dual_cndmask_b32 v7, v7, v14
.LBB75_12:                              ;   in Loop: Header=BB75_4 Depth=1
	s_or_b32 exec_lo, exec_lo, s2
	s_waitcnt vmcnt(1)
	v_mul_lo_u32 v10, v10, s6
	v_mul_lo_u32 v15, v9, s7
	v_mad_u64_u32 v[13:14], null, v9, s6, 0
	s_mov_b32 s2, exec_lo
	s_delay_alu instid0(VALU_DEP_1) | instskip(SKIP_1) | instid1(VALU_DEP_1)
	v_add3_u32 v14, v14, v15, v10
                                        ; implicit-def: $vgpr9_vgpr10
	s_waitcnt vmcnt(0)
	v_or_b32_e32 v18, v2, v14
	s_delay_alu instid0(VALU_DEP_1)
	v_cmpx_ne_u64_e32 0, v[17:18]
	s_xor_b32 s21, exec_lo, s2
	s_cbranch_execz .LBB75_14
; %bb.13:                               ;   in Loop: Header=BB75_4 Depth=1
	v_ashrrev_i32_e32 v18, 31, v14
	s_delay_alu instid0(VALU_DEP_1) | instskip(SKIP_1) | instid1(VALU_DEP_2)
	v_add_co_u32 v9, vcc_lo, v13, v18
	v_add_co_ci_u32_e32 v10, vcc_lo, v14, v18, vcc_lo
	v_xor_b32_e32 v23, v9, v18
	s_delay_alu instid0(VALU_DEP_2) | instskip(NEXT) | instid1(VALU_DEP_2)
	v_xor_b32_e32 v24, v10, v18
	v_cvt_f32_u32_e32 v9, v23
	v_sub_co_u32 v26, vcc_lo, 0, v23
	s_delay_alu instid0(VALU_DEP_3) | instskip(SKIP_1) | instid1(VALU_DEP_2)
	v_cvt_f32_u32_e32 v10, v24
	v_sub_co_ci_u32_e32 v27, vcc_lo, 0, v24, vcc_lo
	v_fmac_f32_e32 v9, 0x4f800000, v10
	s_delay_alu instid0(VALU_DEP_1) | instskip(SKIP_2) | instid1(VALU_DEP_1)
	v_rcp_f32_e32 v9, v9
	s_waitcnt_depctr 0xfff
	v_mul_f32_e32 v9, 0x5f7ffffc, v9
	v_mul_f32_e32 v10, 0x2f800000, v9
	s_delay_alu instid0(VALU_DEP_1) | instskip(NEXT) | instid1(VALU_DEP_1)
	v_trunc_f32_e32 v10, v10
	v_fmac_f32_e32 v9, 0xcf800000, v10
	v_cvt_u32_f32_e32 v28, v10
	s_delay_alu instid0(VALU_DEP_2) | instskip(NEXT) | instid1(VALU_DEP_2)
	v_cvt_u32_f32_e32 v29, v9
	v_mul_lo_u32 v13, v26, v28
	s_delay_alu instid0(VALU_DEP_2) | instskip(SKIP_1) | instid1(VALU_DEP_1)
	v_mul_lo_u32 v14, v27, v29
	v_mad_u64_u32 v[9:10], null, v26, v29, 0
	v_add3_u32 v30, v10, v13, v14
	s_delay_alu instid0(VALU_DEP_2) | instskip(SKIP_1) | instid1(VALU_DEP_3)
	v_mul_hi_u32 v31, v29, v9
	v_mad_u64_u32 v[15:16], null, v28, v9, 0
	v_mad_u64_u32 v[13:14], null, v29, v30, 0
	;; [unrolled: 1-line block ×3, first 2 shown]
	s_delay_alu instid0(VALU_DEP_2) | instskip(NEXT) | instid1(VALU_DEP_3)
	v_add_co_u32 v13, vcc_lo, v31, v13
	v_add_co_ci_u32_e32 v14, vcc_lo, 0, v14, vcc_lo
	s_delay_alu instid0(VALU_DEP_2) | instskip(NEXT) | instid1(VALU_DEP_2)
	v_add_co_u32 v13, vcc_lo, v13, v15
	v_add_co_ci_u32_e32 v13, vcc_lo, v14, v16, vcc_lo
	v_add_co_ci_u32_e32 v10, vcc_lo, 0, v10, vcc_lo
	s_delay_alu instid0(VALU_DEP_2) | instskip(NEXT) | instid1(VALU_DEP_2)
	v_add_co_u32 v9, vcc_lo, v13, v9
	v_add_co_ci_u32_e32 v10, vcc_lo, 0, v10, vcc_lo
	s_delay_alu instid0(VALU_DEP_2) | instskip(NEXT) | instid1(VALU_DEP_2)
	v_add_co_u32 v29, vcc_lo, v29, v9
	v_add_co_ci_u32_e32 v28, vcc_lo, v28, v10, vcc_lo
	s_delay_alu instid0(VALU_DEP_2) | instskip(SKIP_1) | instid1(VALU_DEP_3)
	v_mul_lo_u32 v13, v27, v29
	v_mad_u64_u32 v[9:10], null, v26, v29, 0
	v_mul_lo_u32 v14, v26, v28
	s_delay_alu instid0(VALU_DEP_2) | instskip(SKIP_1) | instid1(VALU_DEP_3)
	v_mul_hi_u32 v27, v29, v9
	v_mad_u64_u32 v[15:16], null, v28, v9, 0
	v_add3_u32 v26, v10, v14, v13
	s_delay_alu instid0(VALU_DEP_1) | instskip(SKIP_2) | instid1(VALU_DEP_3)
	v_mad_u64_u32 v[13:14], null, v29, v26, 0
	v_mad_u64_u32 v[9:10], null, v28, v26, 0
	v_ashrrev_i32_e32 v26, 31, v2
	v_add_co_u32 v13, vcc_lo, v27, v13
	s_delay_alu instid0(VALU_DEP_4) | instskip(NEXT) | instid1(VALU_DEP_2)
	v_add_co_ci_u32_e32 v14, vcc_lo, 0, v14, vcc_lo
	v_add_co_u32 v13, vcc_lo, v13, v15
	s_delay_alu instid0(VALU_DEP_2) | instskip(SKIP_3) | instid1(VALU_DEP_4)
	v_add_co_ci_u32_e32 v13, vcc_lo, v14, v16, vcc_lo
	v_add_co_ci_u32_e32 v10, vcc_lo, 0, v10, vcc_lo
	v_add_co_u32 v1, vcc_lo, v1, v26
	v_add_co_ci_u32_e32 v2, vcc_lo, v2, v26, vcc_lo
	v_add_co_u32 v9, vcc_lo, v13, v9
	s_delay_alu instid0(VALU_DEP_4) | instskip(NEXT) | instid1(VALU_DEP_4)
	v_add_co_ci_u32_e32 v10, vcc_lo, 0, v10, vcc_lo
	v_xor_b32_e32 v15, v1, v26
	s_delay_alu instid0(VALU_DEP_3) | instskip(NEXT) | instid1(VALU_DEP_3)
	v_add_co_u32 v13, vcc_lo, v29, v9
	v_add_co_ci_u32_e32 v16, vcc_lo, v28, v10, vcc_lo
	v_xor_b32_e32 v27, v2, v26
	s_delay_alu instid0(VALU_DEP_3) | instskip(NEXT) | instid1(VALU_DEP_3)
	v_mul_hi_u32 v28, v15, v13
	v_mad_u64_u32 v[1:2], null, v15, v16, 0
	s_delay_alu instid0(VALU_DEP_3) | instskip(SKIP_1) | instid1(VALU_DEP_3)
	v_mad_u64_u32 v[9:10], null, v27, v13, 0
	v_mad_u64_u32 v[13:14], null, v27, v16, 0
	v_add_co_u32 v1, vcc_lo, v28, v1
	s_delay_alu instid0(VALU_DEP_4) | instskip(NEXT) | instid1(VALU_DEP_2)
	v_add_co_ci_u32_e32 v2, vcc_lo, 0, v2, vcc_lo
	v_add_co_u32 v1, vcc_lo, v1, v9
	s_delay_alu instid0(VALU_DEP_2) | instskip(SKIP_1) | instid1(VALU_DEP_2)
	v_add_co_ci_u32_e32 v1, vcc_lo, v2, v10, vcc_lo
	v_add_co_ci_u32_e32 v2, vcc_lo, 0, v14, vcc_lo
	v_add_co_u32 v9, vcc_lo, v1, v13
	s_delay_alu instid0(VALU_DEP_2) | instskip(NEXT) | instid1(VALU_DEP_2)
	v_add_co_ci_u32_e32 v10, vcc_lo, 0, v2, vcc_lo
	v_mul_lo_u32 v13, v24, v9
	v_mad_u64_u32 v[1:2], null, v23, v9, 0
	s_delay_alu instid0(VALU_DEP_3) | instskip(NEXT) | instid1(VALU_DEP_2)
	v_mul_lo_u32 v14, v23, v10
	v_sub_co_u32 v1, vcc_lo, v15, v1
	s_delay_alu instid0(VALU_DEP_2) | instskip(NEXT) | instid1(VALU_DEP_1)
	v_add3_u32 v2, v2, v14, v13
	v_sub_nc_u32_e32 v13, v27, v2
	s_delay_alu instid0(VALU_DEP_1) | instskip(SKIP_1) | instid1(VALU_DEP_1)
	v_sub_co_ci_u32_e64 v13, s2, v13, v24, vcc_lo
	v_add_co_u32 v14, s2, v9, 2
	v_add_co_ci_u32_e64 v15, s2, 0, v10, s2
	v_sub_co_u32 v16, s2, v1, v23
	v_sub_co_ci_u32_e32 v2, vcc_lo, v27, v2, vcc_lo
	v_subrev_co_ci_u32_e64 v13, s2, 0, v13, s2
	s_delay_alu instid0(VALU_DEP_3) | instskip(NEXT) | instid1(VALU_DEP_3)
	v_cmp_ge_u32_e32 vcc_lo, v16, v23
	v_cmp_eq_u32_e64 s2, v2, v24
	v_cndmask_b32_e64 v16, 0, -1, vcc_lo
	s_delay_alu instid0(VALU_DEP_4)
	v_cmp_ge_u32_e32 vcc_lo, v13, v24
	v_cndmask_b32_e64 v27, 0, -1, vcc_lo
	v_cmp_ge_u32_e32 vcc_lo, v1, v23
	v_cndmask_b32_e64 v1, 0, -1, vcc_lo
	;; [unrolled: 2-line block ×3, first 2 shown]
	v_cmp_eq_u32_e32 vcc_lo, v13, v24
	s_delay_alu instid0(VALU_DEP_2) | instskip(SKIP_3) | instid1(VALU_DEP_3)
	v_cndmask_b32_e64 v1, v23, v1, s2
	v_cndmask_b32_e32 v13, v27, v16, vcc_lo
	v_add_co_u32 v16, vcc_lo, v9, 1
	v_add_co_ci_u32_e32 v27, vcc_lo, 0, v10, vcc_lo
	v_cmp_ne_u32_e32 vcc_lo, 0, v13
	s_delay_alu instid0(VALU_DEP_2) | instskip(SKIP_2) | instid1(VALU_DEP_3)
	v_dual_cndmask_b32 v2, v27, v15 :: v_dual_cndmask_b32 v13, v16, v14
	v_cmp_ne_u32_e32 vcc_lo, 0, v1
	v_xor_b32_e32 v1, v26, v18
	v_dual_cndmask_b32 v9, v9, v13 :: v_dual_cndmask_b32 v2, v10, v2
                                        ; implicit-def: $vgpr13_vgpr14
	s_delay_alu instid0(VALU_DEP_1) | instskip(NEXT) | instid1(VALU_DEP_2)
	v_xor_b32_e32 v9, v9, v1
	v_xor_b32_e32 v2, v2, v1
	s_delay_alu instid0(VALU_DEP_2) | instskip(NEXT) | instid1(VALU_DEP_2)
	v_sub_co_u32 v9, vcc_lo, v9, v1
	v_sub_co_ci_u32_e32 v10, vcc_lo, v2, v1, vcc_lo
.LBB75_14:                              ;   in Loop: Header=BB75_4 Depth=1
	s_and_not1_saveexec_b32 s2, s21
	s_cbranch_execz .LBB75_16
; %bb.15:                               ;   in Loop: Header=BB75_4 Depth=1
	v_cvt_f32_u32_e32 v2, v13
	v_sub_nc_u32_e32 v9, 0, v13
	s_delay_alu instid0(VALU_DEP_2) | instskip(SKIP_2) | instid1(VALU_DEP_1)
	v_rcp_iflag_f32_e32 v2, v2
	s_waitcnt_depctr 0xfff
	v_mul_f32_e32 v2, 0x4f7ffffe, v2
	v_cvt_u32_f32_e32 v2, v2
	s_delay_alu instid0(VALU_DEP_1) | instskip(NEXT) | instid1(VALU_DEP_1)
	v_mul_lo_u32 v9, v9, v2
	v_mul_hi_u32 v9, v2, v9
	s_delay_alu instid0(VALU_DEP_1) | instskip(NEXT) | instid1(VALU_DEP_1)
	v_add_nc_u32_e32 v2, v2, v9
	v_mul_hi_u32 v2, v1, v2
	s_delay_alu instid0(VALU_DEP_1) | instskip(NEXT) | instid1(VALU_DEP_1)
	v_mul_lo_u32 v9, v2, v13
	v_sub_nc_u32_e32 v1, v1, v9
	v_add_nc_u32_e32 v9, 1, v2
	s_delay_alu instid0(VALU_DEP_2) | instskip(SKIP_1) | instid1(VALU_DEP_2)
	v_sub_nc_u32_e32 v10, v1, v13
	v_cmp_ge_u32_e32 vcc_lo, v1, v13
	v_cndmask_b32_e32 v1, v1, v10, vcc_lo
	v_mov_b32_e32 v10, v17
	v_cndmask_b32_e32 v2, v2, v9, vcc_lo
	s_delay_alu instid0(VALU_DEP_3) | instskip(NEXT) | instid1(VALU_DEP_2)
	v_cmp_ge_u32_e32 vcc_lo, v1, v13
	v_add_nc_u32_e32 v9, 1, v2
	s_delay_alu instid0(VALU_DEP_1)
	v_cndmask_b32_e32 v9, v2, v9, vcc_lo
.LBB75_16:                              ;   in Loop: Header=BB75_4 Depth=1
	s_or_b32 exec_lo, exec_lo, s2
	v_mul_lo_u32 v12, v12, s6
	v_mul_lo_u32 v13, v11, s7
	v_mad_u64_u32 v[1:2], null, v11, s6, 0
	s_mov_b32 s2, exec_lo
	s_delay_alu instid0(VALU_DEP_1) | instskip(NEXT) | instid1(VALU_DEP_1)
	v_add3_u32 v2, v2, v13, v12
	v_or_b32_e32 v18, v4, v2
	s_delay_alu instid0(VALU_DEP_1)
	v_cmpx_ne_u64_e32 0, v[17:18]
	s_xor_b32 s21, exec_lo, s2
	s_cbranch_execz .LBB75_18
; %bb.17:                               ;   in Loop: Header=BB75_4 Depth=1
	v_ashrrev_i32_e32 v15, 31, v2
	s_delay_alu instid0(VALU_DEP_1) | instskip(SKIP_1) | instid1(VALU_DEP_2)
	v_add_co_u32 v1, vcc_lo, v1, v15
	v_add_co_ci_u32_e32 v2, vcc_lo, v2, v15, vcc_lo
	v_xor_b32_e32 v16, v1, v15
	s_delay_alu instid0(VALU_DEP_2) | instskip(NEXT) | instid1(VALU_DEP_2)
	v_xor_b32_e32 v18, v2, v15
	v_cvt_f32_u32_e32 v1, v16
	v_sub_co_u32 v23, vcc_lo, 0, v16
	s_delay_alu instid0(VALU_DEP_3) | instskip(SKIP_1) | instid1(VALU_DEP_2)
	v_cvt_f32_u32_e32 v2, v18
	v_sub_co_ci_u32_e32 v24, vcc_lo, 0, v18, vcc_lo
	v_fmac_f32_e32 v1, 0x4f800000, v2
	s_delay_alu instid0(VALU_DEP_1) | instskip(SKIP_2) | instid1(VALU_DEP_1)
	v_rcp_f32_e32 v1, v1
	s_waitcnt_depctr 0xfff
	v_mul_f32_e32 v1, 0x5f7ffffc, v1
	v_mul_f32_e32 v2, 0x2f800000, v1
	s_delay_alu instid0(VALU_DEP_1) | instskip(NEXT) | instid1(VALU_DEP_1)
	v_trunc_f32_e32 v2, v2
	v_fmac_f32_e32 v1, 0xcf800000, v2
	v_cvt_u32_f32_e32 v26, v2
	s_delay_alu instid0(VALU_DEP_2) | instskip(NEXT) | instid1(VALU_DEP_2)
	v_cvt_u32_f32_e32 v27, v1
	v_mul_lo_u32 v11, v23, v26
	s_delay_alu instid0(VALU_DEP_2) | instskip(SKIP_1) | instid1(VALU_DEP_1)
	v_mul_lo_u32 v12, v24, v27
	v_mad_u64_u32 v[1:2], null, v23, v27, 0
	v_add3_u32 v28, v2, v11, v12
	s_delay_alu instid0(VALU_DEP_2) | instskip(SKIP_1) | instid1(VALU_DEP_3)
	v_mul_hi_u32 v29, v27, v1
	v_mad_u64_u32 v[13:14], null, v26, v1, 0
	v_mad_u64_u32 v[11:12], null, v27, v28, 0
	v_mad_u64_u32 v[1:2], null, v26, v28, 0
	s_delay_alu instid0(VALU_DEP_2) | instskip(NEXT) | instid1(VALU_DEP_3)
	v_add_co_u32 v11, vcc_lo, v29, v11
	v_add_co_ci_u32_e32 v12, vcc_lo, 0, v12, vcc_lo
	s_delay_alu instid0(VALU_DEP_2) | instskip(NEXT) | instid1(VALU_DEP_2)
	v_add_co_u32 v11, vcc_lo, v11, v13
	v_add_co_ci_u32_e32 v11, vcc_lo, v12, v14, vcc_lo
	v_add_co_ci_u32_e32 v2, vcc_lo, 0, v2, vcc_lo
	s_delay_alu instid0(VALU_DEP_2) | instskip(NEXT) | instid1(VALU_DEP_2)
	v_add_co_u32 v1, vcc_lo, v11, v1
	v_add_co_ci_u32_e32 v2, vcc_lo, 0, v2, vcc_lo
	s_delay_alu instid0(VALU_DEP_2) | instskip(NEXT) | instid1(VALU_DEP_2)
	v_add_co_u32 v27, vcc_lo, v27, v1
	v_add_co_ci_u32_e32 v26, vcc_lo, v26, v2, vcc_lo
	s_delay_alu instid0(VALU_DEP_2) | instskip(SKIP_1) | instid1(VALU_DEP_3)
	v_mul_lo_u32 v11, v24, v27
	v_mad_u64_u32 v[1:2], null, v23, v27, 0
	v_mul_lo_u32 v12, v23, v26
	s_delay_alu instid0(VALU_DEP_2) | instskip(SKIP_1) | instid1(VALU_DEP_3)
	v_mul_hi_u32 v24, v27, v1
	v_mad_u64_u32 v[13:14], null, v26, v1, 0
	v_add3_u32 v23, v2, v12, v11
	s_delay_alu instid0(VALU_DEP_1) | instskip(SKIP_2) | instid1(VALU_DEP_3)
	v_mad_u64_u32 v[11:12], null, v27, v23, 0
	v_mad_u64_u32 v[1:2], null, v26, v23, 0
	v_ashrrev_i32_e32 v23, 31, v4
	v_add_co_u32 v11, vcc_lo, v24, v11
	s_delay_alu instid0(VALU_DEP_4) | instskip(NEXT) | instid1(VALU_DEP_2)
	v_add_co_ci_u32_e32 v12, vcc_lo, 0, v12, vcc_lo
	v_add_co_u32 v11, vcc_lo, v11, v13
	s_delay_alu instid0(VALU_DEP_2) | instskip(SKIP_3) | instid1(VALU_DEP_4)
	v_add_co_ci_u32_e32 v11, vcc_lo, v12, v14, vcc_lo
	v_add_co_ci_u32_e32 v2, vcc_lo, 0, v2, vcc_lo
	v_add_co_u32 v3, vcc_lo, v3, v23
	v_add_co_ci_u32_e32 v4, vcc_lo, v4, v23, vcc_lo
	v_add_co_u32 v1, vcc_lo, v11, v1
	s_delay_alu instid0(VALU_DEP_4) | instskip(NEXT) | instid1(VALU_DEP_4)
	v_add_co_ci_u32_e32 v2, vcc_lo, 0, v2, vcc_lo
	v_xor_b32_e32 v13, v3, v23
	s_delay_alu instid0(VALU_DEP_3) | instskip(NEXT) | instid1(VALU_DEP_3)
	v_add_co_u32 v11, vcc_lo, v27, v1
	v_add_co_ci_u32_e32 v14, vcc_lo, v26, v2, vcc_lo
	v_xor_b32_e32 v24, v4, v23
	s_delay_alu instid0(VALU_DEP_3) | instskip(NEXT) | instid1(VALU_DEP_3)
	v_mul_hi_u32 v26, v13, v11
	v_mad_u64_u32 v[1:2], null, v13, v14, 0
	s_delay_alu instid0(VALU_DEP_3) | instskip(SKIP_1) | instid1(VALU_DEP_3)
	v_mad_u64_u32 v[3:4], null, v24, v11, 0
	v_mad_u64_u32 v[11:12], null, v24, v14, 0
	v_add_co_u32 v1, vcc_lo, v26, v1
	s_delay_alu instid0(VALU_DEP_4) | instskip(NEXT) | instid1(VALU_DEP_2)
	v_add_co_ci_u32_e32 v2, vcc_lo, 0, v2, vcc_lo
	v_add_co_u32 v1, vcc_lo, v1, v3
	s_delay_alu instid0(VALU_DEP_2) | instskip(SKIP_1) | instid1(VALU_DEP_2)
	v_add_co_ci_u32_e32 v1, vcc_lo, v2, v4, vcc_lo
	v_add_co_ci_u32_e32 v2, vcc_lo, 0, v12, vcc_lo
	v_add_co_u32 v3, vcc_lo, v1, v11
	s_delay_alu instid0(VALU_DEP_2) | instskip(NEXT) | instid1(VALU_DEP_2)
	v_add_co_ci_u32_e32 v4, vcc_lo, 0, v2, vcc_lo
	v_mul_lo_u32 v11, v18, v3
	v_mad_u64_u32 v[1:2], null, v16, v3, 0
	s_delay_alu instid0(VALU_DEP_3) | instskip(NEXT) | instid1(VALU_DEP_2)
	v_mul_lo_u32 v12, v16, v4
	v_sub_co_u32 v1, vcc_lo, v13, v1
	s_delay_alu instid0(VALU_DEP_2) | instskip(NEXT) | instid1(VALU_DEP_1)
	v_add3_u32 v2, v2, v12, v11
	v_sub_nc_u32_e32 v11, v24, v2
	s_delay_alu instid0(VALU_DEP_1) | instskip(SKIP_1) | instid1(VALU_DEP_1)
	v_sub_co_ci_u32_e64 v11, s2, v11, v18, vcc_lo
	v_add_co_u32 v12, s2, v3, 2
	v_add_co_ci_u32_e64 v13, s2, 0, v4, s2
	v_sub_co_u32 v14, s2, v1, v16
	v_sub_co_ci_u32_e32 v2, vcc_lo, v24, v2, vcc_lo
	v_subrev_co_ci_u32_e64 v11, s2, 0, v11, s2
	s_delay_alu instid0(VALU_DEP_3) | instskip(NEXT) | instid1(VALU_DEP_3)
	v_cmp_ge_u32_e32 vcc_lo, v14, v16
	v_cmp_eq_u32_e64 s2, v2, v18
	v_cndmask_b32_e64 v14, 0, -1, vcc_lo
	s_delay_alu instid0(VALU_DEP_4)
	v_cmp_ge_u32_e32 vcc_lo, v11, v18
	v_cndmask_b32_e64 v24, 0, -1, vcc_lo
	v_cmp_ge_u32_e32 vcc_lo, v1, v16
	v_cndmask_b32_e64 v1, 0, -1, vcc_lo
	;; [unrolled: 2-line block ×3, first 2 shown]
	v_cmp_eq_u32_e32 vcc_lo, v11, v18
	s_delay_alu instid0(VALU_DEP_2) | instskip(SKIP_3) | instid1(VALU_DEP_3)
	v_cndmask_b32_e64 v1, v16, v1, s2
	v_cndmask_b32_e32 v11, v24, v14, vcc_lo
	v_add_co_u32 v14, vcc_lo, v3, 1
	v_add_co_ci_u32_e32 v24, vcc_lo, 0, v4, vcc_lo
	v_cmp_ne_u32_e32 vcc_lo, 0, v11
	s_delay_alu instid0(VALU_DEP_2) | instskip(SKIP_2) | instid1(VALU_DEP_3)
	v_dual_cndmask_b32 v2, v24, v13 :: v_dual_cndmask_b32 v11, v14, v12
	v_cmp_ne_u32_e32 vcc_lo, 0, v1
	v_xor_b32_e32 v1, v23, v15
	v_dual_cndmask_b32 v3, v3, v11 :: v_dual_cndmask_b32 v2, v4, v2
	s_delay_alu instid0(VALU_DEP_1) | instskip(NEXT) | instid1(VALU_DEP_2)
	v_xor_b32_e32 v3, v3, v1
	v_xor_b32_e32 v2, v2, v1
	s_delay_alu instid0(VALU_DEP_2) | instskip(NEXT) | instid1(VALU_DEP_2)
	v_sub_co_u32 v11, vcc_lo, v3, v1
	v_sub_co_ci_u32_e32 v12, vcc_lo, v2, v1, vcc_lo
                                        ; implicit-def: $vgpr1_vgpr2
                                        ; implicit-def: $vgpr3_vgpr4
.LBB75_18:                              ;   in Loop: Header=BB75_4 Depth=1
	s_and_not1_saveexec_b32 s2, s21
	s_cbranch_execz .LBB75_3
; %bb.19:                               ;   in Loop: Header=BB75_4 Depth=1
	v_cvt_f32_u32_e32 v2, v1
	v_sub_nc_u32_e32 v4, 0, v1
	v_mov_b32_e32 v12, v17
	s_delay_alu instid0(VALU_DEP_3) | instskip(SKIP_2) | instid1(VALU_DEP_1)
	v_rcp_iflag_f32_e32 v2, v2
	s_waitcnt_depctr 0xfff
	v_mul_f32_e32 v2, 0x4f7ffffe, v2
	v_cvt_u32_f32_e32 v2, v2
	s_delay_alu instid0(VALU_DEP_1) | instskip(NEXT) | instid1(VALU_DEP_1)
	v_mul_lo_u32 v4, v4, v2
	v_mul_hi_u32 v4, v2, v4
	s_delay_alu instid0(VALU_DEP_1) | instskip(NEXT) | instid1(VALU_DEP_1)
	v_add_nc_u32_e32 v2, v2, v4
	v_mul_hi_u32 v2, v3, v2
	s_delay_alu instid0(VALU_DEP_1) | instskip(NEXT) | instid1(VALU_DEP_1)
	v_mul_lo_u32 v4, v2, v1
	v_sub_nc_u32_e32 v3, v3, v4
	v_add_nc_u32_e32 v4, 1, v2
	s_delay_alu instid0(VALU_DEP_2) | instskip(SKIP_1) | instid1(VALU_DEP_2)
	v_sub_nc_u32_e32 v11, v3, v1
	v_cmp_ge_u32_e32 vcc_lo, v3, v1
	v_dual_cndmask_b32 v3, v3, v11 :: v_dual_cndmask_b32 v2, v2, v4
	s_delay_alu instid0(VALU_DEP_1) | instskip(NEXT) | instid1(VALU_DEP_2)
	v_cmp_ge_u32_e32 vcc_lo, v3, v1
	v_add_nc_u32_e32 v4, 1, v2
	s_delay_alu instid0(VALU_DEP_1)
	v_cndmask_b32_e32 v11, v2, v4, vcc_lo
	s_branch .LBB75_3
.LBB75_20:
	s_or_b32 exec_lo, exec_lo, s17
	s_mov_b32 s2, 0
.LBB75_21:
	s_delay_alu instid0(SALU_CYCLE_1)
	s_and_not1_b32 vcc_lo, exec_lo, s2
	s_cbranch_vccnz .LBB75_57
; %bb.22:
	v_cmp_lt_i64_e64 s2, s[10:11], 1
	s_delay_alu instid0(VALU_DEP_1)
	s_and_b32 vcc_lo, exec_lo, s2
	s_cbranch_vccnz .LBB75_57
; %bb.23:
	s_load_b32 s0, s[0:1], 0xc64
	v_dual_mov_b32 v1, 0 :: v_dual_lshlrev_b32 v2, 3, v0
	v_cmp_gt_u64_e64 s1, 0x10000, s[10:11]
	s_delay_alu instid0(VALU_DEP_2) | instskip(NEXT) | instid1(VALU_DEP_1)
	v_add_co_u32 v21, s2, s4, v2
	v_add_co_ci_u32_e64 v22, null, s5, 0, s2
	v_add_co_u32 v23, s2, s14, v2
	s_delay_alu instid0(VALU_DEP_1)
	v_add_co_ci_u32_e64 v24, null, s15, 0, s2
	s_waitcnt lgkmcnt(0)
	s_and_b32 s0, s0, 0xffff
	s_and_b32 s1, s1, exec_lo
	s_mul_i32 s2, s0, 3
	s_cselect_b32 s13, s11, 0
	v_add_co_u32 v29, s2, s2, v0
	s_delay_alu instid0(VALU_DEP_1)
	v_add_co_ci_u32_e64 v30, null, 0, 0, s2
	v_add_co_u32 v33, s2, v0, s0
	v_mov_b32_e32 v3, v1
	s_cselect_b32 s12, s10, 0x10000
	s_lshl_b32 s3, s0, 4
	s_lshl_b32 s1, s0, 1
	v_add_co_ci_u32_e64 v36, null, 0, 0, s2
	v_mad_u64_u32 v[4:5], null, s0, 24, v[2:3]
	v_add_co_u32 v2, s3, s3, v2
	s_delay_alu instid0(VALU_DEP_1) | instskip(SKIP_1) | instid1(VALU_DEP_4)
	v_add_co_ci_u32_e64 v3, null, 0, 0, s3
	v_add_co_u32 v37, s1, s1, v0
	v_add_co_u32 v25, vcc_lo, s4, v4
	v_add_co_ci_u32_e32 v26, vcc_lo, s5, v5, vcc_lo
	v_add_co_u32 v27, vcc_lo, s14, v4
	v_add_co_ci_u32_e32 v28, vcc_lo, s15, v5, vcc_lo
	;; [unrolled: 2-line block ×3, first 2 shown]
	v_add_co_u32 v34, vcc_lo, s14, v2
	v_lshlrev_b32_e32 v2, 3, v33
	v_add_co_ci_u32_e64 v38, null, 0, 0, s1
	v_add_co_ci_u32_e32 v35, vcc_lo, s15, v3, vcc_lo
	s_delay_alu instid0(VALU_DEP_3) | instskip(NEXT) | instid1(VALU_DEP_1)
	v_add_co_u32 v39, s1, s4, v2
	v_add_co_ci_u32_e64 v40, null, s5, 0, s1
	v_add_co_u32 v41, s1, s14, v2
	s_delay_alu instid0(VALU_DEP_1)
	v_add_co_ci_u32_e64 v42, null, s15, 0, s1
	s_lshl_b32 s5, s0, 2
	s_lshl_b32 s16, s0, 5
	s_mov_b64 s[14:15], 0
	s_branch .LBB75_25
.LBB75_24:                              ;   in Loop: Header=BB75_25 Depth=1
	s_or_b32 exec_lo, exec_lo, s0
	v_add_co_u32 v21, vcc_lo, v21, s16
	v_add_co_ci_u32_e32 v22, vcc_lo, 0, v22, vcc_lo
	v_add_co_u32 v23, vcc_lo, v23, s16
	v_add_co_ci_u32_e32 v24, vcc_lo, 0, v24, vcc_lo
	;; [unrolled: 2-line block ×5, first 2 shown]
	s_add_u32 s14, s14, s5
	v_add_co_u32 v34, vcc_lo, v34, s16
	s_addc_u32 s15, s15, 0
	v_add_co_ci_u32_e32 v35, vcc_lo, 0, v35, vcc_lo
	v_cmp_ge_i64_e64 s0, s[14:15], s[10:11]
	v_cmp_lt_u64_e64 s1, 0xffff, s[14:15]
	v_add_co_u32 v39, vcc_lo, v39, s16
	v_add_co_ci_u32_e32 v40, vcc_lo, 0, v40, vcc_lo
	v_add_co_u32 v41, vcc_lo, v41, s16
	v_add_co_ci_u32_e32 v42, vcc_lo, 0, v42, vcc_lo
	s_or_b32 s0, s0, s1
	s_delay_alu instid0(SALU_CYCLE_1)
	s_and_b32 vcc_lo, exec_lo, s0
	s_cbranch_vccnz .LBB75_57
.LBB75_25:                              ; =>This Inner Loop Header: Depth=1
	v_add_co_u32 v2, s0, v0, s14
	s_delay_alu instid0(VALU_DEP_1) | instskip(SKIP_2) | instid1(VALU_DEP_2)
	v_add_co_ci_u32_e64 v3, null, 0, s15, s0
	v_mov_b32_e32 v17, 0
	v_mov_b32_e32 v18, 0
	;; [unrolled: 1-line block ×3, first 2 shown]
	s_delay_alu instid0(VALU_DEP_4) | instskip(NEXT) | instid1(VALU_DEP_3)
	v_cmp_gt_u64_e64 s3, s[12:13], v[2:3]
	v_dual_mov_b32 v3, v17 :: v_dual_mov_b32 v4, v18
	v_mov_b32_e32 v6, v18
	s_delay_alu instid0(VALU_DEP_3)
	s_and_saveexec_b32 s0, s3
	s_cbranch_execz .LBB75_27
; %bb.26:                               ;   in Loop: Header=BB75_25 Depth=1
	v_add_co_u32 v2, vcc_lo, v21, s8
	v_add_co_ci_u32_e32 v3, vcc_lo, s9, v22, vcc_lo
	v_add_co_u32 v5, vcc_lo, v23, s8
	v_add_co_ci_u32_e32 v6, vcc_lo, s9, v24, vcc_lo
	global_load_b64 v[3:4], v[2:3], off
	global_load_b64 v[5:6], v[5:6], off
.LBB75_27:                              ;   in Loop: Header=BB75_25 Depth=1
	s_or_b32 exec_lo, exec_lo, s0
	v_add_co_u32 v7, vcc_lo, v33, s14
	v_add_co_ci_u32_e32 v8, vcc_lo, s15, v36, vcc_lo
	s_delay_alu instid0(VALU_DEP_1) | instskip(SKIP_1) | instid1(VALU_DEP_2)
	v_cmp_gt_u64_e64 s0, s[12:13], v[7:8]
	v_dual_mov_b32 v7, v17 :: v_dual_mov_b32 v8, v18
	s_and_saveexec_b32 s1, s0
	s_cbranch_execz .LBB75_29
; %bb.28:                               ;   in Loop: Header=BB75_25 Depth=1
	v_add_co_u32 v7, vcc_lo, v39, s8
	v_add_co_ci_u32_e32 v8, vcc_lo, s9, v40, vcc_lo
	v_add_co_u32 v9, vcc_lo, v41, s8
	v_add_co_ci_u32_e32 v10, vcc_lo, s9, v42, vcc_lo
	global_load_b64 v[17:18], v[7:8], off
	global_load_b64 v[7:8], v[9:10], off
.LBB75_29:                              ;   in Loop: Header=BB75_25 Depth=1
	s_or_b32 exec_lo, exec_lo, s1
	v_add_co_u32 v11, vcc_lo, v37, s14
	v_add_co_ci_u32_e32 v12, vcc_lo, s15, v38, vcc_lo
	v_mov_b32_e32 v9, 0
	v_mov_b32_e32 v10, 0
	s_delay_alu instid0(VALU_DEP_3) | instskip(NEXT) | instid1(VALU_DEP_2)
	v_cmp_gt_u64_e64 s1, s[12:13], v[11:12]
	v_dual_mov_b32 v16, v10 :: v_dual_mov_b32 v15, v9
	v_dual_mov_b32 v12, v10 :: v_dual_mov_b32 v11, v9
	s_delay_alu instid0(VALU_DEP_3)
	s_and_saveexec_b32 s2, s1
	s_cbranch_execz .LBB75_31
; %bb.30:                               ;   in Loop: Header=BB75_25 Depth=1
	v_add_co_u32 v11, vcc_lo, v31, s8
	v_add_co_ci_u32_e32 v12, vcc_lo, s9, v32, vcc_lo
	v_add_co_u32 v13, vcc_lo, v34, s8
	v_add_co_ci_u32_e32 v14, vcc_lo, s9, v35, vcc_lo
	global_load_b64 v[15:16], v[11:12], off
	global_load_b64 v[11:12], v[13:14], off
.LBB75_31:                              ;   in Loop: Header=BB75_25 Depth=1
	s_or_b32 exec_lo, exec_lo, s2
	v_add_co_u32 v13, vcc_lo, v29, s14
	v_add_co_ci_u32_e32 v14, vcc_lo, s15, v30, vcc_lo
	s_delay_alu instid0(VALU_DEP_1) | instskip(SKIP_1) | instid1(VALU_DEP_2)
	v_cmp_gt_u64_e64 s2, s[12:13], v[13:14]
	v_dual_mov_b32 v14, v10 :: v_dual_mov_b32 v13, v9
	s_and_saveexec_b32 s4, s2
	s_cbranch_execz .LBB75_33
; %bb.32:                               ;   in Loop: Header=BB75_25 Depth=1
	v_add_co_u32 v9, vcc_lo, v25, s8
	v_add_co_ci_u32_e32 v10, vcc_lo, s9, v26, vcc_lo
	v_add_co_u32 v13, vcc_lo, v27, s8
	v_add_co_ci_u32_e32 v14, vcc_lo, s9, v28, vcc_lo
	global_load_b64 v[9:10], v[9:10], off
	global_load_b64 v[13:14], v[13:14], off
.LBB75_33:                              ;   in Loop: Header=BB75_25 Depth=1
	s_or_b32 exec_lo, exec_lo, s4
	s_waitcnt vmcnt(0)
	v_mul_lo_u32 v2, v8, s6
	v_mul_lo_u32 v8, v7, s7
	v_mad_u64_u32 v[19:20], null, v7, s6, 0
	s_mov_b32 s4, exec_lo
	s_delay_alu instid0(VALU_DEP_1) | instskip(NEXT) | instid1(VALU_DEP_1)
	v_add3_u32 v20, v20, v8, v2
                                        ; implicit-def: $vgpr7_vgpr8
	v_or_b32_e32 v2, v18, v20
	s_delay_alu instid0(VALU_DEP_1)
	v_cmpx_ne_u64_e32 0, v[1:2]
	s_xor_b32 s17, exec_lo, s4
	s_cbranch_execz .LBB75_35
; %bb.34:                               ;   in Loop: Header=BB75_25 Depth=1
	v_ashrrev_i32_e32 v2, 31, v20
	s_delay_alu instid0(VALU_DEP_1) | instskip(SKIP_1) | instid1(VALU_DEP_2)
	v_add_co_u32 v7, vcc_lo, v19, v2
	v_add_co_ci_u32_e32 v8, vcc_lo, v20, v2, vcc_lo
	v_xor_b32_e32 v45, v7, v2
	s_delay_alu instid0(VALU_DEP_2) | instskip(NEXT) | instid1(VALU_DEP_2)
	v_xor_b32_e32 v46, v8, v2
	v_cvt_f32_u32_e32 v7, v45
	v_sub_co_u32 v47, vcc_lo, 0, v45
	s_delay_alu instid0(VALU_DEP_3) | instskip(SKIP_1) | instid1(VALU_DEP_2)
	v_cvt_f32_u32_e32 v8, v46
	v_sub_co_ci_u32_e32 v48, vcc_lo, 0, v46, vcc_lo
	v_fmac_f32_e32 v7, 0x4f800000, v8
	s_delay_alu instid0(VALU_DEP_1) | instskip(SKIP_2) | instid1(VALU_DEP_1)
	v_rcp_f32_e32 v7, v7
	s_waitcnt_depctr 0xfff
	v_mul_f32_e32 v7, 0x5f7ffffc, v7
	v_mul_f32_e32 v8, 0x2f800000, v7
	s_delay_alu instid0(VALU_DEP_1) | instskip(NEXT) | instid1(VALU_DEP_1)
	v_trunc_f32_e32 v8, v8
	v_fmac_f32_e32 v7, 0xcf800000, v8
	v_cvt_u32_f32_e32 v49, v8
	s_delay_alu instid0(VALU_DEP_2) | instskip(NEXT) | instid1(VALU_DEP_2)
	v_cvt_u32_f32_e32 v50, v7
	v_mul_lo_u32 v19, v47, v49
	s_delay_alu instid0(VALU_DEP_2) | instskip(SKIP_1) | instid1(VALU_DEP_1)
	v_mul_lo_u32 v20, v48, v50
	v_mad_u64_u32 v[7:8], null, v47, v50, 0
	v_add3_u32 v51, v8, v19, v20
	s_delay_alu instid0(VALU_DEP_2) | instskip(SKIP_1) | instid1(VALU_DEP_3)
	v_mul_hi_u32 v52, v50, v7
	v_mad_u64_u32 v[43:44], null, v49, v7, 0
	v_mad_u64_u32 v[19:20], null, v50, v51, 0
	;; [unrolled: 1-line block ×3, first 2 shown]
	s_delay_alu instid0(VALU_DEP_2) | instskip(NEXT) | instid1(VALU_DEP_3)
	v_add_co_u32 v19, vcc_lo, v52, v19
	v_add_co_ci_u32_e32 v20, vcc_lo, 0, v20, vcc_lo
	s_delay_alu instid0(VALU_DEP_2) | instskip(NEXT) | instid1(VALU_DEP_2)
	v_add_co_u32 v19, vcc_lo, v19, v43
	v_add_co_ci_u32_e32 v19, vcc_lo, v20, v44, vcc_lo
	v_add_co_ci_u32_e32 v8, vcc_lo, 0, v8, vcc_lo
	s_delay_alu instid0(VALU_DEP_2) | instskip(NEXT) | instid1(VALU_DEP_2)
	v_add_co_u32 v7, vcc_lo, v19, v7
	v_add_co_ci_u32_e32 v8, vcc_lo, 0, v8, vcc_lo
	s_delay_alu instid0(VALU_DEP_2) | instskip(NEXT) | instid1(VALU_DEP_2)
	v_add_co_u32 v50, vcc_lo, v50, v7
	v_add_co_ci_u32_e32 v49, vcc_lo, v49, v8, vcc_lo
	s_delay_alu instid0(VALU_DEP_2) | instskip(SKIP_1) | instid1(VALU_DEP_3)
	v_mul_lo_u32 v19, v48, v50
	v_mad_u64_u32 v[7:8], null, v47, v50, 0
	v_mul_lo_u32 v20, v47, v49
	s_delay_alu instid0(VALU_DEP_2) | instskip(SKIP_1) | instid1(VALU_DEP_3)
	v_mul_hi_u32 v48, v50, v7
	v_mad_u64_u32 v[43:44], null, v49, v7, 0
	v_add3_u32 v47, v8, v20, v19
	s_delay_alu instid0(VALU_DEP_1) | instskip(SKIP_2) | instid1(VALU_DEP_3)
	v_mad_u64_u32 v[19:20], null, v50, v47, 0
	v_mad_u64_u32 v[7:8], null, v49, v47, 0
	v_ashrrev_i32_e32 v47, 31, v18
	v_add_co_u32 v19, vcc_lo, v48, v19
	s_delay_alu instid0(VALU_DEP_4) | instskip(NEXT) | instid1(VALU_DEP_3)
	v_add_co_ci_u32_e32 v20, vcc_lo, 0, v20, vcc_lo
	v_xor_b32_e32 v2, v47, v2
	s_delay_alu instid0(VALU_DEP_3) | instskip(NEXT) | instid1(VALU_DEP_3)
	v_add_co_u32 v19, vcc_lo, v19, v43
	v_add_co_ci_u32_e32 v19, vcc_lo, v20, v44, vcc_lo
	v_add_co_ci_u32_e32 v8, vcc_lo, 0, v8, vcc_lo
	v_add_co_u32 v17, vcc_lo, v17, v47
	v_add_co_ci_u32_e32 v18, vcc_lo, v18, v47, vcc_lo
	s_delay_alu instid0(VALU_DEP_4) | instskip(NEXT) | instid1(VALU_DEP_4)
	v_add_co_u32 v7, vcc_lo, v19, v7
	v_add_co_ci_u32_e32 v8, vcc_lo, 0, v8, vcc_lo
	s_delay_alu instid0(VALU_DEP_4) | instskip(NEXT) | instid1(VALU_DEP_3)
	v_xor_b32_e32 v43, v17, v47
	v_add_co_u32 v19, vcc_lo, v50, v7
	s_delay_alu instid0(VALU_DEP_3) | instskip(SKIP_1) | instid1(VALU_DEP_3)
	v_add_co_ci_u32_e32 v44, vcc_lo, v49, v8, vcc_lo
	v_xor_b32_e32 v48, v18, v47
	v_mul_hi_u32 v49, v43, v19
	s_delay_alu instid0(VALU_DEP_3) | instskip(NEXT) | instid1(VALU_DEP_3)
	v_mad_u64_u32 v[7:8], null, v43, v44, 0
	v_mad_u64_u32 v[17:18], null, v48, v19, 0
	;; [unrolled: 1-line block ×3, first 2 shown]
	s_delay_alu instid0(VALU_DEP_3) | instskip(NEXT) | instid1(VALU_DEP_4)
	v_add_co_u32 v7, vcc_lo, v49, v7
	v_add_co_ci_u32_e32 v8, vcc_lo, 0, v8, vcc_lo
	s_delay_alu instid0(VALU_DEP_2) | instskip(NEXT) | instid1(VALU_DEP_2)
	v_add_co_u32 v7, vcc_lo, v7, v17
	v_add_co_ci_u32_e32 v7, vcc_lo, v8, v18, vcc_lo
	v_add_co_ci_u32_e32 v8, vcc_lo, 0, v20, vcc_lo
	s_delay_alu instid0(VALU_DEP_2) | instskip(NEXT) | instid1(VALU_DEP_2)
	v_add_co_u32 v17, vcc_lo, v7, v19
	v_add_co_ci_u32_e32 v18, vcc_lo, 0, v8, vcc_lo
	s_delay_alu instid0(VALU_DEP_2) | instskip(SKIP_1) | instid1(VALU_DEP_3)
	v_mul_lo_u32 v19, v46, v17
	v_mad_u64_u32 v[7:8], null, v45, v17, 0
	v_mul_lo_u32 v20, v45, v18
	s_delay_alu instid0(VALU_DEP_2) | instskip(NEXT) | instid1(VALU_DEP_2)
	v_sub_co_u32 v7, vcc_lo, v43, v7
	v_add3_u32 v8, v8, v20, v19
	s_delay_alu instid0(VALU_DEP_1) | instskip(NEXT) | instid1(VALU_DEP_1)
	v_sub_nc_u32_e32 v19, v48, v8
	v_sub_co_ci_u32_e64 v19, s4, v19, v46, vcc_lo
	v_add_co_u32 v20, s4, v17, 2
	s_delay_alu instid0(VALU_DEP_1) | instskip(SKIP_3) | instid1(VALU_DEP_3)
	v_add_co_ci_u32_e64 v43, s4, 0, v18, s4
	v_sub_co_u32 v44, s4, v7, v45
	v_sub_co_ci_u32_e32 v8, vcc_lo, v48, v8, vcc_lo
	v_subrev_co_ci_u32_e64 v19, s4, 0, v19, s4
	v_cmp_ge_u32_e32 vcc_lo, v44, v45
	s_delay_alu instid0(VALU_DEP_3) | instskip(SKIP_1) | instid1(VALU_DEP_4)
	v_cmp_eq_u32_e64 s4, v8, v46
	v_cndmask_b32_e64 v44, 0, -1, vcc_lo
	v_cmp_ge_u32_e32 vcc_lo, v19, v46
	v_cndmask_b32_e64 v48, 0, -1, vcc_lo
	v_cmp_ge_u32_e32 vcc_lo, v7, v45
	;; [unrolled: 2-line block ×3, first 2 shown]
	v_cndmask_b32_e64 v45, 0, -1, vcc_lo
	v_cmp_eq_u32_e32 vcc_lo, v19, v46
	s_delay_alu instid0(VALU_DEP_2) | instskip(SKIP_3) | instid1(VALU_DEP_3)
	v_cndmask_b32_e64 v7, v45, v7, s4
	v_cndmask_b32_e32 v19, v48, v44, vcc_lo
	v_add_co_u32 v44, vcc_lo, v17, 1
	v_add_co_ci_u32_e32 v48, vcc_lo, 0, v18, vcc_lo
	v_cmp_ne_u32_e32 vcc_lo, 0, v19
	s_delay_alu instid0(VALU_DEP_2) | instskip(NEXT) | instid1(VALU_DEP_4)
	v_cndmask_b32_e32 v8, v48, v43, vcc_lo
	v_cndmask_b32_e32 v19, v44, v20, vcc_lo
	v_cmp_ne_u32_e32 vcc_lo, 0, v7
	s_delay_alu instid0(VALU_DEP_2) | instskip(NEXT) | instid1(VALU_DEP_1)
	v_dual_cndmask_b32 v7, v18, v8 :: v_dual_cndmask_b32 v8, v17, v19
                                        ; implicit-def: $vgpr19_vgpr20
	v_xor_b32_e32 v17, v7, v2
	s_delay_alu instid0(VALU_DEP_2) | instskip(NEXT) | instid1(VALU_DEP_1)
	v_xor_b32_e32 v8, v8, v2
	v_sub_co_u32 v7, vcc_lo, v8, v2
	s_delay_alu instid0(VALU_DEP_3)
	v_sub_co_ci_u32_e32 v8, vcc_lo, v17, v2, vcc_lo
                                        ; implicit-def: $vgpr17_vgpr18
.LBB75_35:                              ;   in Loop: Header=BB75_25 Depth=1
	s_and_not1_saveexec_b32 s4, s17
	s_cbranch_execz .LBB75_37
; %bb.36:                               ;   in Loop: Header=BB75_25 Depth=1
	v_cvt_f32_u32_e32 v2, v19
	v_sub_nc_u32_e32 v7, 0, v19
	s_delay_alu instid0(VALU_DEP_2) | instskip(SKIP_2) | instid1(VALU_DEP_1)
	v_rcp_iflag_f32_e32 v2, v2
	s_waitcnt_depctr 0xfff
	v_mul_f32_e32 v2, 0x4f7ffffe, v2
	v_cvt_u32_f32_e32 v2, v2
	s_delay_alu instid0(VALU_DEP_1) | instskip(NEXT) | instid1(VALU_DEP_1)
	v_mul_lo_u32 v7, v7, v2
	v_mul_hi_u32 v7, v2, v7
	s_delay_alu instid0(VALU_DEP_1) | instskip(NEXT) | instid1(VALU_DEP_1)
	v_add_nc_u32_e32 v2, v2, v7
	v_mul_hi_u32 v2, v17, v2
	s_delay_alu instid0(VALU_DEP_1) | instskip(SKIP_1) | instid1(VALU_DEP_2)
	v_mul_lo_u32 v7, v2, v19
	v_add_nc_u32_e32 v8, 1, v2
	v_sub_nc_u32_e32 v7, v17, v7
	s_delay_alu instid0(VALU_DEP_1) | instskip(SKIP_1) | instid1(VALU_DEP_2)
	v_sub_nc_u32_e32 v17, v7, v19
	v_cmp_ge_u32_e32 vcc_lo, v7, v19
	v_dual_cndmask_b32 v7, v7, v17 :: v_dual_cndmask_b32 v2, v2, v8
	s_delay_alu instid0(VALU_DEP_1) | instskip(NEXT) | instid1(VALU_DEP_2)
	v_cmp_ge_u32_e32 vcc_lo, v7, v19
	v_add_nc_u32_e32 v8, 1, v2
	s_delay_alu instid0(VALU_DEP_1)
	v_dual_cndmask_b32 v7, v2, v8 :: v_dual_mov_b32 v8, v1
.LBB75_37:                              ;   in Loop: Header=BB75_25 Depth=1
	s_or_b32 exec_lo, exec_lo, s4
	v_mul_lo_u32 v2, v12, s6
	v_mul_lo_u32 v12, v11, s7
	v_mad_u64_u32 v[17:18], null, v11, s6, 0
	s_mov_b32 s4, exec_lo
	s_delay_alu instid0(VALU_DEP_1) | instskip(NEXT) | instid1(VALU_DEP_1)
	v_add3_u32 v18, v18, v12, v2
                                        ; implicit-def: $vgpr11_vgpr12
	v_or_b32_e32 v2, v16, v18
	s_delay_alu instid0(VALU_DEP_1)
	v_cmpx_ne_u64_e32 0, v[1:2]
	s_xor_b32 s17, exec_lo, s4
	s_cbranch_execz .LBB75_39
; %bb.38:                               ;   in Loop: Header=BB75_25 Depth=1
	v_ashrrev_i32_e32 v2, 31, v18
	s_delay_alu instid0(VALU_DEP_1) | instskip(SKIP_1) | instid1(VALU_DEP_2)
	v_add_co_u32 v11, vcc_lo, v17, v2
	v_add_co_ci_u32_e32 v12, vcc_lo, v18, v2, vcc_lo
	v_xor_b32_e32 v43, v11, v2
	s_delay_alu instid0(VALU_DEP_2) | instskip(NEXT) | instid1(VALU_DEP_2)
	v_xor_b32_e32 v44, v12, v2
	v_cvt_f32_u32_e32 v11, v43
	v_sub_co_u32 v45, vcc_lo, 0, v43
	s_delay_alu instid0(VALU_DEP_3) | instskip(SKIP_1) | instid1(VALU_DEP_2)
	v_cvt_f32_u32_e32 v12, v44
	v_sub_co_ci_u32_e32 v46, vcc_lo, 0, v44, vcc_lo
	v_fmac_f32_e32 v11, 0x4f800000, v12
	s_delay_alu instid0(VALU_DEP_1) | instskip(SKIP_2) | instid1(VALU_DEP_1)
	v_rcp_f32_e32 v11, v11
	s_waitcnt_depctr 0xfff
	v_mul_f32_e32 v11, 0x5f7ffffc, v11
	v_mul_f32_e32 v12, 0x2f800000, v11
	s_delay_alu instid0(VALU_DEP_1) | instskip(NEXT) | instid1(VALU_DEP_1)
	v_trunc_f32_e32 v12, v12
	v_fmac_f32_e32 v11, 0xcf800000, v12
	v_cvt_u32_f32_e32 v47, v12
	s_delay_alu instid0(VALU_DEP_2) | instskip(NEXT) | instid1(VALU_DEP_2)
	v_cvt_u32_f32_e32 v48, v11
	v_mul_lo_u32 v17, v45, v47
	s_delay_alu instid0(VALU_DEP_2) | instskip(SKIP_1) | instid1(VALU_DEP_1)
	v_mul_lo_u32 v18, v46, v48
	v_mad_u64_u32 v[11:12], null, v45, v48, 0
	v_add3_u32 v49, v12, v17, v18
	s_delay_alu instid0(VALU_DEP_2) | instskip(SKIP_1) | instid1(VALU_DEP_3)
	v_mul_hi_u32 v50, v48, v11
	v_mad_u64_u32 v[19:20], null, v47, v11, 0
	v_mad_u64_u32 v[17:18], null, v48, v49, 0
	;; [unrolled: 1-line block ×3, first 2 shown]
	s_delay_alu instid0(VALU_DEP_2) | instskip(NEXT) | instid1(VALU_DEP_3)
	v_add_co_u32 v17, vcc_lo, v50, v17
	v_add_co_ci_u32_e32 v18, vcc_lo, 0, v18, vcc_lo
	s_delay_alu instid0(VALU_DEP_2) | instskip(NEXT) | instid1(VALU_DEP_2)
	v_add_co_u32 v17, vcc_lo, v17, v19
	v_add_co_ci_u32_e32 v17, vcc_lo, v18, v20, vcc_lo
	v_add_co_ci_u32_e32 v12, vcc_lo, 0, v12, vcc_lo
	s_delay_alu instid0(VALU_DEP_2) | instskip(NEXT) | instid1(VALU_DEP_2)
	v_add_co_u32 v11, vcc_lo, v17, v11
	v_add_co_ci_u32_e32 v12, vcc_lo, 0, v12, vcc_lo
	s_delay_alu instid0(VALU_DEP_2) | instskip(NEXT) | instid1(VALU_DEP_2)
	v_add_co_u32 v48, vcc_lo, v48, v11
	v_add_co_ci_u32_e32 v47, vcc_lo, v47, v12, vcc_lo
	s_delay_alu instid0(VALU_DEP_2) | instskip(SKIP_1) | instid1(VALU_DEP_3)
	v_mul_lo_u32 v17, v46, v48
	v_mad_u64_u32 v[11:12], null, v45, v48, 0
	v_mul_lo_u32 v18, v45, v47
	s_delay_alu instid0(VALU_DEP_2) | instskip(SKIP_1) | instid1(VALU_DEP_3)
	v_mul_hi_u32 v46, v48, v11
	v_mad_u64_u32 v[19:20], null, v47, v11, 0
	v_add3_u32 v45, v12, v18, v17
	s_delay_alu instid0(VALU_DEP_1) | instskip(SKIP_2) | instid1(VALU_DEP_3)
	v_mad_u64_u32 v[17:18], null, v48, v45, 0
	v_mad_u64_u32 v[11:12], null, v47, v45, 0
	v_ashrrev_i32_e32 v45, 31, v16
	v_add_co_u32 v17, vcc_lo, v46, v17
	s_delay_alu instid0(VALU_DEP_4) | instskip(NEXT) | instid1(VALU_DEP_3)
	v_add_co_ci_u32_e32 v18, vcc_lo, 0, v18, vcc_lo
	v_xor_b32_e32 v2, v45, v2
	s_delay_alu instid0(VALU_DEP_3) | instskip(NEXT) | instid1(VALU_DEP_3)
	v_add_co_u32 v17, vcc_lo, v17, v19
	v_add_co_ci_u32_e32 v17, vcc_lo, v18, v20, vcc_lo
	v_add_co_ci_u32_e32 v12, vcc_lo, 0, v12, vcc_lo
	v_add_co_u32 v15, vcc_lo, v15, v45
	v_add_co_ci_u32_e32 v16, vcc_lo, v16, v45, vcc_lo
	s_delay_alu instid0(VALU_DEP_4) | instskip(NEXT) | instid1(VALU_DEP_4)
	v_add_co_u32 v11, vcc_lo, v17, v11
	v_add_co_ci_u32_e32 v12, vcc_lo, 0, v12, vcc_lo
	s_delay_alu instid0(VALU_DEP_4) | instskip(NEXT) | instid1(VALU_DEP_3)
	v_xor_b32_e32 v19, v15, v45
	v_add_co_u32 v17, vcc_lo, v48, v11
	s_delay_alu instid0(VALU_DEP_3) | instskip(SKIP_1) | instid1(VALU_DEP_3)
	v_add_co_ci_u32_e32 v20, vcc_lo, v47, v12, vcc_lo
	v_xor_b32_e32 v46, v16, v45
	v_mul_hi_u32 v47, v19, v17
	s_delay_alu instid0(VALU_DEP_3) | instskip(NEXT) | instid1(VALU_DEP_3)
	v_mad_u64_u32 v[11:12], null, v19, v20, 0
	v_mad_u64_u32 v[15:16], null, v46, v17, 0
	;; [unrolled: 1-line block ×3, first 2 shown]
	s_delay_alu instid0(VALU_DEP_3) | instskip(NEXT) | instid1(VALU_DEP_4)
	v_add_co_u32 v11, vcc_lo, v47, v11
	v_add_co_ci_u32_e32 v12, vcc_lo, 0, v12, vcc_lo
	s_delay_alu instid0(VALU_DEP_2) | instskip(NEXT) | instid1(VALU_DEP_2)
	v_add_co_u32 v11, vcc_lo, v11, v15
	v_add_co_ci_u32_e32 v11, vcc_lo, v12, v16, vcc_lo
	v_add_co_ci_u32_e32 v12, vcc_lo, 0, v18, vcc_lo
	s_delay_alu instid0(VALU_DEP_2) | instskip(NEXT) | instid1(VALU_DEP_2)
	v_add_co_u32 v15, vcc_lo, v11, v17
	v_add_co_ci_u32_e32 v16, vcc_lo, 0, v12, vcc_lo
	s_delay_alu instid0(VALU_DEP_2) | instskip(SKIP_1) | instid1(VALU_DEP_3)
	v_mul_lo_u32 v17, v44, v15
	v_mad_u64_u32 v[11:12], null, v43, v15, 0
	v_mul_lo_u32 v18, v43, v16
	s_delay_alu instid0(VALU_DEP_2) | instskip(NEXT) | instid1(VALU_DEP_2)
	v_sub_co_u32 v11, vcc_lo, v19, v11
	v_add3_u32 v12, v12, v18, v17
	s_delay_alu instid0(VALU_DEP_1) | instskip(NEXT) | instid1(VALU_DEP_1)
	v_sub_nc_u32_e32 v17, v46, v12
	v_sub_co_ci_u32_e64 v17, s4, v17, v44, vcc_lo
	v_add_co_u32 v18, s4, v15, 2
	s_delay_alu instid0(VALU_DEP_1) | instskip(SKIP_3) | instid1(VALU_DEP_3)
	v_add_co_ci_u32_e64 v19, s4, 0, v16, s4
	v_sub_co_u32 v20, s4, v11, v43
	v_sub_co_ci_u32_e32 v12, vcc_lo, v46, v12, vcc_lo
	v_subrev_co_ci_u32_e64 v17, s4, 0, v17, s4
	v_cmp_ge_u32_e32 vcc_lo, v20, v43
	s_delay_alu instid0(VALU_DEP_3) | instskip(SKIP_1) | instid1(VALU_DEP_4)
	v_cmp_eq_u32_e64 s4, v12, v44
	v_cndmask_b32_e64 v20, 0, -1, vcc_lo
	v_cmp_ge_u32_e32 vcc_lo, v17, v44
	v_cndmask_b32_e64 v46, 0, -1, vcc_lo
	v_cmp_ge_u32_e32 vcc_lo, v11, v43
	;; [unrolled: 2-line block ×3, first 2 shown]
	v_cndmask_b32_e64 v43, 0, -1, vcc_lo
	v_cmp_eq_u32_e32 vcc_lo, v17, v44
	s_delay_alu instid0(VALU_DEP_2) | instskip(SKIP_3) | instid1(VALU_DEP_3)
	v_cndmask_b32_e64 v11, v43, v11, s4
	v_cndmask_b32_e32 v17, v46, v20, vcc_lo
	v_add_co_u32 v20, vcc_lo, v15, 1
	v_add_co_ci_u32_e32 v46, vcc_lo, 0, v16, vcc_lo
	v_cmp_ne_u32_e32 vcc_lo, 0, v17
	s_delay_alu instid0(VALU_DEP_2) | instskip(SKIP_1) | instid1(VALU_DEP_2)
	v_dual_cndmask_b32 v12, v46, v19 :: v_dual_cndmask_b32 v17, v20, v18
	v_cmp_ne_u32_e32 vcc_lo, 0, v11
	v_dual_cndmask_b32 v11, v16, v12 :: v_dual_cndmask_b32 v12, v15, v17
                                        ; implicit-def: $vgpr17_vgpr18
	s_delay_alu instid0(VALU_DEP_1) | instskip(NEXT) | instid1(VALU_DEP_2)
	v_xor_b32_e32 v15, v11, v2
	v_xor_b32_e32 v12, v12, v2
	s_delay_alu instid0(VALU_DEP_1) | instskip(NEXT) | instid1(VALU_DEP_3)
	v_sub_co_u32 v11, vcc_lo, v12, v2
	v_sub_co_ci_u32_e32 v12, vcc_lo, v15, v2, vcc_lo
                                        ; implicit-def: $vgpr15_vgpr16
.LBB75_39:                              ;   in Loop: Header=BB75_25 Depth=1
	s_and_not1_saveexec_b32 s4, s17
	s_cbranch_execz .LBB75_41
; %bb.40:                               ;   in Loop: Header=BB75_25 Depth=1
	v_cvt_f32_u32_e32 v2, v17
	v_sub_nc_u32_e32 v11, 0, v17
	s_delay_alu instid0(VALU_DEP_2) | instskip(SKIP_2) | instid1(VALU_DEP_1)
	v_rcp_iflag_f32_e32 v2, v2
	s_waitcnt_depctr 0xfff
	v_mul_f32_e32 v2, 0x4f7ffffe, v2
	v_cvt_u32_f32_e32 v2, v2
	s_delay_alu instid0(VALU_DEP_1) | instskip(NEXT) | instid1(VALU_DEP_1)
	v_mul_lo_u32 v11, v11, v2
	v_mul_hi_u32 v11, v2, v11
	s_delay_alu instid0(VALU_DEP_1) | instskip(NEXT) | instid1(VALU_DEP_1)
	v_add_nc_u32_e32 v2, v2, v11
	v_mul_hi_u32 v2, v15, v2
	s_delay_alu instid0(VALU_DEP_1) | instskip(SKIP_1) | instid1(VALU_DEP_2)
	v_mul_lo_u32 v11, v2, v17
	v_add_nc_u32_e32 v12, 1, v2
	v_sub_nc_u32_e32 v11, v15, v11
	s_delay_alu instid0(VALU_DEP_1) | instskip(SKIP_1) | instid1(VALU_DEP_2)
	v_sub_nc_u32_e32 v15, v11, v17
	v_cmp_ge_u32_e32 vcc_lo, v11, v17
	v_dual_cndmask_b32 v11, v11, v15 :: v_dual_cndmask_b32 v2, v2, v12
	s_delay_alu instid0(VALU_DEP_1) | instskip(NEXT) | instid1(VALU_DEP_2)
	v_cmp_ge_u32_e32 vcc_lo, v11, v17
	v_add_nc_u32_e32 v12, 1, v2
	s_delay_alu instid0(VALU_DEP_1)
	v_dual_cndmask_b32 v11, v2, v12 :: v_dual_mov_b32 v12, v1
.LBB75_41:                              ;   in Loop: Header=BB75_25 Depth=1
	s_or_b32 exec_lo, exec_lo, s4
	v_mul_lo_u32 v2, v14, s6
	v_mul_lo_u32 v14, v13, s7
	v_mad_u64_u32 v[15:16], null, v13, s6, 0
	s_mov_b32 s4, exec_lo
	s_delay_alu instid0(VALU_DEP_1) | instskip(NEXT) | instid1(VALU_DEP_1)
	v_add3_u32 v16, v16, v14, v2
                                        ; implicit-def: $vgpr13_vgpr14
	v_or_b32_e32 v2, v10, v16
	s_delay_alu instid0(VALU_DEP_1)
	v_cmpx_ne_u64_e32 0, v[1:2]
	s_xor_b32 s17, exec_lo, s4
	s_cbranch_execnz .LBB75_47
; %bb.42:                               ;   in Loop: Header=BB75_25 Depth=1
	s_and_not1_saveexec_b32 s4, s17
	s_cbranch_execnz .LBB75_48
.LBB75_43:                              ;   in Loop: Header=BB75_25 Depth=1
	s_or_b32 exec_lo, exec_lo, s4
	s_and_saveexec_b32 s4, s3
	s_cbranch_execnz .LBB75_49
.LBB75_44:                              ;   in Loop: Header=BB75_25 Depth=1
	s_or_b32 exec_lo, exec_lo, s4
	s_and_saveexec_b32 s3, s0
	s_cbranch_execnz .LBB75_54
.LBB75_45:                              ;   in Loop: Header=BB75_25 Depth=1
	s_or_b32 exec_lo, exec_lo, s3
	s_and_saveexec_b32 s0, s1
	s_cbranch_execnz .LBB75_55
.LBB75_46:                              ;   in Loop: Header=BB75_25 Depth=1
	s_or_b32 exec_lo, exec_lo, s0
	s_and_saveexec_b32 s0, s2
	s_cbranch_execz .LBB75_24
	s_branch .LBB75_56
.LBB75_47:                              ;   in Loop: Header=BB75_25 Depth=1
	v_ashrrev_i32_e32 v2, 31, v16
	s_delay_alu instid0(VALU_DEP_1) | instskip(SKIP_1) | instid1(VALU_DEP_2)
	v_add_co_u32 v13, vcc_lo, v15, v2
	v_add_co_ci_u32_e32 v14, vcc_lo, v16, v2, vcc_lo
	v_xor_b32_e32 v20, v13, v2
	s_delay_alu instid0(VALU_DEP_2) | instskip(NEXT) | instid1(VALU_DEP_2)
	v_xor_b32_e32 v43, v14, v2
	v_cvt_f32_u32_e32 v13, v20
	v_sub_co_u32 v44, vcc_lo, 0, v20
	s_delay_alu instid0(VALU_DEP_3) | instskip(SKIP_1) | instid1(VALU_DEP_2)
	v_cvt_f32_u32_e32 v14, v43
	v_sub_co_ci_u32_e32 v45, vcc_lo, 0, v43, vcc_lo
	v_fmac_f32_e32 v13, 0x4f800000, v14
	s_delay_alu instid0(VALU_DEP_1) | instskip(SKIP_2) | instid1(VALU_DEP_1)
	v_rcp_f32_e32 v13, v13
	s_waitcnt_depctr 0xfff
	v_mul_f32_e32 v13, 0x5f7ffffc, v13
	v_mul_f32_e32 v14, 0x2f800000, v13
	s_delay_alu instid0(VALU_DEP_1) | instskip(NEXT) | instid1(VALU_DEP_1)
	v_trunc_f32_e32 v14, v14
	v_fmac_f32_e32 v13, 0xcf800000, v14
	v_cvt_u32_f32_e32 v46, v14
	s_delay_alu instid0(VALU_DEP_2) | instskip(NEXT) | instid1(VALU_DEP_2)
	v_cvt_u32_f32_e32 v47, v13
	v_mul_lo_u32 v15, v44, v46
	s_delay_alu instid0(VALU_DEP_2) | instskip(SKIP_1) | instid1(VALU_DEP_1)
	v_mul_lo_u32 v16, v45, v47
	v_mad_u64_u32 v[13:14], null, v44, v47, 0
	v_add3_u32 v48, v14, v15, v16
	s_delay_alu instid0(VALU_DEP_2) | instskip(SKIP_1) | instid1(VALU_DEP_3)
	v_mul_hi_u32 v49, v47, v13
	v_mad_u64_u32 v[16:17], null, v46, v13, 0
	v_mad_u64_u32 v[14:15], null, v47, v48, 0
	;; [unrolled: 1-line block ×3, first 2 shown]
	s_delay_alu instid0(VALU_DEP_2) | instskip(NEXT) | instid1(VALU_DEP_3)
	v_add_co_u32 v13, vcc_lo, v49, v14
	v_add_co_ci_u32_e32 v14, vcc_lo, 0, v15, vcc_lo
	s_delay_alu instid0(VALU_DEP_2) | instskip(NEXT) | instid1(VALU_DEP_2)
	v_add_co_u32 v13, vcc_lo, v13, v16
	v_add_co_ci_u32_e32 v13, vcc_lo, v14, v17, vcc_lo
	v_add_co_ci_u32_e32 v14, vcc_lo, 0, v19, vcc_lo
	s_delay_alu instid0(VALU_DEP_2) | instskip(NEXT) | instid1(VALU_DEP_2)
	v_add_co_u32 v13, vcc_lo, v13, v18
	v_add_co_ci_u32_e32 v14, vcc_lo, 0, v14, vcc_lo
	s_delay_alu instid0(VALU_DEP_2) | instskip(NEXT) | instid1(VALU_DEP_2)
	v_add_co_u32 v47, vcc_lo, v47, v13
	v_add_co_ci_u32_e32 v46, vcc_lo, v46, v14, vcc_lo
	s_delay_alu instid0(VALU_DEP_2) | instskip(SKIP_1) | instid1(VALU_DEP_3)
	v_mul_lo_u32 v15, v45, v47
	v_mad_u64_u32 v[13:14], null, v44, v47, 0
	v_mul_lo_u32 v16, v44, v46
	s_delay_alu instid0(VALU_DEP_2) | instskip(NEXT) | instid1(VALU_DEP_2)
	v_mul_hi_u32 v45, v47, v13
	v_add3_u32 v44, v14, v16, v15
	v_mad_u64_u32 v[16:17], null, v46, v13, 0
	s_delay_alu instid0(VALU_DEP_2) | instskip(SKIP_2) | instid1(VALU_DEP_3)
	v_mad_u64_u32 v[14:15], null, v47, v44, 0
	v_mad_u64_u32 v[18:19], null, v46, v44, 0
	v_ashrrev_i32_e32 v44, 31, v10
	v_add_co_u32 v13, vcc_lo, v45, v14
	s_delay_alu instid0(VALU_DEP_4) | instskip(NEXT) | instid1(VALU_DEP_3)
	v_add_co_ci_u32_e32 v14, vcc_lo, 0, v15, vcc_lo
	v_xor_b32_e32 v2, v44, v2
	s_delay_alu instid0(VALU_DEP_3) | instskip(NEXT) | instid1(VALU_DEP_3)
	v_add_co_u32 v13, vcc_lo, v13, v16
	v_add_co_ci_u32_e32 v13, vcc_lo, v14, v17, vcc_lo
	v_add_co_ci_u32_e32 v14, vcc_lo, 0, v19, vcc_lo
	v_add_co_u32 v9, vcc_lo, v9, v44
	v_add_co_ci_u32_e32 v10, vcc_lo, v10, v44, vcc_lo
	s_delay_alu instid0(VALU_DEP_4) | instskip(NEXT) | instid1(VALU_DEP_4)
	v_add_co_u32 v13, vcc_lo, v13, v18
	v_add_co_ci_u32_e32 v14, vcc_lo, 0, v14, vcc_lo
	s_delay_alu instid0(VALU_DEP_4) | instskip(NEXT) | instid1(VALU_DEP_3)
	v_xor_b32_e32 v17, v9, v44
	v_add_co_u32 v15, vcc_lo, v47, v13
	s_delay_alu instid0(VALU_DEP_3) | instskip(SKIP_1) | instid1(VALU_DEP_3)
	v_add_co_ci_u32_e32 v18, vcc_lo, v46, v14, vcc_lo
	v_xor_b32_e32 v19, v10, v44
	v_mul_hi_u32 v45, v17, v15
	s_delay_alu instid0(VALU_DEP_3) | instskip(NEXT) | instid1(VALU_DEP_3)
	v_mad_u64_u32 v[9:10], null, v17, v18, 0
	v_mad_u64_u32 v[13:14], null, v19, v15, 0
	v_mad_u64_u32 v[15:16], null, v19, v18, 0
	s_delay_alu instid0(VALU_DEP_3) | instskip(NEXT) | instid1(VALU_DEP_4)
	v_add_co_u32 v9, vcc_lo, v45, v9
	v_add_co_ci_u32_e32 v10, vcc_lo, 0, v10, vcc_lo
	s_delay_alu instid0(VALU_DEP_2) | instskip(NEXT) | instid1(VALU_DEP_2)
	v_add_co_u32 v9, vcc_lo, v9, v13
	v_add_co_ci_u32_e32 v9, vcc_lo, v10, v14, vcc_lo
	v_add_co_ci_u32_e32 v10, vcc_lo, 0, v16, vcc_lo
	s_delay_alu instid0(VALU_DEP_2) | instskip(NEXT) | instid1(VALU_DEP_2)
	v_add_co_u32 v13, vcc_lo, v9, v15
	v_add_co_ci_u32_e32 v14, vcc_lo, 0, v10, vcc_lo
	s_delay_alu instid0(VALU_DEP_2) | instskip(SKIP_1) | instid1(VALU_DEP_3)
	v_mul_lo_u32 v15, v43, v13
	v_mad_u64_u32 v[9:10], null, v20, v13, 0
	v_mul_lo_u32 v16, v20, v14
	s_delay_alu instid0(VALU_DEP_2) | instskip(NEXT) | instid1(VALU_DEP_2)
	v_sub_co_u32 v9, vcc_lo, v17, v9
	v_add3_u32 v10, v10, v16, v15
	s_delay_alu instid0(VALU_DEP_1) | instskip(NEXT) | instid1(VALU_DEP_1)
	v_sub_nc_u32_e32 v15, v19, v10
	v_sub_co_ci_u32_e64 v15, s4, v15, v43, vcc_lo
	v_add_co_u32 v16, s4, v13, 2
	s_delay_alu instid0(VALU_DEP_1) | instskip(SKIP_3) | instid1(VALU_DEP_3)
	v_add_co_ci_u32_e64 v17, s4, 0, v14, s4
	v_sub_co_u32 v18, s4, v9, v20
	v_sub_co_ci_u32_e32 v10, vcc_lo, v19, v10, vcc_lo
	v_subrev_co_ci_u32_e64 v15, s4, 0, v15, s4
	v_cmp_ge_u32_e32 vcc_lo, v18, v20
	s_delay_alu instid0(VALU_DEP_3) | instskip(SKIP_1) | instid1(VALU_DEP_4)
	v_cmp_eq_u32_e64 s4, v10, v43
	v_cndmask_b32_e64 v18, 0, -1, vcc_lo
	v_cmp_ge_u32_e32 vcc_lo, v15, v43
	v_cndmask_b32_e64 v19, 0, -1, vcc_lo
	v_cmp_ge_u32_e32 vcc_lo, v9, v20
	;; [unrolled: 2-line block ×3, first 2 shown]
	v_cndmask_b32_e64 v20, 0, -1, vcc_lo
	v_cmp_eq_u32_e32 vcc_lo, v15, v43
	s_delay_alu instid0(VALU_DEP_2) | instskip(SKIP_3) | instid1(VALU_DEP_3)
	v_cndmask_b32_e64 v9, v20, v9, s4
	v_cndmask_b32_e32 v15, v19, v18, vcc_lo
	v_add_co_u32 v18, vcc_lo, v13, 1
	v_add_co_ci_u32_e32 v19, vcc_lo, 0, v14, vcc_lo
	v_cmp_ne_u32_e32 vcc_lo, 0, v15
	s_delay_alu instid0(VALU_DEP_2) | instskip(SKIP_1) | instid1(VALU_DEP_2)
	v_dual_cndmask_b32 v10, v19, v17 :: v_dual_cndmask_b32 v15, v18, v16
	v_cmp_ne_u32_e32 vcc_lo, 0, v9
	v_dual_cndmask_b32 v9, v14, v10 :: v_dual_cndmask_b32 v10, v13, v15
                                        ; implicit-def: $vgpr15_vgpr16
	s_delay_alu instid0(VALU_DEP_1) | instskip(NEXT) | instid1(VALU_DEP_2)
	v_xor_b32_e32 v9, v9, v2
	v_xor_b32_e32 v10, v10, v2
	s_delay_alu instid0(VALU_DEP_1) | instskip(NEXT) | instid1(VALU_DEP_3)
	v_sub_co_u32 v13, vcc_lo, v10, v2
	v_sub_co_ci_u32_e32 v14, vcc_lo, v9, v2, vcc_lo
                                        ; implicit-def: $vgpr9_vgpr10
	s_and_not1_saveexec_b32 s4, s17
	s_cbranch_execz .LBB75_43
.LBB75_48:                              ;   in Loop: Header=BB75_25 Depth=1
	v_cvt_f32_u32_e32 v2, v15
	v_sub_nc_u32_e32 v10, 0, v15
	v_mov_b32_e32 v14, v1
	s_delay_alu instid0(VALU_DEP_3) | instskip(SKIP_2) | instid1(VALU_DEP_1)
	v_rcp_iflag_f32_e32 v2, v2
	s_waitcnt_depctr 0xfff
	v_mul_f32_e32 v2, 0x4f7ffffe, v2
	v_cvt_u32_f32_e32 v2, v2
	s_delay_alu instid0(VALU_DEP_1) | instskip(NEXT) | instid1(VALU_DEP_1)
	v_mul_lo_u32 v10, v10, v2
	v_mul_hi_u32 v10, v2, v10
	s_delay_alu instid0(VALU_DEP_1) | instskip(NEXT) | instid1(VALU_DEP_1)
	v_add_nc_u32_e32 v2, v2, v10
	v_mul_hi_u32 v2, v9, v2
	s_delay_alu instid0(VALU_DEP_1) | instskip(NEXT) | instid1(VALU_DEP_1)
	v_mul_lo_u32 v10, v2, v15
	v_sub_nc_u32_e32 v9, v9, v10
	v_add_nc_u32_e32 v10, 1, v2
	s_delay_alu instid0(VALU_DEP_2) | instskip(SKIP_1) | instid1(VALU_DEP_2)
	v_sub_nc_u32_e32 v13, v9, v15
	v_cmp_ge_u32_e32 vcc_lo, v9, v15
	v_dual_cndmask_b32 v9, v9, v13 :: v_dual_cndmask_b32 v2, v2, v10
	s_delay_alu instid0(VALU_DEP_1) | instskip(NEXT) | instid1(VALU_DEP_2)
	v_cmp_ge_u32_e32 vcc_lo, v9, v15
	v_add_nc_u32_e32 v10, 1, v2
	s_delay_alu instid0(VALU_DEP_1)
	v_cndmask_b32_e32 v13, v2, v10, vcc_lo
	s_or_b32 exec_lo, exec_lo, s4
	s_and_saveexec_b32 s4, s3
	s_cbranch_execz .LBB75_44
.LBB75_49:                              ;   in Loop: Header=BB75_25 Depth=1
	v_mul_lo_u32 v2, v6, s6
	v_mul_lo_u32 v6, v5, s7
	v_mad_u64_u32 v[9:10], null, v5, s6, 0
	s_mov_b32 s3, exec_lo
	s_delay_alu instid0(VALU_DEP_1) | instskip(NEXT) | instid1(VALU_DEP_1)
	v_add3_u32 v10, v10, v6, v2
                                        ; implicit-def: $vgpr5_vgpr6
	v_or_b32_e32 v2, v4, v10
	s_delay_alu instid0(VALU_DEP_1)
	v_cmpx_ne_u64_e32 0, v[1:2]
	s_xor_b32 s17, exec_lo, s3
	s_cbranch_execz .LBB75_51
; %bb.50:                               ;   in Loop: Header=BB75_25 Depth=1
	v_ashrrev_i32_e32 v17, 31, v10
	s_delay_alu instid0(VALU_DEP_1) | instskip(SKIP_1) | instid1(VALU_DEP_2)
	v_add_co_u32 v2, vcc_lo, v9, v17
	v_add_co_ci_u32_e32 v5, vcc_lo, v10, v17, vcc_lo
	v_xor_b32_e32 v18, v2, v17
	s_delay_alu instid0(VALU_DEP_2) | instskip(NEXT) | instid1(VALU_DEP_2)
	v_xor_b32_e32 v19, v5, v17
	v_cvt_f32_u32_e32 v2, v18
	v_sub_co_u32 v20, vcc_lo, 0, v18
	s_delay_alu instid0(VALU_DEP_3) | instskip(SKIP_1) | instid1(VALU_DEP_2)
	v_cvt_f32_u32_e32 v5, v19
	v_sub_co_ci_u32_e32 v43, vcc_lo, 0, v19, vcc_lo
	v_fmac_f32_e32 v2, 0x4f800000, v5
	s_delay_alu instid0(VALU_DEP_1) | instskip(SKIP_2) | instid1(VALU_DEP_1)
	v_rcp_f32_e32 v2, v2
	s_waitcnt_depctr 0xfff
	v_mul_f32_e32 v2, 0x5f7ffffc, v2
	v_mul_f32_e32 v5, 0x2f800000, v2
	s_delay_alu instid0(VALU_DEP_1) | instskip(NEXT) | instid1(VALU_DEP_1)
	v_trunc_f32_e32 v5, v5
	v_fmac_f32_e32 v2, 0xcf800000, v5
	v_cvt_u32_f32_e32 v44, v5
	s_delay_alu instid0(VALU_DEP_2) | instskip(NEXT) | instid1(VALU_DEP_2)
	v_cvt_u32_f32_e32 v2, v2
	v_mul_lo_u32 v9, v20, v44
	s_delay_alu instid0(VALU_DEP_2) | instskip(SKIP_1) | instid1(VALU_DEP_1)
	v_mul_lo_u32 v10, v43, v2
	v_mad_u64_u32 v[5:6], null, v20, v2, 0
	v_add3_u32 v45, v6, v9, v10
	s_delay_alu instid0(VALU_DEP_2) | instskip(SKIP_1) | instid1(VALU_DEP_3)
	v_mul_hi_u32 v46, v2, v5
	v_mad_u64_u32 v[15:16], null, v44, v5, 0
	v_mad_u64_u32 v[9:10], null, v2, v45, 0
	;; [unrolled: 1-line block ×3, first 2 shown]
	s_delay_alu instid0(VALU_DEP_2) | instskip(NEXT) | instid1(VALU_DEP_3)
	v_add_co_u32 v9, vcc_lo, v46, v9
	v_add_co_ci_u32_e32 v10, vcc_lo, 0, v10, vcc_lo
	s_delay_alu instid0(VALU_DEP_2) | instskip(NEXT) | instid1(VALU_DEP_2)
	v_add_co_u32 v9, vcc_lo, v9, v15
	v_add_co_ci_u32_e32 v9, vcc_lo, v10, v16, vcc_lo
	v_add_co_ci_u32_e32 v6, vcc_lo, 0, v6, vcc_lo
	s_delay_alu instid0(VALU_DEP_2) | instskip(NEXT) | instid1(VALU_DEP_2)
	v_add_co_u32 v5, vcc_lo, v9, v5
	v_add_co_ci_u32_e32 v6, vcc_lo, 0, v6, vcc_lo
	s_delay_alu instid0(VALU_DEP_2) | instskip(NEXT) | instid1(VALU_DEP_2)
	v_add_co_u32 v2, vcc_lo, v2, v5
	v_add_co_ci_u32_e32 v44, vcc_lo, v44, v6, vcc_lo
	s_delay_alu instid0(VALU_DEP_2) | instskip(SKIP_1) | instid1(VALU_DEP_3)
	v_mul_lo_u32 v9, v43, v2
	v_mad_u64_u32 v[5:6], null, v20, v2, 0
	v_mul_lo_u32 v10, v20, v44
	s_delay_alu instid0(VALU_DEP_2) | instskip(SKIP_1) | instid1(VALU_DEP_3)
	v_mul_hi_u32 v43, v2, v5
	v_mad_u64_u32 v[15:16], null, v44, v5, 0
	v_add3_u32 v20, v6, v10, v9
	s_delay_alu instid0(VALU_DEP_1) | instskip(SKIP_2) | instid1(VALU_DEP_3)
	v_mad_u64_u32 v[9:10], null, v2, v20, 0
	v_mad_u64_u32 v[5:6], null, v44, v20, 0
	v_ashrrev_i32_e32 v20, 31, v4
	v_add_co_u32 v9, vcc_lo, v43, v9
	s_delay_alu instid0(VALU_DEP_4) | instskip(NEXT) | instid1(VALU_DEP_2)
	v_add_co_ci_u32_e32 v10, vcc_lo, 0, v10, vcc_lo
	v_add_co_u32 v9, vcc_lo, v9, v15
	s_delay_alu instid0(VALU_DEP_2) | instskip(SKIP_3) | instid1(VALU_DEP_4)
	v_add_co_ci_u32_e32 v9, vcc_lo, v10, v16, vcc_lo
	v_add_co_ci_u32_e32 v6, vcc_lo, 0, v6, vcc_lo
	v_add_co_u32 v3, vcc_lo, v3, v20
	v_add_co_ci_u32_e32 v4, vcc_lo, v4, v20, vcc_lo
	v_add_co_u32 v5, vcc_lo, v9, v5
	s_delay_alu instid0(VALU_DEP_4) | instskip(NEXT) | instid1(VALU_DEP_4)
	v_add_co_ci_u32_e32 v6, vcc_lo, 0, v6, vcc_lo
	v_xor_b32_e32 v15, v3, v20
	s_delay_alu instid0(VALU_DEP_3) | instskip(NEXT) | instid1(VALU_DEP_3)
	v_add_co_u32 v9, vcc_lo, v2, v5
	v_add_co_ci_u32_e32 v6, vcc_lo, v44, v6, vcc_lo
	v_xor_b32_e32 v16, v4, v20
	s_delay_alu instid0(VALU_DEP_3) | instskip(NEXT) | instid1(VALU_DEP_3)
	v_mul_hi_u32 v43, v15, v9
	v_mad_u64_u32 v[2:3], null, v15, v6, 0
	s_delay_alu instid0(VALU_DEP_3) | instskip(SKIP_1) | instid1(VALU_DEP_3)
	v_mad_u64_u32 v[4:5], null, v16, v9, 0
	v_mad_u64_u32 v[9:10], null, v16, v6, 0
	v_add_co_u32 v2, vcc_lo, v43, v2
	s_delay_alu instid0(VALU_DEP_4) | instskip(NEXT) | instid1(VALU_DEP_2)
	v_add_co_ci_u32_e32 v3, vcc_lo, 0, v3, vcc_lo
	v_add_co_u32 v2, vcc_lo, v2, v4
	s_delay_alu instid0(VALU_DEP_2) | instskip(SKIP_1) | instid1(VALU_DEP_2)
	v_add_co_ci_u32_e32 v2, vcc_lo, v3, v5, vcc_lo
	v_add_co_ci_u32_e32 v3, vcc_lo, 0, v10, vcc_lo
	v_add_co_u32 v4, vcc_lo, v2, v9
	s_delay_alu instid0(VALU_DEP_2) | instskip(NEXT) | instid1(VALU_DEP_2)
	v_add_co_ci_u32_e32 v5, vcc_lo, 0, v3, vcc_lo
	v_mul_lo_u32 v6, v19, v4
	v_mad_u64_u32 v[2:3], null, v18, v4, 0
	s_delay_alu instid0(VALU_DEP_3) | instskip(NEXT) | instid1(VALU_DEP_2)
	v_mul_lo_u32 v9, v18, v5
	v_sub_co_u32 v2, vcc_lo, v15, v2
	s_delay_alu instid0(VALU_DEP_2) | instskip(NEXT) | instid1(VALU_DEP_1)
	v_add3_u32 v3, v3, v9, v6
	v_sub_nc_u32_e32 v6, v16, v3
	s_delay_alu instid0(VALU_DEP_1) | instskip(SKIP_1) | instid1(VALU_DEP_1)
	v_sub_co_ci_u32_e64 v6, s3, v6, v19, vcc_lo
	v_add_co_u32 v9, s3, v4, 2
	v_add_co_ci_u32_e64 v10, s3, 0, v5, s3
	v_sub_co_u32 v15, s3, v2, v18
	v_sub_co_ci_u32_e32 v3, vcc_lo, v16, v3, vcc_lo
	v_subrev_co_ci_u32_e64 v6, s3, 0, v6, s3
	s_delay_alu instid0(VALU_DEP_3) | instskip(NEXT) | instid1(VALU_DEP_3)
	v_cmp_ge_u32_e32 vcc_lo, v15, v18
	v_cmp_eq_u32_e64 s3, v3, v19
	v_cndmask_b32_e64 v15, 0, -1, vcc_lo
	s_delay_alu instid0(VALU_DEP_4)
	v_cmp_ge_u32_e32 vcc_lo, v6, v19
	v_cndmask_b32_e64 v16, 0, -1, vcc_lo
	v_cmp_ge_u32_e32 vcc_lo, v2, v18
	v_cndmask_b32_e64 v2, 0, -1, vcc_lo
	;; [unrolled: 2-line block ×3, first 2 shown]
	v_cmp_eq_u32_e32 vcc_lo, v6, v19
	s_delay_alu instid0(VALU_DEP_2) | instskip(SKIP_3) | instid1(VALU_DEP_3)
	v_cndmask_b32_e64 v2, v18, v2, s3
	v_cndmask_b32_e32 v6, v16, v15, vcc_lo
	v_add_co_u32 v15, vcc_lo, v4, 1
	v_add_co_ci_u32_e32 v16, vcc_lo, 0, v5, vcc_lo
	v_cmp_ne_u32_e32 vcc_lo, 0, v6
	s_delay_alu instid0(VALU_DEP_2) | instskip(SKIP_2) | instid1(VALU_DEP_3)
	v_dual_cndmask_b32 v3, v16, v10 :: v_dual_cndmask_b32 v6, v15, v9
	v_cmp_ne_u32_e32 vcc_lo, 0, v2
	v_xor_b32_e32 v2, v20, v17
                                        ; implicit-def: $vgpr9_vgpr10
	v_dual_cndmask_b32 v4, v4, v6 :: v_dual_cndmask_b32 v3, v5, v3
	s_delay_alu instid0(VALU_DEP_1) | instskip(NEXT) | instid1(VALU_DEP_2)
	v_xor_b32_e32 v4, v4, v2
	v_xor_b32_e32 v3, v3, v2
	s_delay_alu instid0(VALU_DEP_2) | instskip(NEXT) | instid1(VALU_DEP_2)
	v_sub_co_u32 v5, vcc_lo, v4, v2
	v_sub_co_ci_u32_e32 v6, vcc_lo, v3, v2, vcc_lo
                                        ; implicit-def: $vgpr3_vgpr4
.LBB75_51:                              ;   in Loop: Header=BB75_25 Depth=1
	s_and_not1_saveexec_b32 s3, s17
	s_cbranch_execz .LBB75_53
; %bb.52:                               ;   in Loop: Header=BB75_25 Depth=1
	v_cvt_f32_u32_e32 v2, v9
	v_sub_nc_u32_e32 v4, 0, v9
	v_mov_b32_e32 v6, v1
	s_delay_alu instid0(VALU_DEP_3) | instskip(SKIP_2) | instid1(VALU_DEP_1)
	v_rcp_iflag_f32_e32 v2, v2
	s_waitcnt_depctr 0xfff
	v_mul_f32_e32 v2, 0x4f7ffffe, v2
	v_cvt_u32_f32_e32 v2, v2
	s_delay_alu instid0(VALU_DEP_1) | instskip(NEXT) | instid1(VALU_DEP_1)
	v_mul_lo_u32 v4, v4, v2
	v_mul_hi_u32 v4, v2, v4
	s_delay_alu instid0(VALU_DEP_1) | instskip(NEXT) | instid1(VALU_DEP_1)
	v_add_nc_u32_e32 v2, v2, v4
	v_mul_hi_u32 v2, v3, v2
	s_delay_alu instid0(VALU_DEP_1) | instskip(NEXT) | instid1(VALU_DEP_1)
	v_mul_lo_u32 v4, v2, v9
	v_sub_nc_u32_e32 v3, v3, v4
	v_add_nc_u32_e32 v4, 1, v2
	s_delay_alu instid0(VALU_DEP_2) | instskip(SKIP_1) | instid1(VALU_DEP_2)
	v_sub_nc_u32_e32 v5, v3, v9
	v_cmp_ge_u32_e32 vcc_lo, v3, v9
	v_dual_cndmask_b32 v3, v3, v5 :: v_dual_cndmask_b32 v2, v2, v4
	s_delay_alu instid0(VALU_DEP_1) | instskip(NEXT) | instid1(VALU_DEP_2)
	v_cmp_ge_u32_e32 vcc_lo, v3, v9
	v_add_nc_u32_e32 v4, 1, v2
	s_delay_alu instid0(VALU_DEP_1)
	v_cndmask_b32_e32 v5, v2, v4, vcc_lo
.LBB75_53:                              ;   in Loop: Header=BB75_25 Depth=1
	s_or_b32 exec_lo, exec_lo, s3
	v_add_co_u32 v2, vcc_lo, v21, s8
	v_add_co_ci_u32_e32 v3, vcc_lo, s9, v22, vcc_lo
	global_store_b64 v[2:3], v[5:6], off
	s_or_b32 exec_lo, exec_lo, s4
	s_and_saveexec_b32 s3, s0
	s_cbranch_execz .LBB75_45
.LBB75_54:                              ;   in Loop: Header=BB75_25 Depth=1
	v_add_co_u32 v2, vcc_lo, v39, s8
	v_add_co_ci_u32_e32 v3, vcc_lo, s9, v40, vcc_lo
	global_store_b64 v[2:3], v[7:8], off
	s_or_b32 exec_lo, exec_lo, s3
	s_and_saveexec_b32 s0, s1
	s_cbranch_execz .LBB75_46
.LBB75_55:                              ;   in Loop: Header=BB75_25 Depth=1
	v_add_co_u32 v2, vcc_lo, v31, s8
	v_add_co_ci_u32_e32 v3, vcc_lo, s9, v32, vcc_lo
	global_store_b64 v[2:3], v[11:12], off
	s_or_b32 exec_lo, exec_lo, s0
	s_and_saveexec_b32 s0, s2
	s_cbranch_execz .LBB75_24
.LBB75_56:                              ;   in Loop: Header=BB75_25 Depth=1
	v_add_co_u32 v2, vcc_lo, v25, s8
	v_add_co_ci_u32_e32 v3, vcc_lo, s9, v26, vcc_lo
	global_store_b64 v[2:3], v[13:14], off
	s_branch .LBB75_24
.LBB75_57:
	s_nop 0
	s_sendmsg sendmsg(MSG_DEALLOC_VGPRS)
	s_endpgm
	.section	.rodata,"a",@progbits
	.p2align	6, 0x0
	.amdhsa_kernel _ZN2at6native12_GLOBAL__N_125multi_tensor_apply_kernelINS1_18TensorListMetadataILi2EEENS1_24BinaryOpListAlphaFunctorIlLi2ELi2ELi0EEEJSt7dividesIlElEEEvT_T0_DpT1_
		.amdhsa_group_segment_fixed_size 0
		.amdhsa_private_segment_fixed_size 0
		.amdhsa_kernarg_size 3416
		.amdhsa_user_sgpr_count 15
		.amdhsa_user_sgpr_dispatch_ptr 0
		.amdhsa_user_sgpr_queue_ptr 0
		.amdhsa_user_sgpr_kernarg_segment_ptr 1
		.amdhsa_user_sgpr_dispatch_id 0
		.amdhsa_user_sgpr_private_segment_size 0
		.amdhsa_wavefront_size32 1
		.amdhsa_uses_dynamic_stack 0
		.amdhsa_enable_private_segment 0
		.amdhsa_system_sgpr_workgroup_id_x 1
		.amdhsa_system_sgpr_workgroup_id_y 0
		.amdhsa_system_sgpr_workgroup_id_z 0
		.amdhsa_system_sgpr_workgroup_info 0
		.amdhsa_system_vgpr_workitem_id 0
		.amdhsa_next_free_vgpr 53
		.amdhsa_next_free_sgpr 26
		.amdhsa_reserve_vcc 1
		.amdhsa_float_round_mode_32 0
		.amdhsa_float_round_mode_16_64 0
		.amdhsa_float_denorm_mode_32 3
		.amdhsa_float_denorm_mode_16_64 3
		.amdhsa_dx10_clamp 1
		.amdhsa_ieee_mode 1
		.amdhsa_fp16_overflow 0
		.amdhsa_workgroup_processor_mode 1
		.amdhsa_memory_ordered 1
		.amdhsa_forward_progress 0
		.amdhsa_shared_vgpr_count 0
		.amdhsa_exception_fp_ieee_invalid_op 0
		.amdhsa_exception_fp_denorm_src 0
		.amdhsa_exception_fp_ieee_div_zero 0
		.amdhsa_exception_fp_ieee_overflow 0
		.amdhsa_exception_fp_ieee_underflow 0
		.amdhsa_exception_fp_ieee_inexact 0
		.amdhsa_exception_int_div_zero 0
	.end_amdhsa_kernel
	.section	.text._ZN2at6native12_GLOBAL__N_125multi_tensor_apply_kernelINS1_18TensorListMetadataILi2EEENS1_24BinaryOpListAlphaFunctorIlLi2ELi2ELi0EEEJSt7dividesIlElEEEvT_T0_DpT1_,"axG",@progbits,_ZN2at6native12_GLOBAL__N_125multi_tensor_apply_kernelINS1_18TensorListMetadataILi2EEENS1_24BinaryOpListAlphaFunctorIlLi2ELi2ELi0EEEJSt7dividesIlElEEEvT_T0_DpT1_,comdat
.Lfunc_end75:
	.size	_ZN2at6native12_GLOBAL__N_125multi_tensor_apply_kernelINS1_18TensorListMetadataILi2EEENS1_24BinaryOpListAlphaFunctorIlLi2ELi2ELi0EEEJSt7dividesIlElEEEvT_T0_DpT1_, .Lfunc_end75-_ZN2at6native12_GLOBAL__N_125multi_tensor_apply_kernelINS1_18TensorListMetadataILi2EEENS1_24BinaryOpListAlphaFunctorIlLi2ELi2ELi0EEEJSt7dividesIlElEEEvT_T0_DpT1_
                                        ; -- End function
	.section	.AMDGPU.csdata,"",@progbits
; Kernel info:
; codeLenInByte = 9368
; NumSgprs: 28
; NumVgprs: 53
; ScratchSize: 0
; MemoryBound: 1
; FloatMode: 240
; IeeeMode: 1
; LDSByteSize: 0 bytes/workgroup (compile time only)
; SGPRBlocks: 3
; VGPRBlocks: 6
; NumSGPRsForWavesPerEU: 28
; NumVGPRsForWavesPerEU: 53
; Occupancy: 16
; WaveLimiterHint : 0
; COMPUTE_PGM_RSRC2:SCRATCH_EN: 0
; COMPUTE_PGM_RSRC2:USER_SGPR: 15
; COMPUTE_PGM_RSRC2:TRAP_HANDLER: 0
; COMPUTE_PGM_RSRC2:TGID_X_EN: 1
; COMPUTE_PGM_RSRC2:TGID_Y_EN: 0
; COMPUTE_PGM_RSRC2:TGID_Z_EN: 0
; COMPUTE_PGM_RSRC2:TIDIG_COMP_CNT: 0
	.section	.text._ZN2at6native12_GLOBAL__N_125multi_tensor_apply_kernelINS1_18TensorListMetadataILi2EEENS1_24BinaryOpListAlphaFunctorIsLi2ELi2ELi0EEEJSt7dividesIsEsEEEvT_T0_DpT1_,"axG",@progbits,_ZN2at6native12_GLOBAL__N_125multi_tensor_apply_kernelINS1_18TensorListMetadataILi2EEENS1_24BinaryOpListAlphaFunctorIsLi2ELi2ELi0EEEJSt7dividesIsEsEEEvT_T0_DpT1_,comdat
	.globl	_ZN2at6native12_GLOBAL__N_125multi_tensor_apply_kernelINS1_18TensorListMetadataILi2EEENS1_24BinaryOpListAlphaFunctorIsLi2ELi2ELi0EEEJSt7dividesIsEsEEEvT_T0_DpT1_ ; -- Begin function _ZN2at6native12_GLOBAL__N_125multi_tensor_apply_kernelINS1_18TensorListMetadataILi2EEENS1_24BinaryOpListAlphaFunctorIsLi2ELi2ELi0EEEJSt7dividesIsEsEEEvT_T0_DpT1_
	.p2align	8
	.type	_ZN2at6native12_GLOBAL__N_125multi_tensor_apply_kernelINS1_18TensorListMetadataILi2EEENS1_24BinaryOpListAlphaFunctorIsLi2ELi2ELi0EEEJSt7dividesIsEsEEEvT_T0_DpT1_,@function
_ZN2at6native12_GLOBAL__N_125multi_tensor_apply_kernelINS1_18TensorListMetadataILi2EEENS1_24BinaryOpListAlphaFunctorIsLi2ELi2ELi0EEEJSt7dividesIsEsEEEvT_T0_DpT1_: ; @_ZN2at6native12_GLOBAL__N_125multi_tensor_apply_kernelINS1_18TensorListMetadataILi2EEENS1_24BinaryOpListAlphaFunctorIsLi2ELi2ELi0EEEJSt7dividesIsEsEEEvT_T0_DpT1_
; %bb.0:
	v_mov_b32_e32 v1, s15
	s_mul_i32 s4, s15, 3
	s_mul_hi_u32 s3, s15, 3
	s_mov_b32 s9, 0
	s_load_b32 s2, s[0:1], 0xc48
	global_load_u8 v1, v1, s[0:1] offset:1536
	s_mov_b32 s19, s9
	s_mov_b32 s17, s9
	s_waitcnt lgkmcnt(0)
	s_lshr_b32 s14, s2, 16
	s_add_u32 s2, s0, s15
	s_addc_u32 s5, s1, 0
	s_add_u32 s2, s2, s4
	s_addc_u32 s3, s5, s3
	s_load_b32 s2, s[2:3], 0x740
	s_waitcnt vmcnt(0)
	v_readfirstlane_b32 s6, v1
	s_delay_alu instid0(VALU_DEP_1)
	s_lshl_b32 s3, s6, 3
	s_clause 0x2
	s_load_b64 s[10:11], s[0:1], s3 offset:0x0
	s_load_b64 s[12:13], s[0:1], s3 offset:0x200
	;; [unrolled: 1-line block ×3, first 2 shown]
	s_waitcnt lgkmcnt(0)
	s_ashr_i32 s3, s2, 31
	s_delay_alu instid0(SALU_CYCLE_1) | instskip(SKIP_4) | instid1(SALU_CYCLE_1)
	s_lshl_b64 s[4:5], s[2:3], 17
	s_lshl_b64 s[2:3], s[2:3], 16
	s_and_b32 s8, s10, 7
	s_and_b32 s16, s12, 7
	;; [unrolled: 1-line block ×3, first 2 shown]
	s_or_b64 s[8:9], s[8:9], s[18:19]
	s_delay_alu instid0(SALU_CYCLE_1)
	s_or_b64 s[8:9], s[16:17], s[8:9]
	s_sub_u32 s6, s6, s2
	s_subb_u32 s7, s7, s3
	s_cmp_eq_u64 s[8:9], 0
	s_mov_b32 s2, -1
	s_cbranch_scc0 .LBB76_5
; %bb.1:
	v_dual_mov_b32 v2, 0 :: v_dual_lshlrev_b32 v1, 2, v0
	s_mov_b32 s8, exec_lo
	s_delay_alu instid0(VALU_DEP_1)
	v_cmpx_gt_i64_e64 s[6:7], v[1:2]
	s_cbranch_execz .LBB76_4
; %bb.2:
	s_load_b32 s2, s[0:1], 0xc5c
	v_lshlrev_b32_e32 v1, 3, v0
	s_mov_b32 s9, 0
	s_delay_alu instid0(VALU_DEP_1) | instskip(NEXT) | instid1(VALU_DEP_1)
	v_add_co_u32 v3, s3, s4, v1
	v_add_co_ci_u32_e64 v4, null, s5, 0, s3
	s_waitcnt lgkmcnt(0)
	s_and_b32 s2, s2, 0xffff
	s_delay_alu instid0(SALU_CYCLE_1)
	v_add_lshl_u32 v1, v0, s2, 2
	s_lshl_b32 s15, s2, 3
	s_lshl_b32 s16, s2, 2
.LBB76_3:                               ; =>This Inner Loop Header: Depth=1
	v_add_co_u32 v5, vcc_lo, s12, v3
	v_add_co_ci_u32_e32 v6, vcc_lo, s13, v4, vcc_lo
	v_add_co_u32 v7, vcc_lo, s10, v3
	v_add_co_ci_u32_e32 v8, vcc_lo, s11, v4, vcc_lo
	v_add_co_u32 v3, s3, v3, s15
	global_load_b64 v[5:6], v[5:6], off
	global_load_b64 v[9:10], v[7:8], off
	v_add_co_ci_u32_e64 v4, s3, 0, v4, s3
	v_cmp_le_i64_e32 vcc_lo, s[6:7], v[1:2]
	v_cmp_lt_u64_e64 s2, 0xffff, v[1:2]
	s_delay_alu instid0(VALU_DEP_1) | instskip(NEXT) | instid1(SALU_CYCLE_1)
	s_or_b32 s2, vcc_lo, s2
	s_and_b32 s2, exec_lo, s2
	s_delay_alu instid0(SALU_CYCLE_1)
	s_or_b32 s9, s2, s9
	s_waitcnt vmcnt(1)
	v_mul_lo_u16 v11, v5, s14
	s_waitcnt vmcnt(0)
	v_bfe_i32 v12, v9, 0, 16
	v_lshrrev_b32_e32 v5, 16, v5
	v_ashrrev_i32_e32 v13, 16, v9
	v_mul_lo_u16 v14, v6, s14
	v_alignbit_b32 v9, v10, v9, 16
	v_bfe_i32 v11, v11, 0, 16
	v_lshrrev_b32_e32 v6, 16, v6
	v_cvt_f32_i32_e32 v15, v12
	v_mul_lo_u16 v5, v5, s14
	v_ashrrev_i32_e32 v9, 16, v9
	v_bfe_i32 v14, v14, 0, 16
	v_xor_b32_e32 v12, v12, v11
	v_cvt_f32_i32_e32 v11, v11
	v_mul_lo_u16 v6, v6, s14
	v_bfe_i32 v5, v5, 0, 16
	v_xor_b32_e32 v18, v9, v14
	v_cvt_f32_i32_e32 v14, v14
	v_rcp_iflag_f32_e32 v19, v11
	v_ashrrev_i32_e32 v10, 16, v10
	v_cvt_f32_i32_e32 v16, v13
	v_bfe_i32 v6, v6, 0, 16
	v_xor_b32_e32 v13, v13, v5
	v_cvt_f32_i32_e32 v5, v5
	v_rcp_iflag_f32_e32 v20, v14
	v_cvt_f32_i32_e32 v17, v10
	v_cvt_f32_i32_e32 v9, v9
	v_xor_b32_e32 v10, v10, v6
	v_cvt_f32_i32_e32 v6, v6
	v_rcp_iflag_f32_e32 v21, v5
	v_mul_f32_e32 v19, v15, v19
	v_ashrrev_i32_e32 v12, 30, v12
	v_ashrrev_i32_e32 v18, 30, v18
	v_rcp_iflag_f32_e32 v22, v6
	v_mul_f32_e32 v20, v9, v20
	v_trunc_f32_e32 v19, v19
	v_or_b32_e32 v12, 1, v12
	v_ashrrev_i32_e32 v13, 30, v13
	v_or_b32_e32 v18, 1, v18
	v_mul_f32_e32 v21, v16, v21
	v_trunc_f32_e32 v20, v20
	v_fma_f32 v15, -v19, v11, v15
	v_ashrrev_i32_e32 v10, 30, v10
	v_mul_f32_e32 v22, v17, v22
	v_trunc_f32_e32 v21, v21
	v_fma_f32 v9, -v20, v14, v9
	v_cmp_ge_f32_e64 s3, |v15|, |v11|
	v_or_b32_e32 v13, 1, v13
	v_trunc_f32_e32 v22, v22
	v_or_b32_e32 v10, 1, v10
	v_cvt_i32_f32_e32 v19, v19
	v_cndmask_b32_e64 v11, 0, v12, s3
	v_fma_f32 v12, -v21, v5, v16
	v_cmp_ge_f32_e64 s3, |v9|, |v14|
	v_fma_f32 v14, -v22, v6, v17
	v_cvt_i32_f32_e32 v20, v20
	v_cvt_i32_f32_e32 v15, v21
	;; [unrolled: 1-line block ×3, first 2 shown]
	v_cndmask_b32_e64 v9, 0, v18, s3
	v_cmp_ge_f32_e64 s3, |v12|, |v5|
	v_add_nc_u32_e32 v11, v19, v11
	s_delay_alu instid0(VALU_DEP_3) | instskip(NEXT) | instid1(VALU_DEP_3)
	v_add_nc_u32_e32 v9, v20, v9
	v_cndmask_b32_e64 v5, 0, v13, s3
	v_cmp_ge_f32_e64 s3, |v14|, |v6|
	s_delay_alu instid0(VALU_DEP_3) | instskip(NEXT) | instid1(VALU_DEP_3)
	v_and_b32_e32 v9, 0xffff, v9
	v_add_nc_u32_e32 v5, v15, v5
	s_delay_alu instid0(VALU_DEP_3) | instskip(SKIP_2) | instid1(VALU_DEP_1)
	v_cndmask_b32_e64 v6, 0, v10, s3
	v_and_b32_e32 v10, 0xffff, v11
	v_add_co_u32 v1, s3, v1, s16
	v_add_co_ci_u32_e64 v2, s3, 0, v2, s3
	s_delay_alu instid0(VALU_DEP_4) | instskip(NEXT) | instid1(VALU_DEP_4)
	v_add_lshl_u32 v6, v16, v6, 16
	v_lshl_or_b32 v5, v5, 16, v10
	s_delay_alu instid0(VALU_DEP_2)
	v_or_b32_e32 v6, v9, v6
	global_store_b64 v[7:8], v[5:6], off
	s_and_not1_b32 exec_lo, exec_lo, s9
	s_cbranch_execnz .LBB76_3
.LBB76_4:
	s_or_b32 exec_lo, exec_lo, s8
	s_mov_b32 s2, 0
.LBB76_5:
	s_delay_alu instid0(SALU_CYCLE_1)
	s_and_not1_b32 vcc_lo, exec_lo, s2
	s_cbranch_vccnz .LBB76_25
; %bb.6:
	v_cmp_lt_i64_e64 s2, s[6:7], 1
	s_delay_alu instid0(VALU_DEP_1)
	s_and_b32 vcc_lo, exec_lo, s2
	s_cbranch_vccnz .LBB76_25
; %bb.7:
	s_load_b32 s0, s[0:1], 0xc5c
	v_dual_mov_b32 v2, 0 :: v_dual_lshlrev_b32 v1, 1, v0
	v_cmp_gt_u64_e64 s1, 0x10000, s[6:7]
	s_delay_alu instid0(VALU_DEP_2) | instskip(NEXT) | instid1(VALU_DEP_1)
	v_add_co_u32 v3, s2, s10, v1
	v_add_co_ci_u32_e64 v4, null, s11, 0, s2
	v_add_co_u32 v5, s2, s12, v1
	s_delay_alu instid0(VALU_DEP_1)
	v_add_co_ci_u32_e64 v6, null, s13, 0, s2
	s_waitcnt lgkmcnt(0)
	s_and_b32 s0, s0, 0xffff
	s_and_b32 s1, s1, exec_lo
	v_mad_u64_u32 v[9:10], null, s0, 6, v[1:2]
	s_cselect_b32 s9, s7, 0
	s_cselect_b32 s8, s6, 0x10000
	s_lshl_b32 s15, s0, 2
	s_mul_i32 s2, s0, 3
	v_add_co_u32 v1, s3, s15, v1
	s_delay_alu instid0(VALU_DEP_2) | instskip(NEXT) | instid1(VALU_DEP_3)
	v_add_co_u32 v7, vcc_lo, s10, v9
	v_add_co_ci_u32_e32 v8, vcc_lo, s11, v10, vcc_lo
	v_add_co_u32 v11, s2, s2, v0
	v_add_co_u32 v9, vcc_lo, s12, v9
	v_add_co_ci_u32_e64 v2, null, 0, 0, s3
	v_add_co_ci_u32_e64 v12, null, 0, 0, s2
	v_add_co_u32 v15, s2, v0, s0
	v_add_co_ci_u32_e32 v10, vcc_lo, s13, v10, vcc_lo
	v_add_co_u32 v13, vcc_lo, s10, v1
	v_add_co_ci_u32_e32 v14, vcc_lo, s11, v2, vcc_lo
	v_add_co_u32 v16, vcc_lo, s12, v1
	v_lshlrev_b32_e32 v1, 1, v15
	s_lshl_b32 s1, s0, 1
	v_add_co_ci_u32_e32 v17, vcc_lo, s13, v2, vcc_lo
	v_add_co_u32 v19, s1, s1, v0
	s_delay_alu instid0(VALU_DEP_1) | instskip(SKIP_1) | instid1(VALU_DEP_1)
	v_add_co_ci_u32_e64 v20, null, 0, 0, s1
	v_add_co_u32 v21, s1, s10, v1
	v_add_co_ci_u32_e64 v22, null, s11, 0, s1
	v_add_co_u32 v23, s1, s12, v1
	v_add_co_ci_u32_e64 v18, null, 0, 0, s2
	v_add_co_ci_u32_e64 v24, null, s13, 0, s1
	s_mov_b32 s12, 0
	s_lshl_b32 s13, s0, 3
	s_mov_b64 s[10:11], 0
	s_branch .LBB76_9
.LBB76_8:                               ;   in Loop: Header=BB76_9 Depth=1
	s_or_b32 exec_lo, exec_lo, s0
	v_add_co_u32 v3, vcc_lo, v3, s13
	v_add_co_ci_u32_e32 v4, vcc_lo, 0, v4, vcc_lo
	v_add_co_u32 v5, vcc_lo, v5, s13
	v_add_co_ci_u32_e32 v6, vcc_lo, 0, v6, vcc_lo
	;; [unrolled: 2-line block ×5, first 2 shown]
	s_add_u32 s10, s10, s15
	v_add_co_u32 v16, vcc_lo, v16, s13
	s_addc_u32 s11, s11, 0
	v_add_co_ci_u32_e32 v17, vcc_lo, 0, v17, vcc_lo
	v_cmp_ge_i64_e64 s0, s[10:11], s[6:7]
	v_cmp_lt_u64_e64 s1, 0xffff, s[10:11]
	v_add_co_u32 v21, vcc_lo, v21, s13
	v_add_co_ci_u32_e32 v22, vcc_lo, 0, v22, vcc_lo
	v_add_co_u32 v23, vcc_lo, v23, s13
	v_add_co_ci_u32_e32 v24, vcc_lo, 0, v24, vcc_lo
	s_or_b32 s0, s0, s1
	s_delay_alu instid0(SALU_CYCLE_1)
	s_and_b32 vcc_lo, exec_lo, s0
	s_cbranch_vccnz .LBB76_25
.LBB76_9:                               ; =>This Inner Loop Header: Depth=1
	v_add_co_u32 v1, s0, v0, s10
	s_delay_alu instid0(VALU_DEP_1) | instskip(SKIP_2) | instid1(VALU_DEP_2)
	v_add_co_ci_u32_e64 v2, null, 0, s11, s0
	s_waitcnt vmcnt(0)
	v_mov_b32_e32 v26, 0
	v_cmp_gt_u64_e32 vcc_lo, s[8:9], v[1:2]
	v_mov_b32_e32 v1, 0
	v_mov_b32_e32 v2, 0
	s_and_saveexec_b32 s1, vcc_lo
	s_cbranch_execz .LBB76_11
; %bb.10:                               ;   in Loop: Header=BB76_9 Depth=1
	v_add_co_u32 v1, s0, v3, s4
	s_delay_alu instid0(VALU_DEP_1) | instskip(SKIP_2) | instid1(VALU_DEP_1)
	v_add_co_ci_u32_e64 v2, s0, s5, v4, s0
	global_load_u16 v25, v[1:2], off
	v_add_co_u32 v1, s0, v5, s4
	v_add_co_ci_u32_e64 v2, s0, s5, v6, s0
	global_load_u16 v26, v[1:2], off
	s_waitcnt vmcnt(1)
	v_dual_mov_b32 v2, s12 :: v_dual_and_b32 v1, 0xffff, v25
.LBB76_11:                              ;   in Loop: Header=BB76_9 Depth=1
	s_or_b32 exec_lo, exec_lo, s1
	v_add_co_u32 v27, s0, v15, s10
	s_delay_alu instid0(VALU_DEP_1) | instskip(SKIP_1) | instid1(VALU_DEP_2)
	v_add_co_ci_u32_e64 v28, s0, s11, v18, s0
	v_mov_b32_e32 v25, 0
	v_cmp_gt_u64_e64 s0, s[8:9], v[27:28]
	v_mov_b32_e32 v27, 0
	s_delay_alu instid0(VALU_DEP_2)
	s_and_saveexec_b32 s2, s0
	s_cbranch_execz .LBB76_13
; %bb.12:                               ;   in Loop: Header=BB76_9 Depth=1
	v_add_co_u32 v27, s1, v21, s4
	s_delay_alu instid0(VALU_DEP_1) | instskip(SKIP_2) | instid1(VALU_DEP_1)
	v_add_co_ci_u32_e64 v28, s1, s5, v22, s1
	global_load_u16 v29, v[27:28], off
	v_add_co_u32 v27, s1, v23, s4
	v_add_co_ci_u32_e64 v28, s1, s5, v24, s1
	global_load_u16 v27, v[27:28], off
	s_waitcnt vmcnt(1)
	v_lshl_or_b32 v1, v29, 16, v1
.LBB76_13:                              ;   in Loop: Header=BB76_9 Depth=1
	s_or_b32 exec_lo, exec_lo, s2
	v_add_co_u32 v28, s1, v19, s10
	s_delay_alu instid0(VALU_DEP_1) | instskip(NEXT) | instid1(VALU_DEP_1)
	v_add_co_ci_u32_e64 v29, s1, s11, v20, s1
	v_cmp_gt_u64_e64 s2, s[8:9], v[28:29]
	s_delay_alu instid0(VALU_DEP_1)
	s_and_saveexec_b32 s3, s2
	s_cbranch_execz .LBB76_15
; %bb.14:                               ;   in Loop: Header=BB76_9 Depth=1
	v_add_co_u32 v28, s1, v13, s4
	s_delay_alu instid0(VALU_DEP_1) | instskip(SKIP_2) | instid1(VALU_DEP_1)
	v_add_co_ci_u32_e64 v29, s1, s5, v14, s1
	global_load_u16 v30, v[28:29], off
	v_add_co_u32 v28, s1, v16, s4
	v_add_co_ci_u32_e64 v29, s1, s5, v17, s1
	global_load_u16 v25, v[28:29], off
	s_waitcnt vmcnt(1)
	v_or_b32_e32 v2, v30, v2
.LBB76_15:                              ;   in Loop: Header=BB76_9 Depth=1
	s_or_b32 exec_lo, exec_lo, s3
	v_add_co_u32 v28, s1, v11, s10
	s_delay_alu instid0(VALU_DEP_1) | instskip(NEXT) | instid1(VALU_DEP_1)
	v_add_co_ci_u32_e64 v29, s1, s11, v12, s1
	v_cmp_gt_u64_e64 s1, s[8:9], v[28:29]
	v_mov_b32_e32 v28, 0
	s_delay_alu instid0(VALU_DEP_2)
	s_and_saveexec_b32 s16, s1
	s_cbranch_execnz .LBB76_20
; %bb.16:                               ;   in Loop: Header=BB76_9 Depth=1
	s_or_b32 exec_lo, exec_lo, s16
	s_and_saveexec_b32 s3, vcc_lo
	s_cbranch_execnz .LBB76_21
.LBB76_17:                              ;   in Loop: Header=BB76_9 Depth=1
	s_or_b32 exec_lo, exec_lo, s3
	s_and_saveexec_b32 s3, s0
	s_cbranch_execnz .LBB76_22
.LBB76_18:                              ;   in Loop: Header=BB76_9 Depth=1
	s_or_b32 exec_lo, exec_lo, s3
	s_and_saveexec_b32 s0, s2
	s_cbranch_execnz .LBB76_23
.LBB76_19:                              ;   in Loop: Header=BB76_9 Depth=1
	s_or_b32 exec_lo, exec_lo, s0
	s_and_saveexec_b32 s0, s1
	s_cbranch_execz .LBB76_8
	s_branch .LBB76_24
.LBB76_20:                              ;   in Loop: Header=BB76_9 Depth=1
	v_add_co_u32 v28, s3, v7, s4
	s_delay_alu instid0(VALU_DEP_1) | instskip(SKIP_3) | instid1(VALU_DEP_1)
	v_add_co_ci_u32_e64 v29, s3, s5, v8, s3
	v_mov_b32_e32 v30, 0
	global_load_d16_hi_b16 v30, v[28:29], off
	v_add_co_u32 v28, s3, v9, s4
	v_add_co_ci_u32_e64 v29, s3, s5, v10, s3
	global_load_u16 v28, v[28:29], off
	s_waitcnt vmcnt(1)
	v_or_b32_e32 v2, v30, v2
	s_or_b32 exec_lo, exec_lo, s16
	s_and_saveexec_b32 s3, vcc_lo
	s_cbranch_execz .LBB76_17
.LBB76_21:                              ;   in Loop: Header=BB76_9 Depth=1
	s_waitcnt vmcnt(0)
	v_mul_lo_u16 v26, v26, s14
	v_bfe_i32 v30, v1, 0, 16
	s_delay_alu instid0(VALU_DEP_2) | instskip(NEXT) | instid1(VALU_DEP_2)
	v_bfe_i32 v26, v26, 0, 16
	v_cvt_f32_i32_e32 v32, v30
	s_delay_alu instid0(VALU_DEP_2) | instskip(SKIP_1) | instid1(VALU_DEP_2)
	v_cvt_f32_i32_e32 v29, v26
	v_xor_b32_e32 v26, v30, v26
	v_rcp_iflag_f32_e32 v31, v29
	s_delay_alu instid0(VALU_DEP_1) | instskip(NEXT) | instid1(VALU_DEP_1)
	v_ashrrev_i32_e32 v26, 30, v26
	v_or_b32_e32 v26, 1, v26
	s_waitcnt_depctr 0xfff
	v_mul_f32_e32 v31, v32, v31
	s_delay_alu instid0(VALU_DEP_1) | instskip(NEXT) | instid1(VALU_DEP_1)
	v_trunc_f32_e32 v30, v31
	v_fma_f32 v31, -v30, v29, v32
	v_cvt_i32_f32_e32 v30, v30
	s_delay_alu instid0(VALU_DEP_2) | instskip(SKIP_2) | instid1(VALU_DEP_2)
	v_cmp_ge_f32_e64 vcc_lo, |v31|, |v29|
	v_cndmask_b32_e32 v26, 0, v26, vcc_lo
	v_add_co_u32 v29, vcc_lo, v3, s4
	v_add_nc_u32_e32 v26, v30, v26
	v_add_co_ci_u32_e32 v30, vcc_lo, s5, v4, vcc_lo
	global_store_b16 v[29:30], v26, off
	s_or_b32 exec_lo, exec_lo, s3
	s_and_saveexec_b32 s3, s0
	s_cbranch_execz .LBB76_18
.LBB76_22:                              ;   in Loop: Header=BB76_9 Depth=1
	s_waitcnt vmcnt(0)
	v_mul_lo_u16 v26, v27, s14
	v_ashrrev_i32_e32 v29, 16, v1
	s_delay_alu instid0(VALU_DEP_2) | instskip(NEXT) | instid1(VALU_DEP_2)
	v_bfe_i32 v26, v26, 0, 16
	v_cvt_f32_i32_e32 v31, v29
	s_delay_alu instid0(VALU_DEP_2) | instskip(SKIP_1) | instid1(VALU_DEP_2)
	v_cvt_f32_i32_e32 v27, v26
	v_xor_b32_e32 v26, v29, v26
	v_rcp_iflag_f32_e32 v30, v27
	s_delay_alu instid0(VALU_DEP_1) | instskip(NEXT) | instid1(VALU_DEP_1)
	v_ashrrev_i32_e32 v26, 30, v26
	v_or_b32_e32 v26, 1, v26
	s_waitcnt_depctr 0xfff
	v_mul_f32_e32 v30, v31, v30
	s_delay_alu instid0(VALU_DEP_1) | instskip(NEXT) | instid1(VALU_DEP_1)
	v_trunc_f32_e32 v29, v30
	v_fma_f32 v30, -v29, v27, v31
	v_cvt_i32_f32_e32 v29, v29
	s_delay_alu instid0(VALU_DEP_2) | instskip(SKIP_1) | instid1(VALU_DEP_1)
	v_cmp_ge_f32_e64 vcc_lo, |v30|, |v27|
	v_cndmask_b32_e32 v26, 0, v26, vcc_lo
	v_add_nc_u32_e32 v29, v29, v26
	v_add_co_u32 v26, vcc_lo, v21, s4
	v_add_co_ci_u32_e32 v27, vcc_lo, s5, v22, vcc_lo
	global_store_b16 v[26:27], v29, off
	s_or_b32 exec_lo, exec_lo, s3
	s_and_saveexec_b32 s0, s2
	s_cbranch_execz .LBB76_19
.LBB76_23:                              ;   in Loop: Header=BB76_9 Depth=1
	s_waitcnt vmcnt(0)
	v_mul_lo_u16 v25, v25, s14
	v_alignbit_b32 v26, v2, v1, 16
	s_delay_alu instid0(VALU_DEP_2) | instskip(NEXT) | instid1(VALU_DEP_2)
	v_bfe_i32 v25, v25, 0, 16
	v_ashrrev_i32_e32 v26, 16, v26
	s_delay_alu instid0(VALU_DEP_2) | instskip(NEXT) | instid1(VALU_DEP_2)
	v_cvt_f32_i32_e32 v27, v25
	v_cvt_f32_i32_e32 v30, v26
	v_xor_b32_e32 v25, v26, v25
	s_delay_alu instid0(VALU_DEP_3) | instskip(NEXT) | instid1(VALU_DEP_1)
	v_rcp_iflag_f32_e32 v29, v27
	v_ashrrev_i32_e32 v25, 30, v25
	s_delay_alu instid0(VALU_DEP_1) | instskip(SKIP_2) | instid1(VALU_DEP_1)
	v_or_b32_e32 v25, 1, v25
	s_waitcnt_depctr 0xfff
	v_mul_f32_e32 v29, v30, v29
	v_trunc_f32_e32 v26, v29
	s_delay_alu instid0(VALU_DEP_1) | instskip(SKIP_1) | instid1(VALU_DEP_2)
	v_fma_f32 v29, -v26, v27, v30
	v_cvt_i32_f32_e32 v26, v26
	v_cmp_ge_f32_e64 vcc_lo, |v29|, |v27|
	v_cndmask_b32_e32 v25, 0, v25, vcc_lo
	s_delay_alu instid0(VALU_DEP_1)
	v_add_nc_u32_e32 v27, v26, v25
	v_add_co_u32 v25, vcc_lo, v13, s4
	v_add_co_ci_u32_e32 v26, vcc_lo, s5, v14, vcc_lo
	global_store_b16 v[25:26], v27, off
	s_or_b32 exec_lo, exec_lo, s0
	s_and_saveexec_b32 s0, s1
	s_cbranch_execz .LBB76_8
.LBB76_24:                              ;   in Loop: Header=BB76_9 Depth=1
	s_waitcnt vmcnt(0)
	v_mul_lo_u16 v25, v28, s14
	v_ashrrev_i64 v[1:2], 48, v[1:2]
	s_delay_alu instid0(VALU_DEP_2) | instskip(NEXT) | instid1(VALU_DEP_2)
	v_bfe_i32 v25, v25, 0, 16
	v_cvt_f32_i32_e32 v27, v1
	s_delay_alu instid0(VALU_DEP_2) | instskip(SKIP_1) | instid1(VALU_DEP_2)
	v_cvt_f32_i32_e32 v26, v25
	v_xor_b32_e32 v1, v1, v25
	v_rcp_iflag_f32_e32 v2, v26
	s_delay_alu instid0(VALU_DEP_1) | instskip(NEXT) | instid1(VALU_DEP_1)
	v_ashrrev_i32_e32 v1, 30, v1
	v_or_b32_e32 v1, 1, v1
	s_waitcnt_depctr 0xfff
	v_mul_f32_e32 v2, v27, v2
	s_delay_alu instid0(VALU_DEP_1) | instskip(NEXT) | instid1(VALU_DEP_1)
	v_trunc_f32_e32 v2, v2
	v_fma_f32 v25, -v2, v26, v27
	v_cvt_i32_f32_e32 v2, v2
	s_delay_alu instid0(VALU_DEP_2) | instskip(SKIP_1) | instid1(VALU_DEP_1)
	v_cmp_ge_f32_e64 vcc_lo, |v25|, |v26|
	v_cndmask_b32_e32 v1, 0, v1, vcc_lo
	v_add_nc_u32_e32 v25, v2, v1
	v_add_co_u32 v1, vcc_lo, v7, s4
	v_add_co_ci_u32_e32 v2, vcc_lo, s5, v8, vcc_lo
	global_store_b16 v[1:2], v25, off
	s_branch .LBB76_8
.LBB76_25:
	s_nop 0
	s_sendmsg sendmsg(MSG_DEALLOC_VGPRS)
	s_endpgm
	.section	.rodata,"a",@progbits
	.p2align	6, 0x0
	.amdhsa_kernel _ZN2at6native12_GLOBAL__N_125multi_tensor_apply_kernelINS1_18TensorListMetadataILi2EEENS1_24BinaryOpListAlphaFunctorIsLi2ELi2ELi0EEEJSt7dividesIsEsEEEvT_T0_DpT1_
		.amdhsa_group_segment_fixed_size 0
		.amdhsa_private_segment_fixed_size 0
		.amdhsa_kernarg_size 3408
		.amdhsa_user_sgpr_count 15
		.amdhsa_user_sgpr_dispatch_ptr 0
		.amdhsa_user_sgpr_queue_ptr 0
		.amdhsa_user_sgpr_kernarg_segment_ptr 1
		.amdhsa_user_sgpr_dispatch_id 0
		.amdhsa_user_sgpr_private_segment_size 0
		.amdhsa_wavefront_size32 1
		.amdhsa_uses_dynamic_stack 0
		.amdhsa_enable_private_segment 0
		.amdhsa_system_sgpr_workgroup_id_x 1
		.amdhsa_system_sgpr_workgroup_id_y 0
		.amdhsa_system_sgpr_workgroup_id_z 0
		.amdhsa_system_sgpr_workgroup_info 0
		.amdhsa_system_vgpr_workitem_id 0
		.amdhsa_next_free_vgpr 33
		.amdhsa_next_free_sgpr 20
		.amdhsa_reserve_vcc 1
		.amdhsa_float_round_mode_32 0
		.amdhsa_float_round_mode_16_64 0
		.amdhsa_float_denorm_mode_32 3
		.amdhsa_float_denorm_mode_16_64 3
		.amdhsa_dx10_clamp 1
		.amdhsa_ieee_mode 1
		.amdhsa_fp16_overflow 0
		.amdhsa_workgroup_processor_mode 1
		.amdhsa_memory_ordered 1
		.amdhsa_forward_progress 0
		.amdhsa_shared_vgpr_count 0
		.amdhsa_exception_fp_ieee_invalid_op 0
		.amdhsa_exception_fp_denorm_src 0
		.amdhsa_exception_fp_ieee_div_zero 0
		.amdhsa_exception_fp_ieee_overflow 0
		.amdhsa_exception_fp_ieee_underflow 0
		.amdhsa_exception_fp_ieee_inexact 0
		.amdhsa_exception_int_div_zero 0
	.end_amdhsa_kernel
	.section	.text._ZN2at6native12_GLOBAL__N_125multi_tensor_apply_kernelINS1_18TensorListMetadataILi2EEENS1_24BinaryOpListAlphaFunctorIsLi2ELi2ELi0EEEJSt7dividesIsEsEEEvT_T0_DpT1_,"axG",@progbits,_ZN2at6native12_GLOBAL__N_125multi_tensor_apply_kernelINS1_18TensorListMetadataILi2EEENS1_24BinaryOpListAlphaFunctorIsLi2ELi2ELi0EEEJSt7dividesIsEsEEEvT_T0_DpT1_,comdat
.Lfunc_end76:
	.size	_ZN2at6native12_GLOBAL__N_125multi_tensor_apply_kernelINS1_18TensorListMetadataILi2EEENS1_24BinaryOpListAlphaFunctorIsLi2ELi2ELi0EEEJSt7dividesIsEsEEEvT_T0_DpT1_, .Lfunc_end76-_ZN2at6native12_GLOBAL__N_125multi_tensor_apply_kernelINS1_18TensorListMetadataILi2EEENS1_24BinaryOpListAlphaFunctorIsLi2ELi2ELi0EEEJSt7dividesIsEsEEEvT_T0_DpT1_
                                        ; -- End function
	.section	.AMDGPU.csdata,"",@progbits
; Kernel info:
; codeLenInByte = 2384
; NumSgprs: 22
; NumVgprs: 33
; ScratchSize: 0
; MemoryBound: 0
; FloatMode: 240
; IeeeMode: 1
; LDSByteSize: 0 bytes/workgroup (compile time only)
; SGPRBlocks: 2
; VGPRBlocks: 4
; NumSGPRsForWavesPerEU: 22
; NumVGPRsForWavesPerEU: 33
; Occupancy: 16
; WaveLimiterHint : 0
; COMPUTE_PGM_RSRC2:SCRATCH_EN: 0
; COMPUTE_PGM_RSRC2:USER_SGPR: 15
; COMPUTE_PGM_RSRC2:TRAP_HANDLER: 0
; COMPUTE_PGM_RSRC2:TGID_X_EN: 1
; COMPUTE_PGM_RSRC2:TGID_Y_EN: 0
; COMPUTE_PGM_RSRC2:TGID_Z_EN: 0
; COMPUTE_PGM_RSRC2:TIDIG_COMP_CNT: 0
	.section	.text._ZN2at6native12_GLOBAL__N_125multi_tensor_apply_kernelINS1_18TensorListMetadataILi2EEENS1_24BinaryOpListAlphaFunctorIdLi2ELi2ELi0EEEJSt7dividesIdEdEEEvT_T0_DpT1_,"axG",@progbits,_ZN2at6native12_GLOBAL__N_125multi_tensor_apply_kernelINS1_18TensorListMetadataILi2EEENS1_24BinaryOpListAlphaFunctorIdLi2ELi2ELi0EEEJSt7dividesIdEdEEEvT_T0_DpT1_,comdat
	.globl	_ZN2at6native12_GLOBAL__N_125multi_tensor_apply_kernelINS1_18TensorListMetadataILi2EEENS1_24BinaryOpListAlphaFunctorIdLi2ELi2ELi0EEEJSt7dividesIdEdEEEvT_T0_DpT1_ ; -- Begin function _ZN2at6native12_GLOBAL__N_125multi_tensor_apply_kernelINS1_18TensorListMetadataILi2EEENS1_24BinaryOpListAlphaFunctorIdLi2ELi2ELi0EEEJSt7dividesIdEdEEEvT_T0_DpT1_
	.p2align	8
	.type	_ZN2at6native12_GLOBAL__N_125multi_tensor_apply_kernelINS1_18TensorListMetadataILi2EEENS1_24BinaryOpListAlphaFunctorIdLi2ELi2ELi0EEEJSt7dividesIdEdEEEvT_T0_DpT1_,@function
_ZN2at6native12_GLOBAL__N_125multi_tensor_apply_kernelINS1_18TensorListMetadataILi2EEENS1_24BinaryOpListAlphaFunctorIdLi2ELi2ELi0EEEJSt7dividesIdEdEEEvT_T0_DpT1_: ; @_ZN2at6native12_GLOBAL__N_125multi_tensor_apply_kernelINS1_18TensorListMetadataILi2EEENS1_24BinaryOpListAlphaFunctorIdLi2ELi2ELi0EEEJSt7dividesIdEdEEEvT_T0_DpT1_
; %bb.0:
	v_mov_b32_e32 v1, s15
	s_add_u32 s2, s0, s15
	s_mul_hi_u32 s3, s15, 3
	s_mul_i32 s15, s15, 3
	s_addc_u32 s4, s1, 0
	global_load_u8 v1, v1, s[0:1] offset:1536
	s_add_u32 s2, s2, s15
	s_addc_u32 s3, s4, s3
	s_mov_b32 s21, 0
	s_load_b32 s2, s[2:3], 0x740
	s_mov_b32 s23, s21
	s_mov_b32 s25, s21
	s_waitcnt vmcnt(0)
	v_readfirstlane_b32 s3, v1
	s_delay_alu instid0(VALU_DEP_1)
	s_lshl_b32 s3, s3, 3
	s_clause 0x3
	s_load_b64 s[12:13], s[0:1], s3 offset:0x0
	s_load_b64 s[14:15], s[0:1], s3 offset:0x200
	;; [unrolled: 1-line block ×3, first 2 shown]
	s_load_b64 s[6:7], s[0:1], 0xc50
	s_waitcnt lgkmcnt(0)
	s_ashr_i32 s3, s2, 31
	s_delay_alu instid0(SALU_CYCLE_1) | instskip(NEXT) | instid1(SALU_CYCLE_1)
	s_lshl_b64 s[8:9], s[2:3], 19
	s_add_u32 s5, s12, s8
	s_addc_u32 s16, s13, s9
	s_and_b32 s20, s5, 31
	s_add_u32 s17, s14, s8
	s_addc_u32 s18, s15, s9
	s_and_b32 s22, s10, 3
	s_and_b32 s24, s17, 31
	s_or_b64 s[20:21], s[20:21], s[22:23]
	s_lshl_b64 s[2:3], s[2:3], 16
	s_or_b64 s[20:21], s[24:25], s[20:21]
	s_sub_u32 s10, s10, s2
	s_subb_u32 s11, s11, s3
	s_cmp_eq_u64 s[20:21], 0
	s_mov_b32 s2, -1
	s_cbranch_scc0 .LBB77_5
; %bb.1:
	v_dual_mov_b32 v2, 0 :: v_dual_lshlrev_b32 v1, 2, v0
	s_mov_b32 s19, exec_lo
	s_delay_alu instid0(VALU_DEP_1)
	v_cmpx_gt_i64_e64 s[10:11], v[1:2]
	s_cbranch_execz .LBB77_4
; %bb.2:
	s_load_b32 s2, s[0:1], 0xc64
	v_lshlrev_b32_e32 v3, 5, v0
	s_mov_b32 s20, 0
	s_waitcnt lgkmcnt(0)
	s_and_b32 s2, s2, 0xffff
	s_delay_alu instid0(SALU_CYCLE_1)
	v_add_lshl_u32 v1, v0, s2, 2
	s_lshl_b32 s21, s2, 2
	s_lshl_b32 s22, s2, 5
.LBB77_3:                               ; =>This Inner Loop Header: Depth=1
	v_add_co_u32 v8, s2, s17, v3
	s_delay_alu instid0(VALU_DEP_1) | instskip(SKIP_1) | instid1(VALU_DEP_1)
	v_add_co_ci_u32_e64 v9, null, s18, 0, s2
	v_add_co_u32 v20, s2, s5, v3
	v_add_co_ci_u32_e64 v21, null, s16, 0, s2
	s_clause 0x1
	global_load_b128 v[4:7], v[8:9], off
	global_load_b128 v[8:11], v[8:9], off offset:16
	s_clause 0x1
	global_load_b128 v[12:15], v[20:21], off
	global_load_b128 v[16:19], v[20:21], off offset:16
	s_waitcnt vmcnt(3)
	v_mul_f64 v[4:5], v[4:5], s[6:7]
	v_mul_f64 v[6:7], v[6:7], s[6:7]
	s_waitcnt vmcnt(2)
	v_mul_f64 v[8:9], v[8:9], s[6:7]
	v_mul_f64 v[10:11], v[10:11], s[6:7]
	s_waitcnt vmcnt(1)
	s_delay_alu instid0(VALU_DEP_4) | instskip(NEXT) | instid1(VALU_DEP_4)
	v_div_scale_f64 v[22:23], null, v[4:5], v[4:5], v[12:13]
	v_div_scale_f64 v[24:25], null, v[6:7], v[6:7], v[14:15]
	s_waitcnt vmcnt(0)
	s_delay_alu instid0(VALU_DEP_4) | instskip(NEXT) | instid1(VALU_DEP_4)
	v_div_scale_f64 v[26:27], null, v[8:9], v[8:9], v[16:17]
	v_div_scale_f64 v[28:29], null, v[10:11], v[10:11], v[18:19]
	v_div_scale_f64 v[46:47], vcc_lo, v[12:13], v[4:5], v[12:13]
	v_div_scale_f64 v[48:49], s2, v[14:15], v[6:7], v[14:15]
	v_div_scale_f64 v[50:51], s3, v[16:17], v[8:9], v[16:17]
	v_rcp_f64_e32 v[30:31], v[22:23]
	v_rcp_f64_e32 v[32:33], v[24:25]
	;; [unrolled: 1-line block ×3, first 2 shown]
	s_delay_alu instid0(VALU_DEP_4) | instskip(SKIP_1) | instid1(TRANS32_DEP_3)
	v_rcp_f64_e32 v[36:37], v[28:29]
	v_fma_f64 v[38:39], -v[22:23], v[30:31], 1.0
	v_fma_f64 v[40:41], -v[24:25], v[32:33], 1.0
	s_waitcnt_depctr 0xfff
	v_fma_f64 v[42:43], -v[26:27], v[34:35], 1.0
	v_fma_f64 v[44:45], -v[28:29], v[36:37], 1.0
	v_fma_f64 v[30:31], v[30:31], v[38:39], v[30:31]
	v_fma_f64 v[32:33], v[32:33], v[40:41], v[32:33]
	s_delay_alu instid0(VALU_DEP_4) | instskip(NEXT) | instid1(VALU_DEP_4)
	v_fma_f64 v[34:35], v[34:35], v[42:43], v[34:35]
	v_fma_f64 v[36:37], v[36:37], v[44:45], v[36:37]
	s_delay_alu instid0(VALU_DEP_4) | instskip(NEXT) | instid1(VALU_DEP_4)
	v_fma_f64 v[38:39], -v[22:23], v[30:31], 1.0
	v_fma_f64 v[40:41], -v[24:25], v[32:33], 1.0
	s_delay_alu instid0(VALU_DEP_4) | instskip(NEXT) | instid1(VALU_DEP_4)
	v_fma_f64 v[42:43], -v[26:27], v[34:35], 1.0
	v_fma_f64 v[44:45], -v[28:29], v[36:37], 1.0
	s_delay_alu instid0(VALU_DEP_4)
	v_fma_f64 v[30:31], v[30:31], v[38:39], v[30:31]
	v_div_scale_f64 v[38:39], s4, v[18:19], v[10:11], v[18:19]
	v_fma_f64 v[32:33], v[32:33], v[40:41], v[32:33]
	v_fma_f64 v[34:35], v[34:35], v[42:43], v[34:35]
	v_fma_f64 v[36:37], v[36:37], v[44:45], v[36:37]
	v_mul_f64 v[40:41], v[46:47], v[30:31]
	s_delay_alu instid0(VALU_DEP_4) | instskip(NEXT) | instid1(VALU_DEP_4)
	v_mul_f64 v[42:43], v[48:49], v[32:33]
	v_mul_f64 v[44:45], v[50:51], v[34:35]
	s_delay_alu instid0(VALU_DEP_4) | instskip(NEXT) | instid1(VALU_DEP_4)
	v_mul_f64 v[52:53], v[38:39], v[36:37]
	v_fma_f64 v[22:23], -v[22:23], v[40:41], v[46:47]
	s_delay_alu instid0(VALU_DEP_4) | instskip(NEXT) | instid1(VALU_DEP_4)
	v_fma_f64 v[24:25], -v[24:25], v[42:43], v[48:49]
	v_fma_f64 v[26:27], -v[26:27], v[44:45], v[50:51]
	s_delay_alu instid0(VALU_DEP_4) | instskip(NEXT) | instid1(VALU_DEP_4)
	v_fma_f64 v[28:29], -v[28:29], v[52:53], v[38:39]
	v_div_fmas_f64 v[22:23], v[22:23], v[30:31], v[40:41]
	s_mov_b32 vcc_lo, s2
	v_cmp_lt_u64_e64 s2, 0xffff, v[1:2]
	v_div_fmas_f64 v[24:25], v[24:25], v[32:33], v[42:43]
	s_mov_b32 vcc_lo, s3
	v_div_fmas_f64 v[26:27], v[26:27], v[34:35], v[44:45]
	s_mov_b32 vcc_lo, s4
	v_div_fmas_f64 v[28:29], v[28:29], v[36:37], v[52:53]
	v_cmp_le_i64_e32 vcc_lo, s[10:11], v[1:2]
	v_add_co_u32 v1, s3, v1, s21
	s_delay_alu instid0(VALU_DEP_1)
	v_add_co_ci_u32_e64 v2, s3, 0, v2, s3
	s_or_b32 s2, vcc_lo, s2
	s_add_u32 s5, s5, s22
	s_addc_u32 s16, s16, 0
	s_add_u32 s17, s17, s22
	s_addc_u32 s18, s18, 0
	s_and_b32 s2, exec_lo, s2
	s_delay_alu instid0(SALU_CYCLE_1)
	s_or_b32 s20, s2, s20
	v_div_fixup_f64 v[4:5], v[22:23], v[4:5], v[12:13]
	v_div_fixup_f64 v[6:7], v[24:25], v[6:7], v[14:15]
	;; [unrolled: 1-line block ×4, first 2 shown]
	s_clause 0x1
	global_store_b128 v[20:21], v[4:7], off
	global_store_b128 v[20:21], v[8:11], off offset:16
	s_and_not1_b32 exec_lo, exec_lo, s20
	s_cbranch_execnz .LBB77_3
.LBB77_4:
	s_or_b32 exec_lo, exec_lo, s19
	s_mov_b32 s2, 0
.LBB77_5:
	s_delay_alu instid0(SALU_CYCLE_1)
	s_and_not1_b32 vcc_lo, exec_lo, s2
	s_cbranch_vccnz .LBB77_25
; %bb.6:
	v_cmp_lt_i64_e64 s2, s[10:11], 1
	s_delay_alu instid0(VALU_DEP_1)
	s_and_b32 vcc_lo, exec_lo, s2
	s_cbranch_vccnz .LBB77_25
; %bb.7:
	s_load_b32 s0, s[0:1], 0xc64
	v_dual_mov_b32 v2, 0 :: v_dual_lshlrev_b32 v1, 3, v0
	v_cmp_gt_u64_e64 s1, 0x10000, s[10:11]
	s_delay_alu instid0(VALU_DEP_2) | instskip(NEXT) | instid1(VALU_DEP_1)
	v_add_co_u32 v17, s2, s12, v1
	v_add_co_ci_u32_e64 v18, null, s13, 0, s2
	v_add_co_u32 v19, s2, s14, v1
	s_delay_alu instid0(VALU_DEP_1)
	v_add_co_ci_u32_e64 v20, null, s15, 0, s2
	s_waitcnt lgkmcnt(0)
	s_and_b32 s0, s0, 0xffff
	s_and_b32 s1, s1, exec_lo
	v_mad_u64_u32 v[3:4], null, s0, 24, v[1:2]
	s_cselect_b32 s5, s11, 0
	s_cselect_b32 s4, s10, 0x10000
	s_lshl_b32 s3, s0, 4
	s_mul_i32 s2, s0, 3
	v_add_co_u32 v1, s3, s3, v1
	s_delay_alu instid0(VALU_DEP_2) | instskip(NEXT) | instid1(VALU_DEP_3)
	v_add_co_u32 v21, vcc_lo, s12, v3
	v_add_co_ci_u32_e32 v22, vcc_lo, s13, v4, vcc_lo
	v_add_co_u32 v25, s2, s2, v0
	v_add_co_u32 v23, vcc_lo, s14, v3
	v_add_co_ci_u32_e64 v2, null, 0, 0, s3
	v_add_co_ci_u32_e64 v26, null, 0, 0, s2
	v_add_co_u32 v29, s2, v0, s0
	v_add_co_ci_u32_e32 v24, vcc_lo, s15, v4, vcc_lo
	v_add_co_u32 v27, vcc_lo, s12, v1
	v_add_co_ci_u32_e32 v28, vcc_lo, s13, v2, vcc_lo
	v_add_co_u32 v30, vcc_lo, s14, v1
	v_lshlrev_b32_e32 v1, 3, v29
	s_lshl_b32 s1, s0, 1
	v_add_co_ci_u32_e32 v31, vcc_lo, s15, v2, vcc_lo
	v_add_co_u32 v33, s1, s1, v0
	s_delay_alu instid0(VALU_DEP_1) | instskip(SKIP_1) | instid1(VALU_DEP_1)
	v_add_co_ci_u32_e64 v34, null, 0, 0, s1
	v_add_co_u32 v35, s1, s12, v1
	v_add_co_ci_u32_e64 v36, null, s13, 0, s1
	v_add_co_u32 v37, s1, s14, v1
	v_add_co_ci_u32_e64 v32, null, 0, 0, s2
	v_add_co_ci_u32_e64 v38, null, s15, 0, s1
	s_lshl_b32 s14, s0, 2
	s_lshl_b32 s15, s0, 5
	s_mov_b64 s[12:13], 0
	s_branch .LBB77_9
.LBB77_8:                               ;   in Loop: Header=BB77_9 Depth=1
	s_or_b32 exec_lo, exec_lo, s0
	v_add_co_u32 v17, vcc_lo, v17, s15
	v_add_co_ci_u32_e32 v18, vcc_lo, 0, v18, vcc_lo
	v_add_co_u32 v19, vcc_lo, v19, s15
	v_add_co_ci_u32_e32 v20, vcc_lo, 0, v20, vcc_lo
	;; [unrolled: 2-line block ×5, first 2 shown]
	s_add_u32 s12, s12, s14
	v_add_co_u32 v30, vcc_lo, v30, s15
	s_addc_u32 s13, s13, 0
	v_add_co_ci_u32_e32 v31, vcc_lo, 0, v31, vcc_lo
	v_cmp_ge_i64_e64 s0, s[12:13], s[10:11]
	v_cmp_lt_u64_e64 s1, 0xffff, s[12:13]
	v_add_co_u32 v35, vcc_lo, v35, s15
	v_add_co_ci_u32_e32 v36, vcc_lo, 0, v36, vcc_lo
	v_add_co_u32 v37, vcc_lo, v37, s15
	v_add_co_ci_u32_e32 v38, vcc_lo, 0, v38, vcc_lo
	s_or_b32 s0, s0, s1
	s_delay_alu instid0(SALU_CYCLE_1)
	s_and_b32 vcc_lo, exec_lo, s0
	s_cbranch_vccnz .LBB77_25
.LBB77_9:                               ; =>This Inner Loop Header: Depth=1
	s_waitcnt vmcnt(1)
	v_add_co_u32 v3, s0, v0, s12
	s_delay_alu instid0(VALU_DEP_1) | instskip(SKIP_2) | instid1(VALU_DEP_3)
	v_add_co_ci_u32_e64 v4, null, 0, s13, s0
	v_mov_b32_e32 v1, 0
	v_mov_b32_e32 v2, 0
	v_cmp_gt_u64_e32 vcc_lo, s[4:5], v[3:4]
	s_delay_alu instid0(VALU_DEP_2)
	v_dual_mov_b32 v6, v2 :: v_dual_mov_b32 v5, v1
	s_waitcnt vmcnt(0)
	v_dual_mov_b32 v10, v2 :: v_dual_mov_b32 v9, v1
	s_and_saveexec_b32 s1, vcc_lo
	s_cbranch_execz .LBB77_11
; %bb.10:                               ;   in Loop: Header=BB77_9 Depth=1
	v_add_co_u32 v3, s0, v17, s8
	s_delay_alu instid0(VALU_DEP_1) | instskip(SKIP_1) | instid1(VALU_DEP_1)
	v_add_co_ci_u32_e64 v4, s0, s9, v18, s0
	v_add_co_u32 v7, s0, v19, s8
	v_add_co_ci_u32_e64 v8, s0, s9, v20, s0
	global_load_b64 v[5:6], v[3:4], off
	global_load_b64 v[9:10], v[7:8], off
.LBB77_11:                              ;   in Loop: Header=BB77_9 Depth=1
	s_or_b32 exec_lo, exec_lo, s1
	v_add_co_u32 v3, s0, v29, s12
	s_delay_alu instid0(VALU_DEP_1) | instskip(SKIP_1) | instid1(VALU_DEP_2)
	v_add_co_ci_u32_e64 v4, s0, s13, v32, s0
	v_dual_mov_b32 v12, v2 :: v_dual_mov_b32 v11, v1
	v_cmp_gt_u64_e64 s0, s[4:5], v[3:4]
	s_delay_alu instid0(VALU_DEP_1)
	s_and_saveexec_b32 s2, s0
	s_cbranch_execz .LBB77_13
; %bb.12:                               ;   in Loop: Header=BB77_9 Depth=1
	v_add_co_u32 v1, s1, v35, s8
	s_delay_alu instid0(VALU_DEP_1) | instskip(SKIP_1) | instid1(VALU_DEP_1)
	v_add_co_ci_u32_e64 v2, s1, s9, v36, s1
	v_add_co_u32 v3, s1, v37, s8
	v_add_co_ci_u32_e64 v4, s1, s9, v38, s1
	global_load_b64 v[1:2], v[1:2], off
	global_load_b64 v[11:12], v[3:4], off
.LBB77_13:                              ;   in Loop: Header=BB77_9 Depth=1
	s_or_b32 exec_lo, exec_lo, s2
	v_add_co_u32 v7, s1, v33, s12
	s_delay_alu instid0(VALU_DEP_1) | instskip(SKIP_2) | instid1(VALU_DEP_3)
	v_add_co_ci_u32_e64 v8, s1, s13, v34, s1
	v_mov_b32_e32 v3, 0
	v_mov_b32_e32 v4, 0
	v_cmp_gt_u64_e64 s1, s[4:5], v[7:8]
	s_delay_alu instid0(VALU_DEP_2) | instskip(SKIP_1) | instid1(VALU_DEP_3)
	v_dual_mov_b32 v8, v4 :: v_dual_mov_b32 v7, v3
	v_dual_mov_b32 v14, v4 :: v_dual_mov_b32 v13, v3
	s_and_saveexec_b32 s3, s1
	s_cbranch_execz .LBB77_15
; %bb.14:                               ;   in Loop: Header=BB77_9 Depth=1
	v_add_co_u32 v7, s2, v27, s8
	s_delay_alu instid0(VALU_DEP_1) | instskip(SKIP_1) | instid1(VALU_DEP_1)
	v_add_co_ci_u32_e64 v8, s2, s9, v28, s2
	v_add_co_u32 v13, s2, v30, s8
	v_add_co_ci_u32_e64 v14, s2, s9, v31, s2
	global_load_b64 v[7:8], v[7:8], off
	global_load_b64 v[13:14], v[13:14], off
.LBB77_15:                              ;   in Loop: Header=BB77_9 Depth=1
	s_or_b32 exec_lo, exec_lo, s3
	v_add_co_u32 v15, s2, v25, s12
	s_delay_alu instid0(VALU_DEP_1) | instskip(NEXT) | instid1(VALU_DEP_1)
	v_add_co_ci_u32_e64 v16, s2, s13, v26, s2
	v_cmp_gt_u64_e64 s2, s[4:5], v[15:16]
	v_dual_mov_b32 v16, v4 :: v_dual_mov_b32 v15, v3
	s_delay_alu instid0(VALU_DEP_2)
	s_and_saveexec_b32 s16, s2
	s_cbranch_execnz .LBB77_20
; %bb.16:                               ;   in Loop: Header=BB77_9 Depth=1
	s_or_b32 exec_lo, exec_lo, s16
	s_and_saveexec_b32 s3, vcc_lo
	s_cbranch_execnz .LBB77_21
.LBB77_17:                              ;   in Loop: Header=BB77_9 Depth=1
	s_or_b32 exec_lo, exec_lo, s3
	s_and_saveexec_b32 s3, s0
	s_cbranch_execnz .LBB77_22
.LBB77_18:                              ;   in Loop: Header=BB77_9 Depth=1
	s_or_b32 exec_lo, exec_lo, s3
	s_and_saveexec_b32 s0, s1
	s_cbranch_execnz .LBB77_23
.LBB77_19:                              ;   in Loop: Header=BB77_9 Depth=1
	s_or_b32 exec_lo, exec_lo, s0
	s_and_saveexec_b32 s0, s2
	s_cbranch_execz .LBB77_8
	s_branch .LBB77_24
.LBB77_20:                              ;   in Loop: Header=BB77_9 Depth=1
	v_add_co_u32 v3, s3, v21, s8
	s_delay_alu instid0(VALU_DEP_1) | instskip(SKIP_1) | instid1(VALU_DEP_1)
	v_add_co_ci_u32_e64 v4, s3, s9, v22, s3
	v_add_co_u32 v15, s3, v23, s8
	v_add_co_ci_u32_e64 v16, s3, s9, v24, s3
	global_load_b64 v[3:4], v[3:4], off
	global_load_b64 v[15:16], v[15:16], off
	s_or_b32 exec_lo, exec_lo, s16
	s_and_saveexec_b32 s3, vcc_lo
	s_cbranch_execz .LBB77_17
.LBB77_21:                              ;   in Loop: Header=BB77_9 Depth=1
	s_waitcnt vmcnt(0)
	v_mul_f64 v[9:10], v[9:10], s[6:7]
	s_delay_alu instid0(VALU_DEP_1) | instskip(NEXT) | instid1(VALU_DEP_1)
	v_div_scale_f64 v[39:40], null, v[9:10], v[9:10], v[5:6]
	v_rcp_f64_e32 v[41:42], v[39:40]
	s_waitcnt_depctr 0xfff
	v_fma_f64 v[43:44], -v[39:40], v[41:42], 1.0
	s_delay_alu instid0(VALU_DEP_1) | instskip(NEXT) | instid1(VALU_DEP_1)
	v_fma_f64 v[41:42], v[41:42], v[43:44], v[41:42]
	v_fma_f64 v[43:44], -v[39:40], v[41:42], 1.0
	s_delay_alu instid0(VALU_DEP_1) | instskip(SKIP_1) | instid1(VALU_DEP_1)
	v_fma_f64 v[41:42], v[41:42], v[43:44], v[41:42]
	v_div_scale_f64 v[43:44], vcc_lo, v[5:6], v[9:10], v[5:6]
	v_mul_f64 v[45:46], v[43:44], v[41:42]
	s_delay_alu instid0(VALU_DEP_1) | instskip(NEXT) | instid1(VALU_DEP_1)
	v_fma_f64 v[39:40], -v[39:40], v[45:46], v[43:44]
	v_div_fmas_f64 v[39:40], v[39:40], v[41:42], v[45:46]
	s_delay_alu instid0(VALU_DEP_1)
	v_div_fixup_f64 v[5:6], v[39:40], v[9:10], v[5:6]
	v_add_co_u32 v9, vcc_lo, v17, s8
	v_add_co_ci_u32_e32 v10, vcc_lo, s9, v18, vcc_lo
	global_store_b64 v[9:10], v[5:6], off
	s_or_b32 exec_lo, exec_lo, s3
	s_and_saveexec_b32 s3, s0
	s_cbranch_execz .LBB77_18
.LBB77_22:                              ;   in Loop: Header=BB77_9 Depth=1
	s_waitcnt vmcnt(0)
	v_mul_f64 v[5:6], v[11:12], s[6:7]
	s_delay_alu instid0(VALU_DEP_1) | instskip(NEXT) | instid1(VALU_DEP_1)
	v_div_scale_f64 v[9:10], null, v[5:6], v[5:6], v[1:2]
	v_rcp_f64_e32 v[11:12], v[9:10]
	s_waitcnt_depctr 0xfff
	v_fma_f64 v[39:40], -v[9:10], v[11:12], 1.0
	s_delay_alu instid0(VALU_DEP_1) | instskip(NEXT) | instid1(VALU_DEP_1)
	v_fma_f64 v[11:12], v[11:12], v[39:40], v[11:12]
	v_fma_f64 v[39:40], -v[9:10], v[11:12], 1.0
	s_delay_alu instid0(VALU_DEP_1) | instskip(SKIP_1) | instid1(VALU_DEP_1)
	v_fma_f64 v[11:12], v[11:12], v[39:40], v[11:12]
	v_div_scale_f64 v[39:40], vcc_lo, v[1:2], v[5:6], v[1:2]
	v_mul_f64 v[41:42], v[39:40], v[11:12]
	s_delay_alu instid0(VALU_DEP_1) | instskip(NEXT) | instid1(VALU_DEP_1)
	v_fma_f64 v[9:10], -v[9:10], v[41:42], v[39:40]
	v_div_fmas_f64 v[9:10], v[9:10], v[11:12], v[41:42]
	s_delay_alu instid0(VALU_DEP_1)
	v_div_fixup_f64 v[1:2], v[9:10], v[5:6], v[1:2]
	v_add_co_u32 v5, vcc_lo, v35, s8
	v_add_co_ci_u32_e32 v6, vcc_lo, s9, v36, vcc_lo
	global_store_b64 v[5:6], v[1:2], off
	s_or_b32 exec_lo, exec_lo, s3
	s_and_saveexec_b32 s0, s1
	s_cbranch_execz .LBB77_19
.LBB77_23:                              ;   in Loop: Header=BB77_9 Depth=1
	s_waitcnt vmcnt(0)
	v_mul_f64 v[1:2], v[13:14], s[6:7]
	s_delay_alu instid0(VALU_DEP_1) | instskip(NEXT) | instid1(VALU_DEP_1)
	v_div_scale_f64 v[5:6], null, v[1:2], v[1:2], v[7:8]
	v_rcp_f64_e32 v[9:10], v[5:6]
	s_waitcnt_depctr 0xfff
	v_fma_f64 v[11:12], -v[5:6], v[9:10], 1.0
	s_delay_alu instid0(VALU_DEP_1) | instskip(NEXT) | instid1(VALU_DEP_1)
	v_fma_f64 v[9:10], v[9:10], v[11:12], v[9:10]
	v_fma_f64 v[11:12], -v[5:6], v[9:10], 1.0
	s_delay_alu instid0(VALU_DEP_1) | instskip(SKIP_1) | instid1(VALU_DEP_1)
	v_fma_f64 v[9:10], v[9:10], v[11:12], v[9:10]
	v_div_scale_f64 v[11:12], vcc_lo, v[7:8], v[1:2], v[7:8]
	v_mul_f64 v[13:14], v[11:12], v[9:10]
	s_delay_alu instid0(VALU_DEP_1) | instskip(NEXT) | instid1(VALU_DEP_1)
	v_fma_f64 v[5:6], -v[5:6], v[13:14], v[11:12]
	v_div_fmas_f64 v[5:6], v[5:6], v[9:10], v[13:14]
	s_delay_alu instid0(VALU_DEP_1)
	v_div_fixup_f64 v[1:2], v[5:6], v[1:2], v[7:8]
	v_add_co_u32 v5, vcc_lo, v27, s8
	v_add_co_ci_u32_e32 v6, vcc_lo, s9, v28, vcc_lo
	global_store_b64 v[5:6], v[1:2], off
	s_or_b32 exec_lo, exec_lo, s0
	s_and_saveexec_b32 s0, s2
	s_cbranch_execz .LBB77_8
.LBB77_24:                              ;   in Loop: Header=BB77_9 Depth=1
	s_waitcnt vmcnt(0)
	v_mul_f64 v[1:2], v[15:16], s[6:7]
	s_delay_alu instid0(VALU_DEP_1) | instskip(NEXT) | instid1(VALU_DEP_1)
	v_div_scale_f64 v[5:6], null, v[1:2], v[1:2], v[3:4]
	v_rcp_f64_e32 v[7:8], v[5:6]
	s_waitcnt_depctr 0xfff
	v_fma_f64 v[9:10], -v[5:6], v[7:8], 1.0
	s_delay_alu instid0(VALU_DEP_1) | instskip(NEXT) | instid1(VALU_DEP_1)
	v_fma_f64 v[7:8], v[7:8], v[9:10], v[7:8]
	v_fma_f64 v[9:10], -v[5:6], v[7:8], 1.0
	s_delay_alu instid0(VALU_DEP_1) | instskip(SKIP_1) | instid1(VALU_DEP_1)
	v_fma_f64 v[7:8], v[7:8], v[9:10], v[7:8]
	v_div_scale_f64 v[9:10], vcc_lo, v[3:4], v[1:2], v[3:4]
	v_mul_f64 v[11:12], v[9:10], v[7:8]
	s_delay_alu instid0(VALU_DEP_1) | instskip(NEXT) | instid1(VALU_DEP_1)
	v_fma_f64 v[5:6], -v[5:6], v[11:12], v[9:10]
	v_div_fmas_f64 v[5:6], v[5:6], v[7:8], v[11:12]
	s_delay_alu instid0(VALU_DEP_1)
	v_div_fixup_f64 v[1:2], v[5:6], v[1:2], v[3:4]
	v_add_co_u32 v3, vcc_lo, v21, s8
	v_add_co_ci_u32_e32 v4, vcc_lo, s9, v22, vcc_lo
	global_store_b64 v[3:4], v[1:2], off
	s_branch .LBB77_8
.LBB77_25:
	s_nop 0
	s_sendmsg sendmsg(MSG_DEALLOC_VGPRS)
	s_endpgm
	.section	.rodata,"a",@progbits
	.p2align	6, 0x0
	.amdhsa_kernel _ZN2at6native12_GLOBAL__N_125multi_tensor_apply_kernelINS1_18TensorListMetadataILi2EEENS1_24BinaryOpListAlphaFunctorIdLi2ELi2ELi0EEEJSt7dividesIdEdEEEvT_T0_DpT1_
		.amdhsa_group_segment_fixed_size 0
		.amdhsa_private_segment_fixed_size 0
		.amdhsa_kernarg_size 3416
		.amdhsa_user_sgpr_count 15
		.amdhsa_user_sgpr_dispatch_ptr 0
		.amdhsa_user_sgpr_queue_ptr 0
		.amdhsa_user_sgpr_kernarg_segment_ptr 1
		.amdhsa_user_sgpr_dispatch_id 0
		.amdhsa_user_sgpr_private_segment_size 0
		.amdhsa_wavefront_size32 1
		.amdhsa_uses_dynamic_stack 0
		.amdhsa_enable_private_segment 0
		.amdhsa_system_sgpr_workgroup_id_x 1
		.amdhsa_system_sgpr_workgroup_id_y 0
		.amdhsa_system_sgpr_workgroup_id_z 0
		.amdhsa_system_sgpr_workgroup_info 0
		.amdhsa_system_vgpr_workitem_id 0
		.amdhsa_next_free_vgpr 54
		.amdhsa_next_free_sgpr 26
		.amdhsa_reserve_vcc 1
		.amdhsa_float_round_mode_32 0
		.amdhsa_float_round_mode_16_64 0
		.amdhsa_float_denorm_mode_32 3
		.amdhsa_float_denorm_mode_16_64 3
		.amdhsa_dx10_clamp 1
		.amdhsa_ieee_mode 1
		.amdhsa_fp16_overflow 0
		.amdhsa_workgroup_processor_mode 1
		.amdhsa_memory_ordered 1
		.amdhsa_forward_progress 0
		.amdhsa_shared_vgpr_count 0
		.amdhsa_exception_fp_ieee_invalid_op 0
		.amdhsa_exception_fp_denorm_src 0
		.amdhsa_exception_fp_ieee_div_zero 0
		.amdhsa_exception_fp_ieee_overflow 0
		.amdhsa_exception_fp_ieee_underflow 0
		.amdhsa_exception_fp_ieee_inexact 0
		.amdhsa_exception_int_div_zero 0
	.end_amdhsa_kernel
	.section	.text._ZN2at6native12_GLOBAL__N_125multi_tensor_apply_kernelINS1_18TensorListMetadataILi2EEENS1_24BinaryOpListAlphaFunctorIdLi2ELi2ELi0EEEJSt7dividesIdEdEEEvT_T0_DpT1_,"axG",@progbits,_ZN2at6native12_GLOBAL__N_125multi_tensor_apply_kernelINS1_18TensorListMetadataILi2EEENS1_24BinaryOpListAlphaFunctorIdLi2ELi2ELi0EEEJSt7dividesIdEdEEEvT_T0_DpT1_,comdat
.Lfunc_end77:
	.size	_ZN2at6native12_GLOBAL__N_125multi_tensor_apply_kernelINS1_18TensorListMetadataILi2EEENS1_24BinaryOpListAlphaFunctorIdLi2ELi2ELi0EEEJSt7dividesIdEdEEEvT_T0_DpT1_, .Lfunc_end77-_ZN2at6native12_GLOBAL__N_125multi_tensor_apply_kernelINS1_18TensorListMetadataILi2EEENS1_24BinaryOpListAlphaFunctorIdLi2ELi2ELi0EEEJSt7dividesIdEdEEEvT_T0_DpT1_
                                        ; -- End function
	.section	.AMDGPU.csdata,"",@progbits
; Kernel info:
; codeLenInByte = 2472
; NumSgprs: 28
; NumVgprs: 54
; ScratchSize: 0
; MemoryBound: 0
; FloatMode: 240
; IeeeMode: 1
; LDSByteSize: 0 bytes/workgroup (compile time only)
; SGPRBlocks: 3
; VGPRBlocks: 6
; NumSGPRsForWavesPerEU: 28
; NumVGPRsForWavesPerEU: 54
; Occupancy: 16
; WaveLimiterHint : 0
; COMPUTE_PGM_RSRC2:SCRATCH_EN: 0
; COMPUTE_PGM_RSRC2:USER_SGPR: 15
; COMPUTE_PGM_RSRC2:TRAP_HANDLER: 0
; COMPUTE_PGM_RSRC2:TGID_X_EN: 1
; COMPUTE_PGM_RSRC2:TGID_Y_EN: 0
; COMPUTE_PGM_RSRC2:TGID_Z_EN: 0
; COMPUTE_PGM_RSRC2:TIDIG_COMP_CNT: 0
	.section	.text._ZN2at6native12_GLOBAL__N_125multi_tensor_apply_kernelINS1_18TensorListMetadataILi2EEENS1_24BinaryOpListAlphaFunctorIfLi2ELi2ELi0EEEJSt7dividesIfEfEEEvT_T0_DpT1_,"axG",@progbits,_ZN2at6native12_GLOBAL__N_125multi_tensor_apply_kernelINS1_18TensorListMetadataILi2EEENS1_24BinaryOpListAlphaFunctorIfLi2ELi2ELi0EEEJSt7dividesIfEfEEEvT_T0_DpT1_,comdat
	.globl	_ZN2at6native12_GLOBAL__N_125multi_tensor_apply_kernelINS1_18TensorListMetadataILi2EEENS1_24BinaryOpListAlphaFunctorIfLi2ELi2ELi0EEEJSt7dividesIfEfEEEvT_T0_DpT1_ ; -- Begin function _ZN2at6native12_GLOBAL__N_125multi_tensor_apply_kernelINS1_18TensorListMetadataILi2EEENS1_24BinaryOpListAlphaFunctorIfLi2ELi2ELi0EEEJSt7dividesIfEfEEEvT_T0_DpT1_
	.p2align	8
	.type	_ZN2at6native12_GLOBAL__N_125multi_tensor_apply_kernelINS1_18TensorListMetadataILi2EEENS1_24BinaryOpListAlphaFunctorIfLi2ELi2ELi0EEEJSt7dividesIfEfEEEvT_T0_DpT1_,@function
_ZN2at6native12_GLOBAL__N_125multi_tensor_apply_kernelINS1_18TensorListMetadataILi2EEENS1_24BinaryOpListAlphaFunctorIfLi2ELi2ELi0EEEJSt7dividesIfEfEEEvT_T0_DpT1_: ; @_ZN2at6native12_GLOBAL__N_125multi_tensor_apply_kernelINS1_18TensorListMetadataILi2EEENS1_24BinaryOpListAlphaFunctorIfLi2ELi2ELi0EEEJSt7dividesIfEfEEEvT_T0_DpT1_
; %bb.0:
	v_mov_b32_e32 v1, s15
	s_add_u32 s2, s0, s15
	s_mul_hi_u32 s3, s15, 3
	s_mul_i32 s15, s15, 3
	s_addc_u32 s4, s1, 0
	global_load_u8 v1, v1, s[0:1] offset:1536
	s_add_u32 s2, s2, s15
	s_addc_u32 s3, s4, s3
	s_mov_b32 s19, 0
	s_load_b32 s2, s[2:3], 0x740
	s_mov_b32 s21, s19
	s_mov_b32 s23, s19
	s_waitcnt vmcnt(0)
	v_readfirstlane_b32 s3, v1
	s_delay_alu instid0(VALU_DEP_1)
	s_lshl_b32 s3, s3, 3
	s_clause 0x3
	s_load_b64 s[10:11], s[0:1], s3 offset:0x0
	s_load_b64 s[12:13], s[0:1], s3 offset:0x200
	;; [unrolled: 1-line block ×3, first 2 shown]
	s_load_b32 s14, s[0:1], 0xc4c
	s_waitcnt lgkmcnt(0)
	s_ashr_i32 s3, s2, 31
	s_delay_alu instid0(SALU_CYCLE_1) | instskip(NEXT) | instid1(SALU_CYCLE_1)
	s_lshl_b64 s[6:7], s[2:3], 18
	s_add_u32 s5, s10, s6
	s_addc_u32 s15, s11, s7
	s_and_b32 s18, s5, 15
	s_add_u32 s16, s12, s6
	s_addc_u32 s17, s13, s7
	s_and_b32 s20, s8, 3
	s_and_b32 s22, s16, 15
	s_or_b64 s[18:19], s[18:19], s[20:21]
	s_lshl_b64 s[2:3], s[2:3], 16
	s_or_b64 s[18:19], s[22:23], s[18:19]
	s_sub_u32 s8, s8, s2
	s_subb_u32 s9, s9, s3
	s_cmp_eq_u64 s[18:19], 0
	s_mov_b32 s2, -1
	s_cbranch_scc0 .LBB78_5
; %bb.1:
	v_dual_mov_b32 v2, 0 :: v_dual_lshlrev_b32 v1, 2, v0
	s_mov_b32 s18, exec_lo
	s_delay_alu instid0(VALU_DEP_1)
	v_cmpx_gt_i64_e64 s[8:9], v[1:2]
	s_cbranch_execz .LBB78_4
; %bb.2:
	s_load_b32 s2, s[0:1], 0xc5c
	v_lshlrev_b32_e32 v3, 4, v0
	s_mov_b32 s19, 0
	s_waitcnt lgkmcnt(0)
	s_and_b32 s2, s2, 0xffff
	s_delay_alu instid0(SALU_CYCLE_1)
	v_add_lshl_u32 v1, v0, s2, 2
	s_lshl_b32 s20, s2, 2
	s_lshl_b32 s21, s2, 4
.LBB78_3:                               ; =>This Inner Loop Header: Depth=1
	v_add_co_u32 v4, s2, s16, v3
	s_delay_alu instid0(VALU_DEP_1) | instskip(SKIP_1) | instid1(VALU_DEP_1)
	v_add_co_ci_u32_e64 v5, null, s17, 0, s2
	v_add_co_u32 v12, s2, s5, v3
	v_add_co_ci_u32_e64 v13, null, s15, 0, s2
	global_load_b128 v[4:7], v[4:5], off
	global_load_b128 v[8:11], v[12:13], off
	v_cmp_le_i64_e32 vcc_lo, s[8:9], v[1:2]
	v_cmp_lt_u64_e64 s2, 0xffff, v[1:2]
	v_add_co_u32 v1, s3, v1, s20
	s_delay_alu instid0(VALU_DEP_1) | instskip(NEXT) | instid1(VALU_DEP_3)
	v_add_co_ci_u32_e64 v2, s3, 0, v2, s3
	s_or_b32 s22, vcc_lo, s2
	s_add_u32 s5, s5, s21
	s_addc_u32 s15, s15, 0
	s_add_u32 s16, s16, s21
	s_addc_u32 s17, s17, 0
	s_waitcnt vmcnt(1)
	v_dual_mul_f32 v4, s14, v4 :: v_dual_mul_f32 v5, s14, v5
	v_dual_mul_f32 v6, s14, v6 :: v_dual_mul_f32 v7, s14, v7
	s_waitcnt vmcnt(0)
	s_delay_alu instid0(VALU_DEP_2) | instskip(NEXT) | instid1(VALU_DEP_3)
	v_div_scale_f32 v14, null, v4, v4, v8
	v_div_scale_f32 v16, null, v5, v5, v9
	s_delay_alu instid0(VALU_DEP_3) | instskip(NEXT) | instid1(VALU_DEP_3)
	v_div_scale_f32 v18, null, v6, v6, v10
	v_rcp_f32_e32 v22, v14
	v_div_scale_f32 v20, null, v7, v7, v11
	s_delay_alu instid0(VALU_DEP_3) | instskip(NEXT) | instid1(VALU_DEP_2)
	v_rcp_f32_e32 v23, v16
	v_rcp_f32_e32 v24, v18
	v_div_scale_f32 v15, vcc_lo, v8, v4, v8
	s_delay_alu instid0(VALU_DEP_2) | instskip(SKIP_3) | instid1(TRANS32_DEP_3)
	v_rcp_f32_e32 v25, v20
	v_div_scale_f32 v17, s2, v9, v5, v9
	v_fma_f32 v26, -v14, v22, 1.0
	v_div_scale_f32 v19, s3, v10, v6, v10
	v_fma_f32 v27, -v16, v23, 1.0
	s_delay_alu instid0(TRANS32_DEP_2) | instskip(NEXT) | instid1(VALU_DEP_4)
	v_fma_f32 v28, -v18, v24, 1.0
	v_fmac_f32_e32 v22, v26, v22
	v_div_scale_f32 v21, s4, v11, v7, v11
	s_delay_alu instid0(VALU_DEP_4) | instskip(NEXT) | instid1(TRANS32_DEP_1)
	v_fmac_f32_e32 v23, v27, v23
	v_fma_f32 v29, -v20, v25, 1.0
	v_fmac_f32_e32 v24, v28, v24
	s_delay_alu instid0(VALU_DEP_3) | instskip(NEXT) | instid1(VALU_DEP_2)
	v_dual_mul_f32 v26, v15, v22 :: v_dual_mul_f32 v27, v17, v23
	v_dual_fmac_f32 v25, v29, v25 :: v_dual_mul_f32 v28, v19, v24
	s_delay_alu instid0(VALU_DEP_2) | instskip(NEXT) | instid1(VALU_DEP_3)
	v_fma_f32 v30, -v14, v26, v15
	v_fma_f32 v31, -v16, v27, v17
	s_delay_alu instid0(VALU_DEP_3) | instskip(NEXT) | instid1(VALU_DEP_4)
	v_mul_f32_e32 v29, v21, v25
	v_fma_f32 v32, -v18, v28, v19
	s_delay_alu instid0(VALU_DEP_3) | instskip(NEXT) | instid1(VALU_DEP_3)
	v_dual_fmac_f32 v26, v30, v22 :: v_dual_fmac_f32 v27, v31, v23
	v_fma_f32 v33, -v20, v29, v21
	s_delay_alu instid0(VALU_DEP_3) | instskip(NEXT) | instid1(VALU_DEP_3)
	v_fmac_f32_e32 v28, v32, v24
	v_fma_f32 v14, -v14, v26, v15
	s_delay_alu instid0(VALU_DEP_4) | instskip(NEXT) | instid1(VALU_DEP_4)
	v_fma_f32 v15, -v16, v27, v17
	v_fmac_f32_e32 v29, v33, v25
	s_delay_alu instid0(VALU_DEP_4) | instskip(NEXT) | instid1(VALU_DEP_4)
	v_fma_f32 v16, -v18, v28, v19
	v_div_fmas_f32 v14, v14, v22, v26
	s_mov_b32 vcc_lo, s2
	s_and_b32 s2, exec_lo, s22
	v_fma_f32 v17, -v20, v29, v21
	v_div_fmas_f32 v15, v15, v23, v27
	s_mov_b32 vcc_lo, s3
	v_div_fixup_f32 v4, v14, v4, v8
	v_div_fmas_f32 v16, v16, v24, v28
	s_mov_b32 vcc_lo, s4
	v_div_fixup_f32 v5, v15, v5, v9
	v_div_fmas_f32 v17, v17, v25, v29
	s_or_b32 s19, s2, s19
	v_div_fixup_f32 v6, v16, v6, v10
	s_delay_alu instid0(VALU_DEP_2)
	v_div_fixup_f32 v7, v17, v7, v11
	global_store_b128 v[12:13], v[4:7], off
	s_and_not1_b32 exec_lo, exec_lo, s19
	s_cbranch_execnz .LBB78_3
.LBB78_4:
	s_or_b32 exec_lo, exec_lo, s18
	s_mov_b32 s2, 0
.LBB78_5:
	s_delay_alu instid0(SALU_CYCLE_1)
	s_and_not1_b32 vcc_lo, exec_lo, s2
	s_cbranch_vccnz .LBB78_25
; %bb.6:
	v_cmp_lt_i64_e64 s2, s[8:9], 1
	s_delay_alu instid0(VALU_DEP_1)
	s_and_b32 vcc_lo, exec_lo, s2
	s_cbranch_vccnz .LBB78_25
; %bb.7:
	s_load_b32 s0, s[0:1], 0xc5c
	v_dual_mov_b32 v10, 0 :: v_dual_lshlrev_b32 v9, 2, v0
	v_cmp_gt_u64_e64 s1, 0x10000, s[8:9]
	s_delay_alu instid0(VALU_DEP_2) | instskip(NEXT) | instid1(VALU_DEP_1)
	v_add_co_u32 v1, s2, s10, v9
	v_add_co_ci_u32_e64 v2, null, s11, 0, s2
	v_add_co_u32 v3, s2, s12, v9
	s_delay_alu instid0(VALU_DEP_1)
	v_add_co_ci_u32_e64 v4, null, s13, 0, s2
	s_waitcnt lgkmcnt(0)
	s_and_b32 s0, s0, 0xffff
	s_and_b32 s1, s1, exec_lo
	v_mad_u64_u32 v[7:8], null, s0, 12, v[9:10]
	s_cselect_b32 s5, s9, 0
	s_cselect_b32 s4, s8, 0x10000
	s_mul_i32 s2, s0, 3
	s_lshl_b32 s3, s0, 3
	s_lshl_b32 s1, s0, 1
	v_add_co_u32 v14, s3, s3, v9
	v_add_co_u32 v9, s2, s2, v0
	s_delay_alu instid0(VALU_DEP_1) | instskip(SKIP_3) | instid1(VALU_DEP_3)
	v_add_co_ci_u32_e64 v10, null, 0, 0, s2
	v_add_co_u32 v13, s2, v0, s0
	v_add_co_u32 v5, vcc_lo, s10, v7
	v_add_co_ci_u32_e32 v6, vcc_lo, s11, v8, vcc_lo
	v_lshlrev_b32_e32 v21, 2, v13
	v_add_co_u32 v7, vcc_lo, s12, v7
	v_add_co_ci_u32_e64 v15, null, 0, 0, s3
	v_add_co_ci_u32_e32 v8, vcc_lo, s13, v8, vcc_lo
	v_add_co_u32 v17, s1, s1, v0
	v_add_co_u32 v11, vcc_lo, s10, v14
	v_add_co_ci_u32_e64 v18, null, 0, 0, s1
	v_add_co_u32 v19, s1, s10, v21
	v_add_co_ci_u32_e32 v12, vcc_lo, s11, v15, vcc_lo
	v_add_co_u32 v14, vcc_lo, s12, v14
	v_add_co_ci_u32_e64 v20, null, s11, 0, s1
	v_add_co_u32 v21, s1, s12, v21
	v_add_co_ci_u32_e32 v15, vcc_lo, s13, v15, vcc_lo
	v_add_co_ci_u32_e64 v16, null, 0, 0, s2
	v_add_co_ci_u32_e64 v22, null, s13, 0, s1
	s_lshl_b32 s12, s0, 2
	s_lshl_b32 s13, s0, 4
	s_mov_b64 s[10:11], 0
	s_branch .LBB78_9
.LBB78_8:                               ;   in Loop: Header=BB78_9 Depth=1
	s_or_b32 exec_lo, exec_lo, s0
	v_add_co_u32 v1, vcc_lo, v1, s13
	v_add_co_ci_u32_e32 v2, vcc_lo, 0, v2, vcc_lo
	v_add_co_u32 v3, vcc_lo, v3, s13
	v_add_co_ci_u32_e32 v4, vcc_lo, 0, v4, vcc_lo
	;; [unrolled: 2-line block ×5, first 2 shown]
	s_add_u32 s10, s10, s12
	v_add_co_u32 v14, vcc_lo, v14, s13
	s_addc_u32 s11, s11, 0
	v_add_co_ci_u32_e32 v15, vcc_lo, 0, v15, vcc_lo
	v_cmp_ge_i64_e64 s0, s[10:11], s[8:9]
	v_cmp_lt_u64_e64 s1, 0xffff, s[10:11]
	v_add_co_u32 v19, vcc_lo, v19, s13
	v_add_co_ci_u32_e32 v20, vcc_lo, 0, v20, vcc_lo
	v_add_co_u32 v21, vcc_lo, v21, s13
	v_add_co_ci_u32_e32 v22, vcc_lo, 0, v22, vcc_lo
	s_or_b32 s0, s0, s1
	s_delay_alu instid0(SALU_CYCLE_1)
	s_and_b32 vcc_lo, exec_lo, s0
	s_cbranch_vccnz .LBB78_25
.LBB78_9:                               ; =>This Inner Loop Header: Depth=1
	s_waitcnt vmcnt(1)
	v_add_co_u32 v23, s0, v0, s10
	s_delay_alu instid0(VALU_DEP_1) | instskip(SKIP_2) | instid1(VALU_DEP_2)
	v_add_co_ci_u32_e64 v24, null, 0, s11, s0
	s_waitcnt vmcnt(0)
	v_mov_b32_e32 v27, 0
	v_cmp_gt_u64_e32 vcc_lo, s[4:5], v[23:24]
	v_mov_b32_e32 v24, 0
	s_and_saveexec_b32 s1, vcc_lo
	s_cbranch_execz .LBB78_11
; %bb.10:                               ;   in Loop: Header=BB78_9 Depth=1
	v_add_co_u32 v23, s0, v1, s6
	s_delay_alu instid0(VALU_DEP_1) | instskip(SKIP_1) | instid1(VALU_DEP_1)
	v_add_co_ci_u32_e64 v24, s0, s7, v2, s0
	v_add_co_u32 v25, s0, v3, s6
	v_add_co_ci_u32_e64 v26, s0, s7, v4, s0
	global_load_b32 v24, v[23:24], off
	global_load_b32 v27, v[25:26], off
.LBB78_11:                              ;   in Loop: Header=BB78_9 Depth=1
	s_or_b32 exec_lo, exec_lo, s1
	v_add_co_u32 v25, s0, v13, s10
	s_delay_alu instid0(VALU_DEP_1) | instskip(SKIP_1) | instid1(VALU_DEP_2)
	v_add_co_ci_u32_e64 v26, s0, s11, v16, s0
	v_dual_mov_b32 v23, 0 :: v_dual_mov_b32 v28, 0
	v_cmp_gt_u64_e64 s0, s[4:5], v[25:26]
	v_mov_b32_e32 v25, 0
	s_delay_alu instid0(VALU_DEP_2)
	s_and_saveexec_b32 s2, s0
	s_cbranch_execz .LBB78_13
; %bb.12:                               ;   in Loop: Header=BB78_9 Depth=1
	v_add_co_u32 v25, s1, v19, s6
	s_delay_alu instid0(VALU_DEP_1) | instskip(SKIP_1) | instid1(VALU_DEP_1)
	v_add_co_ci_u32_e64 v26, s1, s7, v20, s1
	v_add_co_u32 v28, s1, v21, s6
	v_add_co_ci_u32_e64 v29, s1, s7, v22, s1
	global_load_b32 v25, v[25:26], off
	global_load_b32 v28, v[28:29], off
.LBB78_13:                              ;   in Loop: Header=BB78_9 Depth=1
	s_or_b32 exec_lo, exec_lo, s2
	v_add_co_u32 v29, s1, v17, s10
	s_delay_alu instid0(VALU_DEP_1) | instskip(NEXT) | instid1(VALU_DEP_1)
	v_add_co_ci_u32_e64 v30, s1, s11, v18, s1
	v_cmp_gt_u64_e64 s1, s[4:5], v[29:30]
	v_mov_b32_e32 v29, 0
	s_delay_alu instid0(VALU_DEP_2)
	s_and_saveexec_b32 s3, s1
	s_cbranch_execz .LBB78_15
; %bb.14:                               ;   in Loop: Header=BB78_9 Depth=1
	v_add_co_u32 v29, s2, v11, s6
	s_delay_alu instid0(VALU_DEP_1) | instskip(SKIP_1) | instid1(VALU_DEP_1)
	v_add_co_ci_u32_e64 v30, s2, s7, v12, s2
	v_add_co_u32 v31, s2, v14, s6
	v_add_co_ci_u32_e64 v32, s2, s7, v15, s2
	global_load_b32 v23, v[29:30], off
	global_load_b32 v29, v[31:32], off
.LBB78_15:                              ;   in Loop: Header=BB78_9 Depth=1
	s_or_b32 exec_lo, exec_lo, s3
	v_add_co_u32 v30, s2, v9, s10
	s_delay_alu instid0(VALU_DEP_1) | instskip(SKIP_1) | instid1(VALU_DEP_2)
	v_add_co_ci_u32_e64 v31, s2, s11, v10, s2
	v_mov_b32_e32 v26, 0
	v_cmp_gt_u64_e64 s2, s[4:5], v[30:31]
	v_mov_b32_e32 v30, 0
	s_delay_alu instid0(VALU_DEP_2)
	s_and_saveexec_b32 s15, s2
	s_cbranch_execnz .LBB78_20
; %bb.16:                               ;   in Loop: Header=BB78_9 Depth=1
	s_or_b32 exec_lo, exec_lo, s15
	s_and_saveexec_b32 s3, vcc_lo
	s_cbranch_execnz .LBB78_21
.LBB78_17:                              ;   in Loop: Header=BB78_9 Depth=1
	s_or_b32 exec_lo, exec_lo, s3
	s_and_saveexec_b32 s3, s0
	s_cbranch_execnz .LBB78_22
.LBB78_18:                              ;   in Loop: Header=BB78_9 Depth=1
	s_or_b32 exec_lo, exec_lo, s3
	s_and_saveexec_b32 s0, s1
	s_cbranch_execnz .LBB78_23
.LBB78_19:                              ;   in Loop: Header=BB78_9 Depth=1
	s_or_b32 exec_lo, exec_lo, s0
	s_and_saveexec_b32 s0, s2
	s_cbranch_execz .LBB78_8
	s_branch .LBB78_24
.LBB78_20:                              ;   in Loop: Header=BB78_9 Depth=1
	v_add_co_u32 v30, s3, v5, s6
	s_delay_alu instid0(VALU_DEP_1) | instskip(SKIP_1) | instid1(VALU_DEP_1)
	v_add_co_ci_u32_e64 v31, s3, s7, v6, s3
	v_add_co_u32 v32, s3, v7, s6
	v_add_co_ci_u32_e64 v33, s3, s7, v8, s3
	global_load_b32 v26, v[30:31], off
	global_load_b32 v30, v[32:33], off
	s_or_b32 exec_lo, exec_lo, s15
	s_and_saveexec_b32 s3, vcc_lo
	s_cbranch_execz .LBB78_17
.LBB78_21:                              ;   in Loop: Header=BB78_9 Depth=1
	s_waitcnt vmcnt(0)
	v_mul_f32_e32 v27, s14, v27
	s_delay_alu instid0(VALU_DEP_1) | instskip(NEXT) | instid1(VALU_DEP_1)
	v_div_scale_f32 v31, null, v27, v27, v24
	v_rcp_f32_e32 v32, v31
	s_waitcnt_depctr 0xfff
	v_fma_f32 v33, -v31, v32, 1.0
	s_delay_alu instid0(VALU_DEP_1) | instskip(SKIP_1) | instid1(VALU_DEP_1)
	v_fmac_f32_e32 v32, v33, v32
	v_div_scale_f32 v34, vcc_lo, v24, v27, v24
	v_mul_f32_e32 v33, v34, v32
	s_delay_alu instid0(VALU_DEP_1) | instskip(NEXT) | instid1(VALU_DEP_1)
	v_fma_f32 v35, -v31, v33, v34
	v_fmac_f32_e32 v33, v35, v32
	s_delay_alu instid0(VALU_DEP_1) | instskip(NEXT) | instid1(VALU_DEP_1)
	v_fma_f32 v31, -v31, v33, v34
	v_div_fmas_f32 v31, v31, v32, v33
	s_delay_alu instid0(VALU_DEP_1)
	v_div_fixup_f32 v24, v31, v27, v24
	v_add_co_u32 v31, vcc_lo, v1, s6
	v_add_co_ci_u32_e32 v32, vcc_lo, s7, v2, vcc_lo
	global_store_b32 v[31:32], v24, off
	s_or_b32 exec_lo, exec_lo, s3
	s_and_saveexec_b32 s3, s0
	s_cbranch_execz .LBB78_18
.LBB78_22:                              ;   in Loop: Header=BB78_9 Depth=1
	s_waitcnt vmcnt(0)
	v_mul_f32_e32 v24, s14, v28
	s_delay_alu instid0(VALU_DEP_1) | instskip(SKIP_1) | instid1(VALU_DEP_2)
	v_div_scale_f32 v27, null, v24, v24, v25
	v_div_scale_f32 v32, vcc_lo, v25, v24, v25
	v_rcp_f32_e32 v28, v27
	s_waitcnt_depctr 0xfff
	v_fma_f32 v31, -v27, v28, 1.0
	s_delay_alu instid0(VALU_DEP_1) | instskip(NEXT) | instid1(VALU_DEP_1)
	v_fmac_f32_e32 v28, v31, v28
	v_mul_f32_e32 v31, v32, v28
	s_delay_alu instid0(VALU_DEP_1) | instskip(NEXT) | instid1(VALU_DEP_1)
	v_fma_f32 v33, -v27, v31, v32
	v_fmac_f32_e32 v31, v33, v28
	s_delay_alu instid0(VALU_DEP_1) | instskip(NEXT) | instid1(VALU_DEP_1)
	v_fma_f32 v27, -v27, v31, v32
	v_div_fmas_f32 v27, v27, v28, v31
	s_delay_alu instid0(VALU_DEP_1)
	v_div_fixup_f32 v27, v27, v24, v25
	v_add_co_u32 v24, vcc_lo, v19, s6
	v_add_co_ci_u32_e32 v25, vcc_lo, s7, v20, vcc_lo
	global_store_b32 v[24:25], v27, off
	s_or_b32 exec_lo, exec_lo, s3
	s_and_saveexec_b32 s0, s1
	s_cbranch_execz .LBB78_19
.LBB78_23:                              ;   in Loop: Header=BB78_9 Depth=1
	s_waitcnt vmcnt(0)
	v_mul_f32_e32 v24, s14, v29
	s_delay_alu instid0(VALU_DEP_1) | instskip(NEXT) | instid1(VALU_DEP_1)
	v_div_scale_f32 v25, null, v24, v24, v23
	v_rcp_f32_e32 v27, v25
	s_waitcnt_depctr 0xfff
	v_fma_f32 v28, -v25, v27, 1.0
	s_delay_alu instid0(VALU_DEP_1) | instskip(SKIP_1) | instid1(VALU_DEP_1)
	v_fmac_f32_e32 v27, v28, v27
	v_div_scale_f32 v29, vcc_lo, v23, v24, v23
	v_mul_f32_e32 v28, v29, v27
	s_delay_alu instid0(VALU_DEP_1) | instskip(NEXT) | instid1(VALU_DEP_1)
	v_fma_f32 v31, -v25, v28, v29
	v_fmac_f32_e32 v28, v31, v27
	s_delay_alu instid0(VALU_DEP_1) | instskip(NEXT) | instid1(VALU_DEP_1)
	v_fma_f32 v25, -v25, v28, v29
	v_div_fmas_f32 v25, v25, v27, v28
	s_delay_alu instid0(VALU_DEP_1)
	v_div_fixup_f32 v25, v25, v24, v23
	v_add_co_u32 v23, vcc_lo, v11, s6
	v_add_co_ci_u32_e32 v24, vcc_lo, s7, v12, vcc_lo
	global_store_b32 v[23:24], v25, off
	s_or_b32 exec_lo, exec_lo, s0
	s_and_saveexec_b32 s0, s2
	s_cbranch_execz .LBB78_8
.LBB78_24:                              ;   in Loop: Header=BB78_9 Depth=1
	s_waitcnt vmcnt(0)
	v_mul_f32_e32 v23, s14, v30
	s_delay_alu instid0(VALU_DEP_1) | instskip(SKIP_1) | instid1(VALU_DEP_2)
	v_div_scale_f32 v24, null, v23, v23, v26
	v_div_scale_f32 v28, vcc_lo, v26, v23, v26
	v_rcp_f32_e32 v25, v24
	s_waitcnt_depctr 0xfff
	v_fma_f32 v27, -v24, v25, 1.0
	s_delay_alu instid0(VALU_DEP_1) | instskip(NEXT) | instid1(VALU_DEP_1)
	v_fmac_f32_e32 v25, v27, v25
	v_mul_f32_e32 v27, v28, v25
	s_delay_alu instid0(VALU_DEP_1) | instskip(NEXT) | instid1(VALU_DEP_1)
	v_fma_f32 v29, -v24, v27, v28
	v_fmac_f32_e32 v27, v29, v25
	s_delay_alu instid0(VALU_DEP_1) | instskip(NEXT) | instid1(VALU_DEP_1)
	v_fma_f32 v24, -v24, v27, v28
	v_div_fmas_f32 v24, v24, v25, v27
	s_delay_alu instid0(VALU_DEP_1)
	v_div_fixup_f32 v25, v24, v23, v26
	v_add_co_u32 v23, vcc_lo, v5, s6
	v_add_co_ci_u32_e32 v24, vcc_lo, s7, v6, vcc_lo
	global_store_b32 v[23:24], v25, off
	s_branch .LBB78_8
.LBB78_25:
	s_nop 0
	s_sendmsg sendmsg(MSG_DEALLOC_VGPRS)
	s_endpgm
	.section	.rodata,"a",@progbits
	.p2align	6, 0x0
	.amdhsa_kernel _ZN2at6native12_GLOBAL__N_125multi_tensor_apply_kernelINS1_18TensorListMetadataILi2EEENS1_24BinaryOpListAlphaFunctorIfLi2ELi2ELi0EEEJSt7dividesIfEfEEEvT_T0_DpT1_
		.amdhsa_group_segment_fixed_size 0
		.amdhsa_private_segment_fixed_size 0
		.amdhsa_kernarg_size 3408
		.amdhsa_user_sgpr_count 15
		.amdhsa_user_sgpr_dispatch_ptr 0
		.amdhsa_user_sgpr_queue_ptr 0
		.amdhsa_user_sgpr_kernarg_segment_ptr 1
		.amdhsa_user_sgpr_dispatch_id 0
		.amdhsa_user_sgpr_private_segment_size 0
		.amdhsa_wavefront_size32 1
		.amdhsa_uses_dynamic_stack 0
		.amdhsa_enable_private_segment 0
		.amdhsa_system_sgpr_workgroup_id_x 1
		.amdhsa_system_sgpr_workgroup_id_y 0
		.amdhsa_system_sgpr_workgroup_id_z 0
		.amdhsa_system_sgpr_workgroup_info 0
		.amdhsa_system_vgpr_workitem_id 0
		.amdhsa_next_free_vgpr 36
		.amdhsa_next_free_sgpr 24
		.amdhsa_reserve_vcc 1
		.amdhsa_float_round_mode_32 0
		.amdhsa_float_round_mode_16_64 0
		.amdhsa_float_denorm_mode_32 3
		.amdhsa_float_denorm_mode_16_64 3
		.amdhsa_dx10_clamp 1
		.amdhsa_ieee_mode 1
		.amdhsa_fp16_overflow 0
		.amdhsa_workgroup_processor_mode 1
		.amdhsa_memory_ordered 1
		.amdhsa_forward_progress 0
		.amdhsa_shared_vgpr_count 0
		.amdhsa_exception_fp_ieee_invalid_op 0
		.amdhsa_exception_fp_denorm_src 0
		.amdhsa_exception_fp_ieee_div_zero 0
		.amdhsa_exception_fp_ieee_overflow 0
		.amdhsa_exception_fp_ieee_underflow 0
		.amdhsa_exception_fp_ieee_inexact 0
		.amdhsa_exception_int_div_zero 0
	.end_amdhsa_kernel
	.section	.text._ZN2at6native12_GLOBAL__N_125multi_tensor_apply_kernelINS1_18TensorListMetadataILi2EEENS1_24BinaryOpListAlphaFunctorIfLi2ELi2ELi0EEEJSt7dividesIfEfEEEvT_T0_DpT1_,"axG",@progbits,_ZN2at6native12_GLOBAL__N_125multi_tensor_apply_kernelINS1_18TensorListMetadataILi2EEENS1_24BinaryOpListAlphaFunctorIfLi2ELi2ELi0EEEJSt7dividesIfEfEEEvT_T0_DpT1_,comdat
.Lfunc_end78:
	.size	_ZN2at6native12_GLOBAL__N_125multi_tensor_apply_kernelINS1_18TensorListMetadataILi2EEENS1_24BinaryOpListAlphaFunctorIfLi2ELi2ELi0EEEJSt7dividesIfEfEEEvT_T0_DpT1_, .Lfunc_end78-_ZN2at6native12_GLOBAL__N_125multi_tensor_apply_kernelINS1_18TensorListMetadataILi2EEENS1_24BinaryOpListAlphaFunctorIfLi2ELi2ELi0EEEJSt7dividesIfEfEEEvT_T0_DpT1_
                                        ; -- End function
	.section	.AMDGPU.csdata,"",@progbits
; Kernel info:
; codeLenInByte = 2264
; NumSgprs: 26
; NumVgprs: 36
; ScratchSize: 0
; MemoryBound: 0
; FloatMode: 240
; IeeeMode: 1
; LDSByteSize: 0 bytes/workgroup (compile time only)
; SGPRBlocks: 3
; VGPRBlocks: 4
; NumSGPRsForWavesPerEU: 26
; NumVGPRsForWavesPerEU: 36
; Occupancy: 16
; WaveLimiterHint : 0
; COMPUTE_PGM_RSRC2:SCRATCH_EN: 0
; COMPUTE_PGM_RSRC2:USER_SGPR: 15
; COMPUTE_PGM_RSRC2:TRAP_HANDLER: 0
; COMPUTE_PGM_RSRC2:TGID_X_EN: 1
; COMPUTE_PGM_RSRC2:TGID_Y_EN: 0
; COMPUTE_PGM_RSRC2:TGID_Z_EN: 0
; COMPUTE_PGM_RSRC2:TIDIG_COMP_CNT: 0
	.section	.text._ZN2at6native12_GLOBAL__N_125multi_tensor_apply_kernelINS1_18TensorListMetadataILi2EEENS1_24BinaryOpListAlphaFunctorIN3c107complexIdEELi2ELi2ELi0EEEJSt7dividesIS8_ES8_EEEvT_T0_DpT1_,"axG",@progbits,_ZN2at6native12_GLOBAL__N_125multi_tensor_apply_kernelINS1_18TensorListMetadataILi2EEENS1_24BinaryOpListAlphaFunctorIN3c107complexIdEELi2ELi2ELi0EEEJSt7dividesIS8_ES8_EEEvT_T0_DpT1_,comdat
	.globl	_ZN2at6native12_GLOBAL__N_125multi_tensor_apply_kernelINS1_18TensorListMetadataILi2EEENS1_24BinaryOpListAlphaFunctorIN3c107complexIdEELi2ELi2ELi0EEEJSt7dividesIS8_ES8_EEEvT_T0_DpT1_ ; -- Begin function _ZN2at6native12_GLOBAL__N_125multi_tensor_apply_kernelINS1_18TensorListMetadataILi2EEENS1_24BinaryOpListAlphaFunctorIN3c107complexIdEELi2ELi2ELi0EEEJSt7dividesIS8_ES8_EEEvT_T0_DpT1_
	.p2align	8
	.type	_ZN2at6native12_GLOBAL__N_125multi_tensor_apply_kernelINS1_18TensorListMetadataILi2EEENS1_24BinaryOpListAlphaFunctorIN3c107complexIdEELi2ELi2ELi0EEEJSt7dividesIS8_ES8_EEEvT_T0_DpT1_,@function
_ZN2at6native12_GLOBAL__N_125multi_tensor_apply_kernelINS1_18TensorListMetadataILi2EEENS1_24BinaryOpListAlphaFunctorIN3c107complexIdEELi2ELi2ELi0EEEJSt7dividesIS8_ES8_EEEvT_T0_DpT1_: ; @_ZN2at6native12_GLOBAL__N_125multi_tensor_apply_kernelINS1_18TensorListMetadataILi2EEENS1_24BinaryOpListAlphaFunctorIN3c107complexIdEELi2ELi2ELi0EEEJSt7dividesIS8_ES8_EEEvT_T0_DpT1_
; %bb.0:
	v_mov_b32_e32 v1, s15
	s_add_u32 s2, s0, s15
	s_mul_hi_u32 s3, s15, 3
	s_mul_i32 s15, s15, 3
	s_addc_u32 s4, s1, 0
	global_load_u8 v1, v1, s[0:1] offset:1536
	s_add_u32 s2, s2, s15
	s_addc_u32 s3, s4, s3
	s_mov_b32 s21, 0
	s_load_b32 s2, s[2:3], 0x740
	s_mov_b32 s23, s21
	s_mov_b32 s25, s21
	s_waitcnt vmcnt(0)
	v_readfirstlane_b32 s3, v1
	s_delay_alu instid0(VALU_DEP_1)
	s_lshl_b32 s3, s3, 3
	s_clause 0x3
	s_load_b64 s[4:5], s[0:1], s3 offset:0x0
	s_load_b64 s[18:19], s[0:1], s3 offset:0x200
	;; [unrolled: 1-line block ×3, first 2 shown]
	s_load_b128 s[8:11], s[0:1], 0xc50
	s_waitcnt lgkmcnt(0)
	s_ashr_i32 s3, s2, 31
	s_delay_alu instid0(SALU_CYCLE_1) | instskip(NEXT) | instid1(SALU_CYCLE_1)
	s_lshl_b64 s[6:7], s[2:3], 20
	s_add_u32 s14, s4, s6
	s_addc_u32 s15, s5, s7
	s_add_u32 s16, s18, s6
	s_addc_u32 s17, s19, s7
	s_and_b32 s22, s14, 63
	s_and_b32 s24, s12, 3
	;; [unrolled: 1-line block ×3, first 2 shown]
	s_or_b64 s[22:23], s[22:23], s[24:25]
	s_lshl_b64 s[2:3], s[2:3], 16
	s_or_b64 s[20:21], s[20:21], s[22:23]
	s_sub_u32 s12, s12, s2
	s_subb_u32 s13, s13, s3
	s_cmp_eq_u64 s[20:21], 0
	s_mov_b32 s2, -1
	s_cbranch_scc0 .LBB79_37
; %bb.1:
	v_dual_mov_b32 v34, 0 :: v_dual_lshlrev_b32 v33, 2, v0
	s_mov_b32 s20, exec_lo
	s_delay_alu instid0(VALU_DEP_1)
	v_cmpx_gt_i64_e64 s[12:13], v[33:34]
	s_cbranch_execz .LBB79_36
; %bb.2:
	s_load_b32 s2, s[0:1], 0xc6c
	v_lshlrev_b32_e32 v45, 6, v0
	s_mov_b32 s21, 0
	s_waitcnt lgkmcnt(0)
	s_and_b32 s2, s2, 0xffff
	s_delay_alu instid0(SALU_CYCLE_1)
	v_add_lshl_u32 v33, v0, s2, 2
	s_lshl_b32 s22, s2, 2
	s_lshl_b32 s23, s2, 6
	s_branch .LBB79_4
.LBB79_3:                               ;   in Loop: Header=BB79_4 Depth=1
	s_or_b32 exec_lo, exec_lo, s2
	v_cmp_le_i64_e32 vcc_lo, s[12:13], v[33:34]
	v_cmp_lt_u64_e64 s2, 0xffff, v[33:34]
	v_add_co_u32 v33, s3, v33, s22
	s_delay_alu instid0(VALU_DEP_1)
	v_add_co_ci_u32_e64 v34, s3, 0, v34, s3
	s_clause 0x1
	global_store_b128 v[35:36], v[5:8], off
	global_store_b128 v[35:36], v[17:20], off offset:16
	s_or_b32 s2, vcc_lo, s2
	s_add_u32 s14, s14, s23
	s_addc_u32 s15, s15, 0
	s_add_u32 s16, s16, s23
	s_addc_u32 s17, s17, 0
	s_and_b32 s2, exec_lo, s2
	s_clause 0x1
	global_store_b128 v[35:36], v[21:24], off offset:32
	global_store_b128 v[35:36], v[9:12], off offset:48
	s_or_b32 s21, s2, s21
	s_delay_alu instid0(SALU_CYCLE_1)
	s_and_not1_b32 exec_lo, exec_lo, s21
	s_cbranch_execz .LBB79_36
.LBB79_4:                               ; =>This Inner Loop Header: Depth=1
	v_add_co_u32 v21, s2, s16, v45
	s_delay_alu instid0(VALU_DEP_1) | instskip(SKIP_1) | instid1(VALU_DEP_1)
	v_add_co_ci_u32_e64 v22, null, s17, 0, s2
	v_add_co_u32 v35, s2, s14, v45
	v_add_co_ci_u32_e64 v36, null, s15, 0, s2
	s_clause 0x1
	global_load_b128 v[5:8], v[21:22], off
	global_load_b128 v[17:20], v[21:22], off offset:16
	s_clause 0x3
	global_load_b128 v[1:4], v[35:36], off offset:48
	global_load_b128 v[13:16], v[35:36], off offset:32
	;; [unrolled: 1-line block ×3, first 2 shown]
	global_load_b128 v[29:32], v[35:36], off
	s_clause 0x1
	global_load_b128 v[9:12], v[21:22], off offset:48
	global_load_b128 v[21:24], v[21:22], off offset:32
	s_waitcnt vmcnt(7)
	v_mul_f64 v[37:38], s[10:11], v[7:8]
	v_mul_f64 v[7:8], s[8:9], v[7:8]
	s_delay_alu instid0(VALU_DEP_2) | instskip(NEXT) | instid1(VALU_DEP_2)
	v_fma_f64 v[37:38], s[8:9], v[5:6], -v[37:38]
	v_fma_f64 v[39:40], s[10:11], v[5:6], v[7:8]
                                        ; implicit-def: $vgpr7_vgpr8
	s_delay_alu instid0(VALU_DEP_2) | instskip(NEXT) | instid1(VALU_DEP_2)
	v_cmp_gt_f64_e32 vcc_lo, 0, v[37:38]
	v_cmp_gt_f64_e64 s2, 0, v[39:40]
	v_xor_b32_e32 v5, 0x80000000, v38
	v_xor_b32_e32 v6, 0x80000000, v40
	s_delay_alu instid0(VALU_DEP_2) | instskip(NEXT) | instid1(VALU_DEP_2)
	v_cndmask_b32_e32 v42, v38, v5, vcc_lo
	v_cndmask_b32_e64 v44, v40, v6, s2
	v_cndmask_b32_e32 v41, v37, v37, vcc_lo
	v_cndmask_b32_e64 v43, v39, v39, s2
	s_mov_b32 s2, exec_lo
	s_delay_alu instid0(VALU_DEP_1)
	v_cmpx_ge_f64_e32 v[41:42], v[43:44]
	s_xor_b32 s3, exec_lo, s2
	s_cbranch_execz .LBB79_10
; %bb.5:                                ;   in Loop: Header=BB79_4 Depth=1
	v_cmp_neq_f64_e32 vcc_lo, 0, v[37:38]
	v_cmp_neq_f64_e64 s2, 0, v[39:40]
                                        ; implicit-def: $vgpr7_vgpr8
	s_delay_alu instid0(VALU_DEP_1) | instskip(NEXT) | instid1(SALU_CYCLE_1)
	s_or_b32 s2, vcc_lo, s2
	s_and_saveexec_b32 s24, s2
	s_delay_alu instid0(SALU_CYCLE_1)
	s_xor_b32 s2, exec_lo, s24
	s_cbranch_execz .LBB79_7
; %bb.6:                                ;   in Loop: Header=BB79_4 Depth=1
	v_div_scale_f64 v[5:6], null, v[37:38], v[37:38], v[39:40]
	v_div_scale_f64 v[43:44], vcc_lo, v[39:40], v[37:38], v[39:40]
	s_delay_alu instid0(VALU_DEP_2) | instskip(SKIP_2) | instid1(VALU_DEP_1)
	v_rcp_f64_e32 v[7:8], v[5:6]
	s_waitcnt_depctr 0xfff
	v_fma_f64 v[41:42], -v[5:6], v[7:8], 1.0
	v_fma_f64 v[7:8], v[7:8], v[41:42], v[7:8]
	s_delay_alu instid0(VALU_DEP_1) | instskip(NEXT) | instid1(VALU_DEP_1)
	v_fma_f64 v[41:42], -v[5:6], v[7:8], 1.0
	v_fma_f64 v[7:8], v[7:8], v[41:42], v[7:8]
	s_delay_alu instid0(VALU_DEP_1) | instskip(NEXT) | instid1(VALU_DEP_1)
	v_mul_f64 v[41:42], v[43:44], v[7:8]
	v_fma_f64 v[5:6], -v[5:6], v[41:42], v[43:44]
	s_delay_alu instid0(VALU_DEP_1) | instskip(NEXT) | instid1(VALU_DEP_1)
	v_div_fmas_f64 v[5:6], v[5:6], v[7:8], v[41:42]
	v_div_fixup_f64 v[5:6], v[5:6], v[37:38], v[39:40]
	s_delay_alu instid0(VALU_DEP_1) | instskip(NEXT) | instid1(VALU_DEP_1)
	v_fma_f64 v[7:8], v[39:40], v[5:6], v[37:38]
	v_div_scale_f64 v[37:38], null, v[7:8], v[7:8], 1.0
	v_div_scale_f64 v[43:44], vcc_lo, 1.0, v[7:8], 1.0
	s_delay_alu instid0(VALU_DEP_2) | instskip(SKIP_2) | instid1(VALU_DEP_1)
	v_rcp_f64_e32 v[39:40], v[37:38]
	s_waitcnt_depctr 0xfff
	v_fma_f64 v[41:42], -v[37:38], v[39:40], 1.0
	v_fma_f64 v[39:40], v[39:40], v[41:42], v[39:40]
	s_delay_alu instid0(VALU_DEP_1) | instskip(NEXT) | instid1(VALU_DEP_1)
	v_fma_f64 v[41:42], -v[37:38], v[39:40], 1.0
	v_fma_f64 v[39:40], v[39:40], v[41:42], v[39:40]
	s_delay_alu instid0(VALU_DEP_1) | instskip(NEXT) | instid1(VALU_DEP_1)
	v_mul_f64 v[41:42], v[43:44], v[39:40]
	v_fma_f64 v[37:38], -v[37:38], v[41:42], v[43:44]
                                        ; implicit-def: $vgpr43_vgpr44
	s_delay_alu instid0(VALU_DEP_1) | instskip(SKIP_3) | instid1(VALU_DEP_3)
	v_div_fmas_f64 v[37:38], v[37:38], v[39:40], v[41:42]
	s_waitcnt vmcnt(2)
	v_fma_f64 v[39:40], v[31:32], v[5:6], v[29:30]
	v_fma_f64 v[29:30], -v[29:30], v[5:6], v[31:32]
                                        ; implicit-def: $vgpr41_vgpr42
	v_div_fixup_f64 v[7:8], v[37:38], v[7:8], 1.0
	s_delay_alu instid0(VALU_DEP_1) | instskip(NEXT) | instid1(VALU_DEP_3)
	v_mul_f64 v[5:6], v[39:40], v[7:8]
	v_mul_f64 v[7:8], v[29:30], v[7:8]
                                        ; implicit-def: $vgpr29_vgpr30
.LBB79_7:                               ;   in Loop: Header=BB79_4 Depth=1
	s_and_not1_saveexec_b32 s24, s2
	s_cbranch_execz .LBB79_9
; %bb.8:                                ;   in Loop: Header=BB79_4 Depth=1
	s_waitcnt vmcnt(2)
	v_div_scale_f64 v[5:6], null, v[41:42], v[41:42], v[29:30]
	v_div_scale_f64 v[7:8], null, v[43:44], v[43:44], v[31:32]
	v_div_scale_f64 v[50:51], vcc_lo, v[29:30], v[41:42], v[29:30]
	s_delay_alu instid0(VALU_DEP_3) | instskip(NEXT) | instid1(VALU_DEP_2)
	v_rcp_f64_e32 v[37:38], v[5:6]
	v_rcp_f64_e32 v[39:40], v[7:8]
	s_waitcnt_depctr 0xfff
	v_fma_f64 v[46:47], -v[5:6], v[37:38], 1.0
	v_fma_f64 v[48:49], -v[7:8], v[39:40], 1.0
	s_delay_alu instid0(VALU_DEP_2) | instskip(NEXT) | instid1(VALU_DEP_2)
	v_fma_f64 v[37:38], v[37:38], v[46:47], v[37:38]
	v_fma_f64 v[39:40], v[39:40], v[48:49], v[39:40]
	s_delay_alu instid0(VALU_DEP_2) | instskip(NEXT) | instid1(VALU_DEP_2)
	v_fma_f64 v[46:47], -v[5:6], v[37:38], 1.0
	v_fma_f64 v[48:49], -v[7:8], v[39:40], 1.0
	s_delay_alu instid0(VALU_DEP_2) | instskip(SKIP_1) | instid1(VALU_DEP_3)
	v_fma_f64 v[37:38], v[37:38], v[46:47], v[37:38]
	v_div_scale_f64 v[46:47], s2, v[31:32], v[43:44], v[31:32]
	v_fma_f64 v[39:40], v[39:40], v[48:49], v[39:40]
	s_delay_alu instid0(VALU_DEP_3) | instskip(NEXT) | instid1(VALU_DEP_2)
	v_mul_f64 v[48:49], v[50:51], v[37:38]
	v_mul_f64 v[52:53], v[46:47], v[39:40]
	s_delay_alu instid0(VALU_DEP_2) | instskip(NEXT) | instid1(VALU_DEP_2)
	v_fma_f64 v[5:6], -v[5:6], v[48:49], v[50:51]
	v_fma_f64 v[7:8], -v[7:8], v[52:53], v[46:47]
	s_delay_alu instid0(VALU_DEP_2) | instskip(SKIP_1) | instid1(VALU_DEP_2)
	v_div_fmas_f64 v[5:6], v[5:6], v[37:38], v[48:49]
	s_mov_b32 vcc_lo, s2
	v_div_fmas_f64 v[7:8], v[7:8], v[39:40], v[52:53]
	s_delay_alu instid0(VALU_DEP_2) | instskip(NEXT) | instid1(VALU_DEP_2)
	v_div_fixup_f64 v[5:6], v[5:6], v[41:42], v[29:30]
	v_div_fixup_f64 v[7:8], v[7:8], v[43:44], v[31:32]
.LBB79_9:                               ;   in Loop: Header=BB79_4 Depth=1
	s_or_b32 exec_lo, exec_lo, s24
                                        ; implicit-def: $vgpr39_vgpr40
                                        ; implicit-def: $vgpr37_vgpr38
                                        ; implicit-def: $vgpr29_vgpr30
.LBB79_10:                              ;   in Loop: Header=BB79_4 Depth=1
	s_and_not1_saveexec_b32 s2, s3
	s_cbranch_execz .LBB79_12
; %bb.11:                               ;   in Loop: Header=BB79_4 Depth=1
	v_div_scale_f64 v[5:6], null, v[39:40], v[39:40], v[37:38]
	v_div_scale_f64 v[43:44], vcc_lo, v[37:38], v[39:40], v[37:38]
	s_delay_alu instid0(VALU_DEP_2) | instskip(SKIP_2) | instid1(VALU_DEP_1)
	v_rcp_f64_e32 v[7:8], v[5:6]
	s_waitcnt_depctr 0xfff
	v_fma_f64 v[41:42], -v[5:6], v[7:8], 1.0
	v_fma_f64 v[7:8], v[7:8], v[41:42], v[7:8]
	s_delay_alu instid0(VALU_DEP_1) | instskip(NEXT) | instid1(VALU_DEP_1)
	v_fma_f64 v[41:42], -v[5:6], v[7:8], 1.0
	v_fma_f64 v[7:8], v[7:8], v[41:42], v[7:8]
	s_delay_alu instid0(VALU_DEP_1) | instskip(NEXT) | instid1(VALU_DEP_1)
	v_mul_f64 v[41:42], v[43:44], v[7:8]
	v_fma_f64 v[5:6], -v[5:6], v[41:42], v[43:44]
	s_delay_alu instid0(VALU_DEP_1) | instskip(NEXT) | instid1(VALU_DEP_1)
	v_div_fmas_f64 v[5:6], v[5:6], v[7:8], v[41:42]
	v_div_fixup_f64 v[5:6], v[5:6], v[39:40], v[37:38]
	s_delay_alu instid0(VALU_DEP_1) | instskip(NEXT) | instid1(VALU_DEP_1)
	v_fma_f64 v[7:8], v[37:38], v[5:6], v[39:40]
	v_div_scale_f64 v[37:38], null, v[7:8], v[7:8], 1.0
	v_div_scale_f64 v[43:44], vcc_lo, 1.0, v[7:8], 1.0
	s_delay_alu instid0(VALU_DEP_2) | instskip(SKIP_2) | instid1(VALU_DEP_1)
	v_rcp_f64_e32 v[39:40], v[37:38]
	s_waitcnt_depctr 0xfff
	v_fma_f64 v[41:42], -v[37:38], v[39:40], 1.0
	v_fma_f64 v[39:40], v[39:40], v[41:42], v[39:40]
	s_delay_alu instid0(VALU_DEP_1) | instskip(NEXT) | instid1(VALU_DEP_1)
	v_fma_f64 v[41:42], -v[37:38], v[39:40], 1.0
	v_fma_f64 v[39:40], v[39:40], v[41:42], v[39:40]
	s_delay_alu instid0(VALU_DEP_1) | instskip(NEXT) | instid1(VALU_DEP_1)
	v_mul_f64 v[41:42], v[43:44], v[39:40]
	v_fma_f64 v[37:38], -v[37:38], v[41:42], v[43:44]
	s_delay_alu instid0(VALU_DEP_1) | instskip(SKIP_3) | instid1(VALU_DEP_3)
	v_div_fmas_f64 v[37:38], v[37:38], v[39:40], v[41:42]
	s_waitcnt vmcnt(2)
	v_fma_f64 v[39:40], v[29:30], v[5:6], v[31:32]
	v_fma_f64 v[29:30], v[31:32], v[5:6], -v[29:30]
	v_div_fixup_f64 v[7:8], v[37:38], v[7:8], 1.0
	s_delay_alu instid0(VALU_DEP_1) | instskip(NEXT) | instid1(VALU_DEP_3)
	v_mul_f64 v[5:6], v[39:40], v[7:8]
	v_mul_f64 v[7:8], v[29:30], v[7:8]
.LBB79_12:                              ;   in Loop: Header=BB79_4 Depth=1
	s_or_b32 exec_lo, exec_lo, s2
	s_waitcnt vmcnt(2)
	v_mul_f64 v[29:30], s[10:11], v[19:20]
	v_mul_f64 v[19:20], s[8:9], v[19:20]
	s_delay_alu instid0(VALU_DEP_2) | instskip(NEXT) | instid1(VALU_DEP_2)
	v_fma_f64 v[29:30], s[8:9], v[17:18], -v[29:30]
	v_fma_f64 v[31:32], s[10:11], v[17:18], v[19:20]
                                        ; implicit-def: $vgpr19_vgpr20
	s_delay_alu instid0(VALU_DEP_2) | instskip(NEXT) | instid1(VALU_DEP_2)
	v_cmp_gt_f64_e32 vcc_lo, 0, v[29:30]
	v_cmp_gt_f64_e64 s2, 0, v[31:32]
	v_xor_b32_e32 v17, 0x80000000, v30
	v_xor_b32_e32 v18, 0x80000000, v32
	s_delay_alu instid0(VALU_DEP_2) | instskip(NEXT) | instid1(VALU_DEP_2)
	v_cndmask_b32_e32 v38, v30, v17, vcc_lo
	v_cndmask_b32_e64 v40, v32, v18, s2
	v_cndmask_b32_e32 v37, v29, v29, vcc_lo
	v_cndmask_b32_e64 v39, v31, v31, s2
	s_mov_b32 s2, exec_lo
	s_delay_alu instid0(VALU_DEP_1)
	v_cmpx_ge_f64_e32 v[37:38], v[39:40]
	s_xor_b32 s3, exec_lo, s2
	s_cbranch_execz .LBB79_18
; %bb.13:                               ;   in Loop: Header=BB79_4 Depth=1
	v_cmp_neq_f64_e32 vcc_lo, 0, v[29:30]
	v_cmp_neq_f64_e64 s2, 0, v[31:32]
                                        ; implicit-def: $vgpr19_vgpr20
	s_delay_alu instid0(VALU_DEP_1) | instskip(NEXT) | instid1(SALU_CYCLE_1)
	s_or_b32 s2, vcc_lo, s2
	s_and_saveexec_b32 s24, s2
	s_delay_alu instid0(SALU_CYCLE_1)
	s_xor_b32 s2, exec_lo, s24
	s_cbranch_execz .LBB79_15
; %bb.14:                               ;   in Loop: Header=BB79_4 Depth=1
	v_div_scale_f64 v[17:18], null, v[29:30], v[29:30], v[31:32]
	v_div_scale_f64 v[39:40], vcc_lo, v[31:32], v[29:30], v[31:32]
	s_delay_alu instid0(VALU_DEP_2) | instskip(SKIP_2) | instid1(VALU_DEP_1)
	v_rcp_f64_e32 v[19:20], v[17:18]
	s_waitcnt_depctr 0xfff
	v_fma_f64 v[37:38], -v[17:18], v[19:20], 1.0
	v_fma_f64 v[19:20], v[19:20], v[37:38], v[19:20]
	s_delay_alu instid0(VALU_DEP_1) | instskip(NEXT) | instid1(VALU_DEP_1)
	v_fma_f64 v[37:38], -v[17:18], v[19:20], 1.0
	v_fma_f64 v[19:20], v[19:20], v[37:38], v[19:20]
	s_delay_alu instid0(VALU_DEP_1) | instskip(NEXT) | instid1(VALU_DEP_1)
	v_mul_f64 v[37:38], v[39:40], v[19:20]
	v_fma_f64 v[17:18], -v[17:18], v[37:38], v[39:40]
	s_delay_alu instid0(VALU_DEP_1) | instskip(NEXT) | instid1(VALU_DEP_1)
	v_div_fmas_f64 v[17:18], v[17:18], v[19:20], v[37:38]
	v_div_fixup_f64 v[17:18], v[17:18], v[29:30], v[31:32]
	s_delay_alu instid0(VALU_DEP_1) | instskip(NEXT) | instid1(VALU_DEP_1)
	v_fma_f64 v[19:20], v[31:32], v[17:18], v[29:30]
	v_div_scale_f64 v[29:30], null, v[19:20], v[19:20], 1.0
	v_div_scale_f64 v[39:40], vcc_lo, 1.0, v[19:20], 1.0
	s_delay_alu instid0(VALU_DEP_2) | instskip(SKIP_2) | instid1(VALU_DEP_1)
	v_rcp_f64_e32 v[31:32], v[29:30]
	s_waitcnt_depctr 0xfff
	v_fma_f64 v[37:38], -v[29:30], v[31:32], 1.0
	v_fma_f64 v[31:32], v[31:32], v[37:38], v[31:32]
	s_delay_alu instid0(VALU_DEP_1) | instskip(NEXT) | instid1(VALU_DEP_1)
	v_fma_f64 v[37:38], -v[29:30], v[31:32], 1.0
	v_fma_f64 v[31:32], v[31:32], v[37:38], v[31:32]
	s_delay_alu instid0(VALU_DEP_1) | instskip(NEXT) | instid1(VALU_DEP_1)
	v_mul_f64 v[37:38], v[39:40], v[31:32]
	v_fma_f64 v[29:30], -v[29:30], v[37:38], v[39:40]
                                        ; implicit-def: $vgpr39_vgpr40
	s_delay_alu instid0(VALU_DEP_1) | instskip(SKIP_2) | instid1(VALU_DEP_3)
	v_div_fmas_f64 v[29:30], v[29:30], v[31:32], v[37:38]
	v_fma_f64 v[31:32], v[27:28], v[17:18], v[25:26]
	v_fma_f64 v[25:26], -v[25:26], v[17:18], v[27:28]
                                        ; implicit-def: $vgpr37_vgpr38
	v_div_fixup_f64 v[19:20], v[29:30], v[19:20], 1.0
	s_delay_alu instid0(VALU_DEP_1) | instskip(NEXT) | instid1(VALU_DEP_3)
	v_mul_f64 v[17:18], v[31:32], v[19:20]
	v_mul_f64 v[19:20], v[25:26], v[19:20]
                                        ; implicit-def: $vgpr25_vgpr26
.LBB79_15:                              ;   in Loop: Header=BB79_4 Depth=1
	s_and_not1_saveexec_b32 s24, s2
	s_cbranch_execz .LBB79_17
; %bb.16:                               ;   in Loop: Header=BB79_4 Depth=1
	v_div_scale_f64 v[17:18], null, v[37:38], v[37:38], v[25:26]
	v_div_scale_f64 v[19:20], null, v[39:40], v[39:40], v[27:28]
	v_div_scale_f64 v[46:47], vcc_lo, v[25:26], v[37:38], v[25:26]
	s_delay_alu instid0(VALU_DEP_3) | instskip(NEXT) | instid1(VALU_DEP_2)
	v_rcp_f64_e32 v[29:30], v[17:18]
	v_rcp_f64_e32 v[31:32], v[19:20]
	s_waitcnt_depctr 0xfff
	v_fma_f64 v[41:42], -v[17:18], v[29:30], 1.0
	v_fma_f64 v[43:44], -v[19:20], v[31:32], 1.0
	s_delay_alu instid0(VALU_DEP_2) | instskip(NEXT) | instid1(VALU_DEP_2)
	v_fma_f64 v[29:30], v[29:30], v[41:42], v[29:30]
	v_fma_f64 v[31:32], v[31:32], v[43:44], v[31:32]
	s_delay_alu instid0(VALU_DEP_2) | instskip(NEXT) | instid1(VALU_DEP_2)
	v_fma_f64 v[41:42], -v[17:18], v[29:30], 1.0
	v_fma_f64 v[43:44], -v[19:20], v[31:32], 1.0
	s_delay_alu instid0(VALU_DEP_2) | instskip(SKIP_1) | instid1(VALU_DEP_3)
	v_fma_f64 v[29:30], v[29:30], v[41:42], v[29:30]
	v_div_scale_f64 v[41:42], s2, v[27:28], v[39:40], v[27:28]
	v_fma_f64 v[31:32], v[31:32], v[43:44], v[31:32]
	s_delay_alu instid0(VALU_DEP_3) | instskip(NEXT) | instid1(VALU_DEP_2)
	v_mul_f64 v[43:44], v[46:47], v[29:30]
	v_mul_f64 v[48:49], v[41:42], v[31:32]
	s_delay_alu instid0(VALU_DEP_2) | instskip(NEXT) | instid1(VALU_DEP_2)
	v_fma_f64 v[17:18], -v[17:18], v[43:44], v[46:47]
	v_fma_f64 v[19:20], -v[19:20], v[48:49], v[41:42]
	s_delay_alu instid0(VALU_DEP_2) | instskip(SKIP_1) | instid1(VALU_DEP_2)
	v_div_fmas_f64 v[17:18], v[17:18], v[29:30], v[43:44]
	s_mov_b32 vcc_lo, s2
	v_div_fmas_f64 v[19:20], v[19:20], v[31:32], v[48:49]
	s_delay_alu instid0(VALU_DEP_2) | instskip(NEXT) | instid1(VALU_DEP_2)
	v_div_fixup_f64 v[17:18], v[17:18], v[37:38], v[25:26]
	v_div_fixup_f64 v[19:20], v[19:20], v[39:40], v[27:28]
.LBB79_17:                              ;   in Loop: Header=BB79_4 Depth=1
	s_or_b32 exec_lo, exec_lo, s24
                                        ; implicit-def: $vgpr31_vgpr32
                                        ; implicit-def: $vgpr29_vgpr30
                                        ; implicit-def: $vgpr25_vgpr26
.LBB79_18:                              ;   in Loop: Header=BB79_4 Depth=1
	s_and_not1_saveexec_b32 s2, s3
	s_cbranch_execz .LBB79_20
; %bb.19:                               ;   in Loop: Header=BB79_4 Depth=1
	v_div_scale_f64 v[17:18], null, v[31:32], v[31:32], v[29:30]
	v_div_scale_f64 v[39:40], vcc_lo, v[29:30], v[31:32], v[29:30]
	s_delay_alu instid0(VALU_DEP_2) | instskip(SKIP_2) | instid1(VALU_DEP_1)
	v_rcp_f64_e32 v[19:20], v[17:18]
	s_waitcnt_depctr 0xfff
	v_fma_f64 v[37:38], -v[17:18], v[19:20], 1.0
	v_fma_f64 v[19:20], v[19:20], v[37:38], v[19:20]
	s_delay_alu instid0(VALU_DEP_1) | instskip(NEXT) | instid1(VALU_DEP_1)
	v_fma_f64 v[37:38], -v[17:18], v[19:20], 1.0
	v_fma_f64 v[19:20], v[19:20], v[37:38], v[19:20]
	s_delay_alu instid0(VALU_DEP_1) | instskip(NEXT) | instid1(VALU_DEP_1)
	v_mul_f64 v[37:38], v[39:40], v[19:20]
	v_fma_f64 v[17:18], -v[17:18], v[37:38], v[39:40]
	s_delay_alu instid0(VALU_DEP_1) | instskip(NEXT) | instid1(VALU_DEP_1)
	v_div_fmas_f64 v[17:18], v[17:18], v[19:20], v[37:38]
	v_div_fixup_f64 v[17:18], v[17:18], v[31:32], v[29:30]
	s_delay_alu instid0(VALU_DEP_1) | instskip(NEXT) | instid1(VALU_DEP_1)
	v_fma_f64 v[19:20], v[29:30], v[17:18], v[31:32]
	v_div_scale_f64 v[29:30], null, v[19:20], v[19:20], 1.0
	v_div_scale_f64 v[39:40], vcc_lo, 1.0, v[19:20], 1.0
	s_delay_alu instid0(VALU_DEP_2) | instskip(SKIP_2) | instid1(VALU_DEP_1)
	v_rcp_f64_e32 v[31:32], v[29:30]
	s_waitcnt_depctr 0xfff
	v_fma_f64 v[37:38], -v[29:30], v[31:32], 1.0
	v_fma_f64 v[31:32], v[31:32], v[37:38], v[31:32]
	s_delay_alu instid0(VALU_DEP_1) | instskip(NEXT) | instid1(VALU_DEP_1)
	v_fma_f64 v[37:38], -v[29:30], v[31:32], 1.0
	v_fma_f64 v[31:32], v[31:32], v[37:38], v[31:32]
	s_delay_alu instid0(VALU_DEP_1) | instskip(NEXT) | instid1(VALU_DEP_1)
	v_mul_f64 v[37:38], v[39:40], v[31:32]
	v_fma_f64 v[29:30], -v[29:30], v[37:38], v[39:40]
	s_delay_alu instid0(VALU_DEP_1) | instskip(SKIP_2) | instid1(VALU_DEP_3)
	v_div_fmas_f64 v[29:30], v[29:30], v[31:32], v[37:38]
	v_fma_f64 v[31:32], v[25:26], v[17:18], v[27:28]
	v_fma_f64 v[25:26], v[27:28], v[17:18], -v[25:26]
	v_div_fixup_f64 v[19:20], v[29:30], v[19:20], 1.0
	s_delay_alu instid0(VALU_DEP_1) | instskip(NEXT) | instid1(VALU_DEP_3)
	v_mul_f64 v[17:18], v[31:32], v[19:20]
	v_mul_f64 v[19:20], v[25:26], v[19:20]
.LBB79_20:                              ;   in Loop: Header=BB79_4 Depth=1
	s_or_b32 exec_lo, exec_lo, s2
	s_waitcnt vmcnt(0)
	v_mul_f64 v[25:26], s[10:11], v[23:24]
	v_mul_f64 v[23:24], s[8:9], v[23:24]
	s_delay_alu instid0(VALU_DEP_2) | instskip(NEXT) | instid1(VALU_DEP_2)
	v_fma_f64 v[25:26], s[8:9], v[21:22], -v[25:26]
	v_fma_f64 v[27:28], s[10:11], v[21:22], v[23:24]
                                        ; implicit-def: $vgpr23_vgpr24
	s_delay_alu instid0(VALU_DEP_2) | instskip(NEXT) | instid1(VALU_DEP_2)
	v_cmp_gt_f64_e32 vcc_lo, 0, v[25:26]
	v_cmp_gt_f64_e64 s2, 0, v[27:28]
	v_xor_b32_e32 v21, 0x80000000, v26
	v_xor_b32_e32 v22, 0x80000000, v28
	s_delay_alu instid0(VALU_DEP_2) | instskip(NEXT) | instid1(VALU_DEP_2)
	v_cndmask_b32_e32 v30, v26, v21, vcc_lo
	v_cndmask_b32_e64 v32, v28, v22, s2
	v_cndmask_b32_e32 v29, v25, v25, vcc_lo
	v_cndmask_b32_e64 v31, v27, v27, s2
	s_mov_b32 s2, exec_lo
	s_delay_alu instid0(VALU_DEP_1)
	v_cmpx_ge_f64_e32 v[29:30], v[31:32]
	s_xor_b32 s3, exec_lo, s2
	s_cbranch_execz .LBB79_26
; %bb.21:                               ;   in Loop: Header=BB79_4 Depth=1
	v_cmp_neq_f64_e32 vcc_lo, 0, v[25:26]
	v_cmp_neq_f64_e64 s2, 0, v[27:28]
                                        ; implicit-def: $vgpr23_vgpr24
	s_delay_alu instid0(VALU_DEP_1) | instskip(NEXT) | instid1(SALU_CYCLE_1)
	s_or_b32 s2, vcc_lo, s2
	s_and_saveexec_b32 s24, s2
	s_delay_alu instid0(SALU_CYCLE_1)
	s_xor_b32 s2, exec_lo, s24
	s_cbranch_execz .LBB79_23
; %bb.22:                               ;   in Loop: Header=BB79_4 Depth=1
	v_div_scale_f64 v[21:22], null, v[25:26], v[25:26], v[27:28]
	v_div_scale_f64 v[31:32], vcc_lo, v[27:28], v[25:26], v[27:28]
	s_delay_alu instid0(VALU_DEP_2) | instskip(SKIP_2) | instid1(VALU_DEP_1)
	v_rcp_f64_e32 v[23:24], v[21:22]
	s_waitcnt_depctr 0xfff
	v_fma_f64 v[29:30], -v[21:22], v[23:24], 1.0
	v_fma_f64 v[23:24], v[23:24], v[29:30], v[23:24]
	s_delay_alu instid0(VALU_DEP_1) | instskip(NEXT) | instid1(VALU_DEP_1)
	v_fma_f64 v[29:30], -v[21:22], v[23:24], 1.0
	v_fma_f64 v[23:24], v[23:24], v[29:30], v[23:24]
	s_delay_alu instid0(VALU_DEP_1) | instskip(NEXT) | instid1(VALU_DEP_1)
	v_mul_f64 v[29:30], v[31:32], v[23:24]
	v_fma_f64 v[21:22], -v[21:22], v[29:30], v[31:32]
	s_delay_alu instid0(VALU_DEP_1) | instskip(NEXT) | instid1(VALU_DEP_1)
	v_div_fmas_f64 v[21:22], v[21:22], v[23:24], v[29:30]
	v_div_fixup_f64 v[21:22], v[21:22], v[25:26], v[27:28]
	s_delay_alu instid0(VALU_DEP_1) | instskip(NEXT) | instid1(VALU_DEP_1)
	v_fma_f64 v[23:24], v[27:28], v[21:22], v[25:26]
	v_div_scale_f64 v[25:26], null, v[23:24], v[23:24], 1.0
	v_div_scale_f64 v[31:32], vcc_lo, 1.0, v[23:24], 1.0
	s_delay_alu instid0(VALU_DEP_2) | instskip(SKIP_2) | instid1(VALU_DEP_1)
	v_rcp_f64_e32 v[27:28], v[25:26]
	s_waitcnt_depctr 0xfff
	v_fma_f64 v[29:30], -v[25:26], v[27:28], 1.0
	v_fma_f64 v[27:28], v[27:28], v[29:30], v[27:28]
	s_delay_alu instid0(VALU_DEP_1) | instskip(NEXT) | instid1(VALU_DEP_1)
	v_fma_f64 v[29:30], -v[25:26], v[27:28], 1.0
	v_fma_f64 v[27:28], v[27:28], v[29:30], v[27:28]
	s_delay_alu instid0(VALU_DEP_1) | instskip(NEXT) | instid1(VALU_DEP_1)
	v_mul_f64 v[29:30], v[31:32], v[27:28]
	v_fma_f64 v[25:26], -v[25:26], v[29:30], v[31:32]
                                        ; implicit-def: $vgpr31_vgpr32
	s_delay_alu instid0(VALU_DEP_1) | instskip(SKIP_2) | instid1(VALU_DEP_3)
	v_div_fmas_f64 v[25:26], v[25:26], v[27:28], v[29:30]
	v_fma_f64 v[27:28], v[15:16], v[21:22], v[13:14]
	v_fma_f64 v[13:14], -v[13:14], v[21:22], v[15:16]
                                        ; implicit-def: $vgpr29_vgpr30
	v_div_fixup_f64 v[23:24], v[25:26], v[23:24], 1.0
	s_delay_alu instid0(VALU_DEP_1) | instskip(NEXT) | instid1(VALU_DEP_3)
	v_mul_f64 v[21:22], v[27:28], v[23:24]
	v_mul_f64 v[23:24], v[13:14], v[23:24]
                                        ; implicit-def: $vgpr13_vgpr14
.LBB79_23:                              ;   in Loop: Header=BB79_4 Depth=1
	s_and_not1_saveexec_b32 s24, s2
	s_cbranch_execz .LBB79_25
; %bb.24:                               ;   in Loop: Header=BB79_4 Depth=1
	v_div_scale_f64 v[21:22], null, v[29:30], v[29:30], v[13:14]
	v_div_scale_f64 v[23:24], null, v[31:32], v[31:32], v[15:16]
	v_div_scale_f64 v[41:42], vcc_lo, v[13:14], v[29:30], v[13:14]
	s_delay_alu instid0(VALU_DEP_3) | instskip(NEXT) | instid1(VALU_DEP_2)
	v_rcp_f64_e32 v[25:26], v[21:22]
	v_rcp_f64_e32 v[27:28], v[23:24]
	s_waitcnt_depctr 0xfff
	v_fma_f64 v[37:38], -v[21:22], v[25:26], 1.0
	v_fma_f64 v[39:40], -v[23:24], v[27:28], 1.0
	s_delay_alu instid0(VALU_DEP_2) | instskip(NEXT) | instid1(VALU_DEP_2)
	v_fma_f64 v[25:26], v[25:26], v[37:38], v[25:26]
	v_fma_f64 v[27:28], v[27:28], v[39:40], v[27:28]
	s_delay_alu instid0(VALU_DEP_2) | instskip(NEXT) | instid1(VALU_DEP_2)
	v_fma_f64 v[37:38], -v[21:22], v[25:26], 1.0
	v_fma_f64 v[39:40], -v[23:24], v[27:28], 1.0
	s_delay_alu instid0(VALU_DEP_2) | instskip(SKIP_1) | instid1(VALU_DEP_3)
	v_fma_f64 v[25:26], v[25:26], v[37:38], v[25:26]
	v_div_scale_f64 v[37:38], s2, v[15:16], v[31:32], v[15:16]
	v_fma_f64 v[27:28], v[27:28], v[39:40], v[27:28]
	s_delay_alu instid0(VALU_DEP_3) | instskip(NEXT) | instid1(VALU_DEP_2)
	v_mul_f64 v[39:40], v[41:42], v[25:26]
	v_mul_f64 v[43:44], v[37:38], v[27:28]
	s_delay_alu instid0(VALU_DEP_2) | instskip(NEXT) | instid1(VALU_DEP_2)
	v_fma_f64 v[21:22], -v[21:22], v[39:40], v[41:42]
	v_fma_f64 v[23:24], -v[23:24], v[43:44], v[37:38]
	s_delay_alu instid0(VALU_DEP_2) | instskip(SKIP_1) | instid1(VALU_DEP_2)
	v_div_fmas_f64 v[21:22], v[21:22], v[25:26], v[39:40]
	s_mov_b32 vcc_lo, s2
	v_div_fmas_f64 v[23:24], v[23:24], v[27:28], v[43:44]
	s_delay_alu instid0(VALU_DEP_2) | instskip(NEXT) | instid1(VALU_DEP_2)
	v_div_fixup_f64 v[21:22], v[21:22], v[29:30], v[13:14]
	v_div_fixup_f64 v[23:24], v[23:24], v[31:32], v[15:16]
.LBB79_25:                              ;   in Loop: Header=BB79_4 Depth=1
	s_or_b32 exec_lo, exec_lo, s24
                                        ; implicit-def: $vgpr27_vgpr28
                                        ; implicit-def: $vgpr25_vgpr26
                                        ; implicit-def: $vgpr13_vgpr14
.LBB79_26:                              ;   in Loop: Header=BB79_4 Depth=1
	s_and_not1_saveexec_b32 s2, s3
	s_cbranch_execz .LBB79_28
; %bb.27:                               ;   in Loop: Header=BB79_4 Depth=1
	v_div_scale_f64 v[21:22], null, v[27:28], v[27:28], v[25:26]
	v_div_scale_f64 v[31:32], vcc_lo, v[25:26], v[27:28], v[25:26]
	s_delay_alu instid0(VALU_DEP_2) | instskip(SKIP_2) | instid1(VALU_DEP_1)
	v_rcp_f64_e32 v[23:24], v[21:22]
	s_waitcnt_depctr 0xfff
	v_fma_f64 v[29:30], -v[21:22], v[23:24], 1.0
	v_fma_f64 v[23:24], v[23:24], v[29:30], v[23:24]
	s_delay_alu instid0(VALU_DEP_1) | instskip(NEXT) | instid1(VALU_DEP_1)
	v_fma_f64 v[29:30], -v[21:22], v[23:24], 1.0
	v_fma_f64 v[23:24], v[23:24], v[29:30], v[23:24]
	s_delay_alu instid0(VALU_DEP_1) | instskip(NEXT) | instid1(VALU_DEP_1)
	v_mul_f64 v[29:30], v[31:32], v[23:24]
	v_fma_f64 v[21:22], -v[21:22], v[29:30], v[31:32]
	s_delay_alu instid0(VALU_DEP_1) | instskip(NEXT) | instid1(VALU_DEP_1)
	v_div_fmas_f64 v[21:22], v[21:22], v[23:24], v[29:30]
	v_div_fixup_f64 v[21:22], v[21:22], v[27:28], v[25:26]
	s_delay_alu instid0(VALU_DEP_1) | instskip(NEXT) | instid1(VALU_DEP_1)
	v_fma_f64 v[23:24], v[25:26], v[21:22], v[27:28]
	v_div_scale_f64 v[25:26], null, v[23:24], v[23:24], 1.0
	v_div_scale_f64 v[31:32], vcc_lo, 1.0, v[23:24], 1.0
	s_delay_alu instid0(VALU_DEP_2) | instskip(SKIP_2) | instid1(VALU_DEP_1)
	v_rcp_f64_e32 v[27:28], v[25:26]
	s_waitcnt_depctr 0xfff
	v_fma_f64 v[29:30], -v[25:26], v[27:28], 1.0
	v_fma_f64 v[27:28], v[27:28], v[29:30], v[27:28]
	s_delay_alu instid0(VALU_DEP_1) | instskip(NEXT) | instid1(VALU_DEP_1)
	v_fma_f64 v[29:30], -v[25:26], v[27:28], 1.0
	v_fma_f64 v[27:28], v[27:28], v[29:30], v[27:28]
	s_delay_alu instid0(VALU_DEP_1) | instskip(NEXT) | instid1(VALU_DEP_1)
	v_mul_f64 v[29:30], v[31:32], v[27:28]
	v_fma_f64 v[25:26], -v[25:26], v[29:30], v[31:32]
	s_delay_alu instid0(VALU_DEP_1) | instskip(SKIP_2) | instid1(VALU_DEP_3)
	v_div_fmas_f64 v[25:26], v[25:26], v[27:28], v[29:30]
	v_fma_f64 v[27:28], v[13:14], v[21:22], v[15:16]
	v_fma_f64 v[13:14], v[15:16], v[21:22], -v[13:14]
	v_div_fixup_f64 v[23:24], v[25:26], v[23:24], 1.0
	s_delay_alu instid0(VALU_DEP_1) | instskip(NEXT) | instid1(VALU_DEP_3)
	v_mul_f64 v[21:22], v[27:28], v[23:24]
	v_mul_f64 v[23:24], v[13:14], v[23:24]
.LBB79_28:                              ;   in Loop: Header=BB79_4 Depth=1
	s_or_b32 exec_lo, exec_lo, s2
	v_mul_f64 v[13:14], s[10:11], v[11:12]
	v_mul_f64 v[11:12], s[8:9], v[11:12]
	s_delay_alu instid0(VALU_DEP_2) | instskip(NEXT) | instid1(VALU_DEP_2)
	v_fma_f64 v[13:14], s[8:9], v[9:10], -v[13:14]
	v_fma_f64 v[15:16], s[10:11], v[9:10], v[11:12]
                                        ; implicit-def: $vgpr11_vgpr12
	s_delay_alu instid0(VALU_DEP_2) | instskip(NEXT) | instid1(VALU_DEP_2)
	v_cmp_gt_f64_e32 vcc_lo, 0, v[13:14]
	v_cmp_gt_f64_e64 s2, 0, v[15:16]
	v_xor_b32_e32 v9, 0x80000000, v14
	v_xor_b32_e32 v10, 0x80000000, v16
	s_delay_alu instid0(VALU_DEP_2) | instskip(NEXT) | instid1(VALU_DEP_2)
	v_cndmask_b32_e32 v26, v14, v9, vcc_lo
	v_cndmask_b32_e64 v28, v16, v10, s2
	v_cndmask_b32_e32 v25, v13, v13, vcc_lo
	v_cndmask_b32_e64 v27, v15, v15, s2
	s_mov_b32 s2, exec_lo
	s_delay_alu instid0(VALU_DEP_1)
	v_cmpx_ge_f64_e32 v[25:26], v[27:28]
	s_xor_b32 s3, exec_lo, s2
	s_cbranch_execz .LBB79_34
; %bb.29:                               ;   in Loop: Header=BB79_4 Depth=1
	v_cmp_neq_f64_e32 vcc_lo, 0, v[13:14]
	v_cmp_neq_f64_e64 s2, 0, v[15:16]
                                        ; implicit-def: $vgpr11_vgpr12
	s_delay_alu instid0(VALU_DEP_1) | instskip(NEXT) | instid1(SALU_CYCLE_1)
	s_or_b32 s2, vcc_lo, s2
	s_and_saveexec_b32 s24, s2
	s_delay_alu instid0(SALU_CYCLE_1)
	s_xor_b32 s2, exec_lo, s24
	s_cbranch_execz .LBB79_31
; %bb.30:                               ;   in Loop: Header=BB79_4 Depth=1
	v_div_scale_f64 v[9:10], null, v[13:14], v[13:14], v[15:16]
	v_div_scale_f64 v[27:28], vcc_lo, v[15:16], v[13:14], v[15:16]
	s_delay_alu instid0(VALU_DEP_2) | instskip(SKIP_2) | instid1(VALU_DEP_1)
	v_rcp_f64_e32 v[11:12], v[9:10]
	s_waitcnt_depctr 0xfff
	v_fma_f64 v[25:26], -v[9:10], v[11:12], 1.0
	v_fma_f64 v[11:12], v[11:12], v[25:26], v[11:12]
	s_delay_alu instid0(VALU_DEP_1) | instskip(NEXT) | instid1(VALU_DEP_1)
	v_fma_f64 v[25:26], -v[9:10], v[11:12], 1.0
	v_fma_f64 v[11:12], v[11:12], v[25:26], v[11:12]
	s_delay_alu instid0(VALU_DEP_1) | instskip(NEXT) | instid1(VALU_DEP_1)
	v_mul_f64 v[25:26], v[27:28], v[11:12]
	v_fma_f64 v[9:10], -v[9:10], v[25:26], v[27:28]
	s_delay_alu instid0(VALU_DEP_1) | instskip(NEXT) | instid1(VALU_DEP_1)
	v_div_fmas_f64 v[9:10], v[9:10], v[11:12], v[25:26]
	v_div_fixup_f64 v[9:10], v[9:10], v[13:14], v[15:16]
	s_delay_alu instid0(VALU_DEP_1) | instskip(NEXT) | instid1(VALU_DEP_1)
	v_fma_f64 v[11:12], v[15:16], v[9:10], v[13:14]
	v_div_scale_f64 v[13:14], null, v[11:12], v[11:12], 1.0
	v_div_scale_f64 v[27:28], vcc_lo, 1.0, v[11:12], 1.0
	s_delay_alu instid0(VALU_DEP_2) | instskip(SKIP_2) | instid1(VALU_DEP_1)
	v_rcp_f64_e32 v[15:16], v[13:14]
	s_waitcnt_depctr 0xfff
	v_fma_f64 v[25:26], -v[13:14], v[15:16], 1.0
	v_fma_f64 v[15:16], v[15:16], v[25:26], v[15:16]
	s_delay_alu instid0(VALU_DEP_1) | instskip(NEXT) | instid1(VALU_DEP_1)
	v_fma_f64 v[25:26], -v[13:14], v[15:16], 1.0
	v_fma_f64 v[15:16], v[15:16], v[25:26], v[15:16]
	s_delay_alu instid0(VALU_DEP_1) | instskip(NEXT) | instid1(VALU_DEP_1)
	v_mul_f64 v[25:26], v[27:28], v[15:16]
	v_fma_f64 v[13:14], -v[13:14], v[25:26], v[27:28]
                                        ; implicit-def: $vgpr27_vgpr28
	s_delay_alu instid0(VALU_DEP_1) | instskip(SKIP_2) | instid1(VALU_DEP_3)
	v_div_fmas_f64 v[13:14], v[13:14], v[15:16], v[25:26]
	v_fma_f64 v[15:16], v[3:4], v[9:10], v[1:2]
	v_fma_f64 v[1:2], -v[1:2], v[9:10], v[3:4]
                                        ; implicit-def: $vgpr25_vgpr26
	v_div_fixup_f64 v[11:12], v[13:14], v[11:12], 1.0
	s_delay_alu instid0(VALU_DEP_1) | instskip(NEXT) | instid1(VALU_DEP_3)
	v_mul_f64 v[9:10], v[15:16], v[11:12]
	v_mul_f64 v[11:12], v[1:2], v[11:12]
                                        ; implicit-def: $vgpr1_vgpr2
.LBB79_31:                              ;   in Loop: Header=BB79_4 Depth=1
	s_and_not1_saveexec_b32 s24, s2
	s_cbranch_execz .LBB79_33
; %bb.32:                               ;   in Loop: Header=BB79_4 Depth=1
	v_div_scale_f64 v[9:10], null, v[25:26], v[25:26], v[1:2]
	v_div_scale_f64 v[11:12], null, v[27:28], v[27:28], v[3:4]
	v_div_scale_f64 v[37:38], vcc_lo, v[1:2], v[25:26], v[1:2]
	s_delay_alu instid0(VALU_DEP_3) | instskip(NEXT) | instid1(VALU_DEP_2)
	v_rcp_f64_e32 v[13:14], v[9:10]
	v_rcp_f64_e32 v[15:16], v[11:12]
	s_waitcnt_depctr 0xfff
	v_fma_f64 v[29:30], -v[9:10], v[13:14], 1.0
	v_fma_f64 v[31:32], -v[11:12], v[15:16], 1.0
	s_delay_alu instid0(VALU_DEP_2) | instskip(NEXT) | instid1(VALU_DEP_2)
	v_fma_f64 v[13:14], v[13:14], v[29:30], v[13:14]
	v_fma_f64 v[15:16], v[15:16], v[31:32], v[15:16]
	s_delay_alu instid0(VALU_DEP_2) | instskip(NEXT) | instid1(VALU_DEP_2)
	v_fma_f64 v[29:30], -v[9:10], v[13:14], 1.0
	v_fma_f64 v[31:32], -v[11:12], v[15:16], 1.0
	s_delay_alu instid0(VALU_DEP_2) | instskip(SKIP_1) | instid1(VALU_DEP_3)
	v_fma_f64 v[13:14], v[13:14], v[29:30], v[13:14]
	v_div_scale_f64 v[29:30], s2, v[3:4], v[27:28], v[3:4]
	v_fma_f64 v[15:16], v[15:16], v[31:32], v[15:16]
	s_delay_alu instid0(VALU_DEP_3) | instskip(NEXT) | instid1(VALU_DEP_2)
	v_mul_f64 v[31:32], v[37:38], v[13:14]
	v_mul_f64 v[39:40], v[29:30], v[15:16]
	s_delay_alu instid0(VALU_DEP_2) | instskip(NEXT) | instid1(VALU_DEP_2)
	v_fma_f64 v[9:10], -v[9:10], v[31:32], v[37:38]
	v_fma_f64 v[11:12], -v[11:12], v[39:40], v[29:30]
	s_delay_alu instid0(VALU_DEP_2) | instskip(SKIP_1) | instid1(VALU_DEP_2)
	v_div_fmas_f64 v[9:10], v[9:10], v[13:14], v[31:32]
	s_mov_b32 vcc_lo, s2
	v_div_fmas_f64 v[11:12], v[11:12], v[15:16], v[39:40]
	s_delay_alu instid0(VALU_DEP_2) | instskip(NEXT) | instid1(VALU_DEP_2)
	v_div_fixup_f64 v[9:10], v[9:10], v[25:26], v[1:2]
	v_div_fixup_f64 v[11:12], v[11:12], v[27:28], v[3:4]
.LBB79_33:                              ;   in Loop: Header=BB79_4 Depth=1
	s_or_b32 exec_lo, exec_lo, s24
                                        ; implicit-def: $vgpr15_vgpr16
                                        ; implicit-def: $vgpr13_vgpr14
                                        ; implicit-def: $vgpr1_vgpr2
.LBB79_34:                              ;   in Loop: Header=BB79_4 Depth=1
	s_and_not1_saveexec_b32 s2, s3
	s_cbranch_execz .LBB79_3
; %bb.35:                               ;   in Loop: Header=BB79_4 Depth=1
	v_div_scale_f64 v[9:10], null, v[15:16], v[15:16], v[13:14]
	v_div_scale_f64 v[27:28], vcc_lo, v[13:14], v[15:16], v[13:14]
	s_delay_alu instid0(VALU_DEP_2) | instskip(SKIP_2) | instid1(VALU_DEP_1)
	v_rcp_f64_e32 v[11:12], v[9:10]
	s_waitcnt_depctr 0xfff
	v_fma_f64 v[25:26], -v[9:10], v[11:12], 1.0
	v_fma_f64 v[11:12], v[11:12], v[25:26], v[11:12]
	s_delay_alu instid0(VALU_DEP_1) | instskip(NEXT) | instid1(VALU_DEP_1)
	v_fma_f64 v[25:26], -v[9:10], v[11:12], 1.0
	v_fma_f64 v[11:12], v[11:12], v[25:26], v[11:12]
	s_delay_alu instid0(VALU_DEP_1) | instskip(NEXT) | instid1(VALU_DEP_1)
	v_mul_f64 v[25:26], v[27:28], v[11:12]
	v_fma_f64 v[9:10], -v[9:10], v[25:26], v[27:28]
	s_delay_alu instid0(VALU_DEP_1) | instskip(NEXT) | instid1(VALU_DEP_1)
	v_div_fmas_f64 v[9:10], v[9:10], v[11:12], v[25:26]
	v_div_fixup_f64 v[9:10], v[9:10], v[15:16], v[13:14]
	s_delay_alu instid0(VALU_DEP_1) | instskip(NEXT) | instid1(VALU_DEP_1)
	v_fma_f64 v[11:12], v[13:14], v[9:10], v[15:16]
	v_div_scale_f64 v[13:14], null, v[11:12], v[11:12], 1.0
	v_div_scale_f64 v[27:28], vcc_lo, 1.0, v[11:12], 1.0
	s_delay_alu instid0(VALU_DEP_2) | instskip(SKIP_2) | instid1(VALU_DEP_1)
	v_rcp_f64_e32 v[15:16], v[13:14]
	s_waitcnt_depctr 0xfff
	v_fma_f64 v[25:26], -v[13:14], v[15:16], 1.0
	v_fma_f64 v[15:16], v[15:16], v[25:26], v[15:16]
	s_delay_alu instid0(VALU_DEP_1) | instskip(NEXT) | instid1(VALU_DEP_1)
	v_fma_f64 v[25:26], -v[13:14], v[15:16], 1.0
	v_fma_f64 v[15:16], v[15:16], v[25:26], v[15:16]
	s_delay_alu instid0(VALU_DEP_1) | instskip(NEXT) | instid1(VALU_DEP_1)
	v_mul_f64 v[25:26], v[27:28], v[15:16]
	v_fma_f64 v[13:14], -v[13:14], v[25:26], v[27:28]
	s_delay_alu instid0(VALU_DEP_1) | instskip(SKIP_2) | instid1(VALU_DEP_3)
	v_div_fmas_f64 v[13:14], v[13:14], v[15:16], v[25:26]
	v_fma_f64 v[15:16], v[1:2], v[9:10], v[3:4]
	v_fma_f64 v[1:2], v[3:4], v[9:10], -v[1:2]
	v_div_fixup_f64 v[11:12], v[13:14], v[11:12], 1.0
	s_delay_alu instid0(VALU_DEP_1) | instskip(NEXT) | instid1(VALU_DEP_3)
	v_mul_f64 v[9:10], v[15:16], v[11:12]
	v_mul_f64 v[11:12], v[1:2], v[11:12]
	s_branch .LBB79_3
.LBB79_36:
	s_or_b32 exec_lo, exec_lo, s20
	s_mov_b32 s2, 0
.LBB79_37:
	s_delay_alu instid0(SALU_CYCLE_1)
	s_and_not1_b32 vcc_lo, exec_lo, s2
	s_cbranch_vccnz .LBB79_89
; %bb.38:
	v_cmp_lt_i64_e64 s2, s[12:13], 1
	s_delay_alu instid0(VALU_DEP_1)
	s_and_b32 vcc_lo, exec_lo, s2
	s_cbranch_vccnz .LBB79_89
; %bb.39:
	s_load_b32 s0, s[0:1], 0xc6c
	v_mov_b32_e32 v1, 0
	v_lshl_or_b32 v2, v0, 4, 8
	v_cmp_gt_u64_e64 s1, 0x10000, s[12:13]
	s_mov_b32 s15, 0
	s_delay_alu instid0(VALU_DEP_3) | instskip(NEXT) | instid1(VALU_DEP_3)
	v_mov_b32_e32 v3, v1
	v_add_co_u32 v42, s2, s18, v2
	s_delay_alu instid0(VALU_DEP_1) | instskip(SKIP_1) | instid1(VALU_DEP_1)
	v_add_co_ci_u32_e64 v43, null, s19, 0, s2
	v_add_co_u32 v44, s2, s4, v2
	v_add_co_ci_u32_e64 v45, null, s5, 0, s2
	s_waitcnt lgkmcnt(0)
	s_and_b32 s20, s0, 0xffff
	s_and_b32 s0, s1, exec_lo
	v_add_lshl_u32 v6, v0, s20, 4
	v_mad_u64_u32 v[4:5], null, s20, 48, v[2:3]
	s_cselect_b32 s17, s13, 0
	s_cselect_b32 s16, s12, 0x10000
	s_delay_alu instid0(VALU_DEP_2) | instskip(NEXT) | instid1(VALU_DEP_1)
	v_add_co_u32 v46, s0, s4, v6
	v_add_co_ci_u32_e64 v47, null, s5, 0, s0
	v_add_co_u32 v50, s0, s18, v6
	s_delay_alu instid0(VALU_DEP_1)
	v_add_co_ci_u32_e64 v51, null, s19, 0, s0
	s_lshl_b32 s0, s20, 5
	v_add_co_u32 v48, vcc_lo, s18, v4
	v_add_co_u32 v2, s0, v2, s0
	v_add_co_ci_u32_e32 v49, vcc_lo, s19, v5, vcc_lo
	v_add_co_ci_u32_e64 v3, null, 0, 0, s0
	v_add_co_u32 v52, vcc_lo, s4, v4
	v_add_co_ci_u32_e32 v53, vcc_lo, s5, v5, vcc_lo
	v_add_co_u32 v54, vcc_lo, s18, v2
	s_delay_alu instid0(VALU_DEP_4)
	v_add_co_ci_u32_e32 v55, vcc_lo, s19, v3, vcc_lo
	v_add_co_u32 v56, vcc_lo, s4, v2
	v_add_co_ci_u32_e32 v57, vcc_lo, s5, v3, vcc_lo
	s_lshl_b32 s14, s20, 2
	s_lshl_b32 s21, s20, 1
	s_mul_i32 s22, s20, 3
	s_lshl_b32 s5, s20, 6
	s_mov_b64 s[18:19], s[14:15]
	s_branch .LBB79_41
.LBB79_40:                              ;   in Loop: Header=BB79_41 Depth=1
	s_or_b32 exec_lo, exec_lo, s0
	v_add_co_u32 v0, vcc_lo, v0, s14
	v_add_co_ci_u32_e32 v1, vcc_lo, 0, v1, vcc_lo
	v_add_co_u32 v42, vcc_lo, v42, s5
	v_add_co_ci_u32_e32 v43, vcc_lo, 0, v43, vcc_lo
	;; [unrolled: 2-line block ×7, first 2 shown]
	v_cmp_ge_i64_e64 s0, s[18:19], s[12:13]
	v_cmp_lt_u64_e64 s1, 0xffff, s[18:19]
	v_add_co_u32 v54, vcc_lo, v54, s5
	v_add_co_ci_u32_e32 v55, vcc_lo, 0, v55, vcc_lo
	v_add_co_u32 v56, vcc_lo, v56, s5
	v_add_co_ci_u32_e32 v57, vcc_lo, 0, v57, vcc_lo
	s_or_b32 s0, s0, s1
	s_add_u32 s18, s18, s14
	s_addc_u32 s19, s19, 0
	s_and_b32 vcc_lo, exec_lo, s0
	s_cbranch_vccnz .LBB79_89
.LBB79_41:                              ; =>This Inner Loop Header: Depth=1
	v_mov_b32_e32 v24, 0
	v_mov_b32_e32 v25, 0
	v_cmp_gt_u64_e64 s0, s[16:17], v[0:1]
	s_delay_alu instid0(VALU_DEP_3) | instskip(NEXT) | instid1(VALU_DEP_3)
	v_mov_b32_e32 v8, v24
	v_dual_mov_b32 v6, v24 :: v_dual_mov_b32 v7, v25
	v_mov_b32_e32 v9, v25
	v_dual_mov_b32 v33, v25 :: v_dual_mov_b32 v32, v24
	v_dual_mov_b32 v31, v25 :: v_dual_mov_b32 v30, v24
	s_and_saveexec_b32 s1, s0
	s_cbranch_execz .LBB79_43
; %bb.42:                               ;   in Loop: Header=BB79_41 Depth=1
	v_add_co_u32 v2, vcc_lo, v44, s6
	v_add_co_ci_u32_e32 v3, vcc_lo, s7, v45, vcc_lo
	v_add_co_u32 v4, vcc_lo, v42, s6
	v_add_co_ci_u32_e32 v5, vcc_lo, s7, v43, vcc_lo
	global_load_b128 v[30:33], v[2:3], off offset:-8
	global_load_b128 v[6:9], v[4:5], off offset:-8
.LBB79_43:                              ;   in Loop: Header=BB79_41 Depth=1
	s_or_b32 exec_lo, exec_lo, s1
	v_add_co_u32 v2, vcc_lo, s20, v0
	v_add_co_ci_u32_e32 v3, vcc_lo, 0, v1, vcc_lo
	v_dual_mov_b32 v22, v24 :: v_dual_mov_b32 v23, v25
	v_dual_mov_b32 v20, v24 :: v_dual_mov_b32 v21, v25
	s_delay_alu instid0(VALU_DEP_3) | instskip(SKIP_1) | instid1(VALU_DEP_2)
	v_cmp_gt_u64_e64 s1, s[16:17], v[2:3]
	v_dual_mov_b32 v18, v24 :: v_dual_mov_b32 v19, v25
	s_and_saveexec_b32 s2, s1
	s_cbranch_execz .LBB79_45
; %bb.44:                               ;   in Loop: Header=BB79_41 Depth=1
	v_add_co_u32 v2, vcc_lo, v46, s6
	v_add_co_ci_u32_e32 v3, vcc_lo, s7, v47, vcc_lo
	v_add_co_u32 v4, vcc_lo, v50, s6
	v_add_co_ci_u32_e32 v5, vcc_lo, s7, v51, vcc_lo
	global_load_b128 v[18:21], v[2:3], off
	global_load_b128 v[22:25], v[4:5], off
.LBB79_45:                              ;   in Loop: Header=BB79_41 Depth=1
	s_or_b32 exec_lo, exec_lo, s2
	v_add_co_u32 v2, vcc_lo, s21, v0
	v_add_co_ci_u32_e32 v3, vcc_lo, 0, v1, vcc_lo
	v_mov_b32_e32 v12, 0
	v_mov_b32_e32 v13, 0
	s_delay_alu instid0(VALU_DEP_3) | instskip(NEXT) | instid1(VALU_DEP_2)
	v_cmp_gt_u64_e64 s2, s[16:17], v[2:3]
	v_dual_mov_b32 v29, v13 :: v_dual_mov_b32 v28, v12
	v_dual_mov_b32 v27, v13 :: v_dual_mov_b32 v26, v12
	;; [unrolled: 1-line block ×4, first 2 shown]
	s_and_saveexec_b32 s3, s2
	s_cbranch_execz .LBB79_47
; %bb.46:                               ;   in Loop: Header=BB79_41 Depth=1
	v_add_co_u32 v2, vcc_lo, v56, s6
	v_add_co_ci_u32_e32 v3, vcc_lo, s7, v57, vcc_lo
	v_add_co_u32 v4, vcc_lo, v54, s6
	v_add_co_ci_u32_e32 v5, vcc_lo, s7, v55, vcc_lo
	global_load_b128 v[14:17], v[2:3], off offset:-8
	global_load_b128 v[26:29], v[4:5], off offset:-8
.LBB79_47:                              ;   in Loop: Header=BB79_41 Depth=1
	s_or_b32 exec_lo, exec_lo, s3
	v_add_co_u32 v2, vcc_lo, s22, v0
	v_add_co_ci_u32_e32 v3, vcc_lo, 0, v1, vcc_lo
	v_dual_mov_b32 v10, v12 :: v_dual_mov_b32 v11, v13
	v_dual_mov_b32 v4, v12 :: v_dual_mov_b32 v5, v13
	s_delay_alu instid0(VALU_DEP_3) | instskip(SKIP_1) | instid1(VALU_DEP_2)
	v_cmp_gt_u64_e64 s3, s[16:17], v[2:3]
	v_dual_mov_b32 v2, v12 :: v_dual_mov_b32 v3, v13
	s_and_saveexec_b32 s4, s3
	s_cbranch_execz .LBB79_49
; %bb.48:                               ;   in Loop: Header=BB79_41 Depth=1
	v_add_co_u32 v2, vcc_lo, v52, s6
	v_add_co_ci_u32_e32 v3, vcc_lo, s7, v53, vcc_lo
	v_add_co_u32 v10, vcc_lo, v48, s6
	v_add_co_ci_u32_e32 v11, vcc_lo, s7, v49, vcc_lo
	global_load_b128 v[2:5], v[2:3], off offset:-8
	global_load_b128 v[10:13], v[10:11], off offset:-8
.LBB79_49:                              ;   in Loop: Header=BB79_41 Depth=1
	s_or_b32 exec_lo, exec_lo, s4
	s_waitcnt vmcnt(0)
	v_mul_f64 v[34:35], s[10:11], v[8:9]
	v_mul_f64 v[36:37], s[10:11], v[6:7]
	s_delay_alu instid0(VALU_DEP_2) | instskip(NEXT) | instid1(VALU_DEP_2)
	v_fma_f64 v[34:35], s[8:9], v[6:7], -v[34:35]
	v_fma_f64 v[36:37], s[8:9], v[8:9], v[36:37]
                                        ; implicit-def: $vgpr8_vgpr9
	s_delay_alu instid0(VALU_DEP_2) | instskip(NEXT) | instid1(VALU_DEP_2)
	v_cmp_gt_f64_e32 vcc_lo, 0, v[34:35]
	v_cmp_gt_f64_e64 s4, 0, v[36:37]
	v_xor_b32_e32 v6, 0x80000000, v35
	v_xor_b32_e32 v7, 0x80000000, v37
	s_delay_alu instid0(VALU_DEP_2) | instskip(NEXT) | instid1(VALU_DEP_2)
	v_cndmask_b32_e32 v39, v35, v6, vcc_lo
	v_cndmask_b32_e64 v41, v37, v7, s4
	v_cndmask_b32_e32 v38, v34, v34, vcc_lo
	v_cndmask_b32_e64 v40, v36, v36, s4
	s_mov_b32 s4, exec_lo
	s_delay_alu instid0(VALU_DEP_1)
	v_cmpx_ge_f64_e32 v[38:39], v[40:41]
	s_xor_b32 s15, exec_lo, s4
	s_cbranch_execz .LBB79_55
; %bb.50:                               ;   in Loop: Header=BB79_41 Depth=1
	v_cmp_neq_f64_e32 vcc_lo, 0, v[34:35]
	v_cmp_neq_f64_e64 s4, 0, v[36:37]
                                        ; implicit-def: $vgpr8_vgpr9
	s_delay_alu instid0(VALU_DEP_1) | instskip(NEXT) | instid1(SALU_CYCLE_1)
	s_or_b32 s4, vcc_lo, s4
	s_and_saveexec_b32 s23, s4
	s_delay_alu instid0(SALU_CYCLE_1)
	s_xor_b32 s4, exec_lo, s23
	s_cbranch_execz .LBB79_52
; %bb.51:                               ;   in Loop: Header=BB79_41 Depth=1
	v_div_scale_f64 v[6:7], null, v[34:35], v[34:35], v[36:37]
	v_div_scale_f64 v[40:41], vcc_lo, v[36:37], v[34:35], v[36:37]
	s_delay_alu instid0(VALU_DEP_2) | instskip(SKIP_2) | instid1(VALU_DEP_1)
	v_rcp_f64_e32 v[8:9], v[6:7]
	s_waitcnt_depctr 0xfff
	v_fma_f64 v[38:39], -v[6:7], v[8:9], 1.0
	v_fma_f64 v[8:9], v[8:9], v[38:39], v[8:9]
	s_delay_alu instid0(VALU_DEP_1) | instskip(NEXT) | instid1(VALU_DEP_1)
	v_fma_f64 v[38:39], -v[6:7], v[8:9], 1.0
	v_fma_f64 v[8:9], v[8:9], v[38:39], v[8:9]
	s_delay_alu instid0(VALU_DEP_1) | instskip(NEXT) | instid1(VALU_DEP_1)
	v_mul_f64 v[38:39], v[40:41], v[8:9]
	v_fma_f64 v[6:7], -v[6:7], v[38:39], v[40:41]
	s_delay_alu instid0(VALU_DEP_1) | instskip(NEXT) | instid1(VALU_DEP_1)
	v_div_fmas_f64 v[6:7], v[6:7], v[8:9], v[38:39]
	v_div_fixup_f64 v[6:7], v[6:7], v[34:35], v[36:37]
	s_delay_alu instid0(VALU_DEP_1) | instskip(NEXT) | instid1(VALU_DEP_1)
	v_fma_f64 v[8:9], v[36:37], v[6:7], v[34:35]
	v_div_scale_f64 v[34:35], null, v[8:9], v[8:9], 1.0
	v_div_scale_f64 v[40:41], vcc_lo, 1.0, v[8:9], 1.0
	s_delay_alu instid0(VALU_DEP_2) | instskip(SKIP_2) | instid1(VALU_DEP_1)
	v_rcp_f64_e32 v[36:37], v[34:35]
	s_waitcnt_depctr 0xfff
	v_fma_f64 v[38:39], -v[34:35], v[36:37], 1.0
	v_fma_f64 v[36:37], v[36:37], v[38:39], v[36:37]
	s_delay_alu instid0(VALU_DEP_1) | instskip(NEXT) | instid1(VALU_DEP_1)
	v_fma_f64 v[38:39], -v[34:35], v[36:37], 1.0
	v_fma_f64 v[36:37], v[36:37], v[38:39], v[36:37]
	s_delay_alu instid0(VALU_DEP_1) | instskip(NEXT) | instid1(VALU_DEP_1)
	v_mul_f64 v[38:39], v[40:41], v[36:37]
	v_fma_f64 v[34:35], -v[34:35], v[38:39], v[40:41]
                                        ; implicit-def: $vgpr40_vgpr41
	s_delay_alu instid0(VALU_DEP_1) | instskip(SKIP_2) | instid1(VALU_DEP_3)
	v_div_fmas_f64 v[34:35], v[34:35], v[36:37], v[38:39]
	v_fma_f64 v[36:37], v[32:33], v[6:7], v[30:31]
	v_fma_f64 v[30:31], -v[30:31], v[6:7], v[32:33]
                                        ; implicit-def: $vgpr38_vgpr39
	v_div_fixup_f64 v[8:9], v[34:35], v[8:9], 1.0
	s_delay_alu instid0(VALU_DEP_1) | instskip(NEXT) | instid1(VALU_DEP_3)
	v_mul_f64 v[6:7], v[36:37], v[8:9]
	v_mul_f64 v[8:9], v[30:31], v[8:9]
                                        ; implicit-def: $vgpr30_vgpr31
.LBB79_52:                              ;   in Loop: Header=BB79_41 Depth=1
	s_and_not1_saveexec_b32 s23, s4
	s_cbranch_execz .LBB79_54
; %bb.53:                               ;   in Loop: Header=BB79_41 Depth=1
	v_div_scale_f64 v[6:7], null, v[38:39], v[38:39], v[30:31]
	v_div_scale_f64 v[8:9], null, v[40:41], v[40:41], v[32:33]
	v_div_scale_f64 v[62:63], vcc_lo, v[30:31], v[38:39], v[30:31]
	s_delay_alu instid0(VALU_DEP_3) | instskip(NEXT) | instid1(VALU_DEP_2)
	v_rcp_f64_e32 v[34:35], v[6:7]
	v_rcp_f64_e32 v[36:37], v[8:9]
	s_waitcnt_depctr 0xfff
	v_fma_f64 v[58:59], -v[6:7], v[34:35], 1.0
	v_fma_f64 v[60:61], -v[8:9], v[36:37], 1.0
	s_delay_alu instid0(VALU_DEP_2) | instskip(NEXT) | instid1(VALU_DEP_2)
	v_fma_f64 v[34:35], v[34:35], v[58:59], v[34:35]
	v_fma_f64 v[36:37], v[36:37], v[60:61], v[36:37]
	s_delay_alu instid0(VALU_DEP_2) | instskip(NEXT) | instid1(VALU_DEP_2)
	v_fma_f64 v[58:59], -v[6:7], v[34:35], 1.0
	v_fma_f64 v[60:61], -v[8:9], v[36:37], 1.0
	s_delay_alu instid0(VALU_DEP_2) | instskip(SKIP_1) | instid1(VALU_DEP_3)
	v_fma_f64 v[34:35], v[34:35], v[58:59], v[34:35]
	v_div_scale_f64 v[58:59], s4, v[32:33], v[40:41], v[32:33]
	v_fma_f64 v[36:37], v[36:37], v[60:61], v[36:37]
	s_delay_alu instid0(VALU_DEP_3) | instskip(NEXT) | instid1(VALU_DEP_2)
	v_mul_f64 v[60:61], v[62:63], v[34:35]
	v_mul_f64 v[64:65], v[58:59], v[36:37]
	s_delay_alu instid0(VALU_DEP_2) | instskip(NEXT) | instid1(VALU_DEP_2)
	v_fma_f64 v[6:7], -v[6:7], v[60:61], v[62:63]
	v_fma_f64 v[8:9], -v[8:9], v[64:65], v[58:59]
	s_delay_alu instid0(VALU_DEP_2) | instskip(SKIP_1) | instid1(VALU_DEP_2)
	v_div_fmas_f64 v[6:7], v[6:7], v[34:35], v[60:61]
	s_mov_b32 vcc_lo, s4
	v_div_fmas_f64 v[8:9], v[8:9], v[36:37], v[64:65]
	s_delay_alu instid0(VALU_DEP_2) | instskip(NEXT) | instid1(VALU_DEP_2)
	v_div_fixup_f64 v[6:7], v[6:7], v[38:39], v[30:31]
	v_div_fixup_f64 v[8:9], v[8:9], v[40:41], v[32:33]
.LBB79_54:                              ;   in Loop: Header=BB79_41 Depth=1
	s_or_b32 exec_lo, exec_lo, s23
                                        ; implicit-def: $vgpr36_vgpr37
                                        ; implicit-def: $vgpr34_vgpr35
                                        ; implicit-def: $vgpr30_vgpr31
.LBB79_55:                              ;   in Loop: Header=BB79_41 Depth=1
	s_and_not1_saveexec_b32 s4, s15
	s_cbranch_execz .LBB79_57
; %bb.56:                               ;   in Loop: Header=BB79_41 Depth=1
	v_div_scale_f64 v[6:7], null, v[36:37], v[36:37], v[34:35]
	v_div_scale_f64 v[40:41], vcc_lo, v[34:35], v[36:37], v[34:35]
	s_delay_alu instid0(VALU_DEP_2) | instskip(SKIP_2) | instid1(VALU_DEP_1)
	v_rcp_f64_e32 v[8:9], v[6:7]
	s_waitcnt_depctr 0xfff
	v_fma_f64 v[38:39], -v[6:7], v[8:9], 1.0
	v_fma_f64 v[8:9], v[8:9], v[38:39], v[8:9]
	s_delay_alu instid0(VALU_DEP_1) | instskip(NEXT) | instid1(VALU_DEP_1)
	v_fma_f64 v[38:39], -v[6:7], v[8:9], 1.0
	v_fma_f64 v[8:9], v[8:9], v[38:39], v[8:9]
	s_delay_alu instid0(VALU_DEP_1) | instskip(NEXT) | instid1(VALU_DEP_1)
	v_mul_f64 v[38:39], v[40:41], v[8:9]
	v_fma_f64 v[6:7], -v[6:7], v[38:39], v[40:41]
	s_delay_alu instid0(VALU_DEP_1) | instskip(NEXT) | instid1(VALU_DEP_1)
	v_div_fmas_f64 v[6:7], v[6:7], v[8:9], v[38:39]
	v_div_fixup_f64 v[6:7], v[6:7], v[36:37], v[34:35]
	s_delay_alu instid0(VALU_DEP_1) | instskip(NEXT) | instid1(VALU_DEP_1)
	v_fma_f64 v[8:9], v[34:35], v[6:7], v[36:37]
	v_div_scale_f64 v[34:35], null, v[8:9], v[8:9], 1.0
	v_div_scale_f64 v[40:41], vcc_lo, 1.0, v[8:9], 1.0
	s_delay_alu instid0(VALU_DEP_2) | instskip(SKIP_2) | instid1(VALU_DEP_1)
	v_rcp_f64_e32 v[36:37], v[34:35]
	s_waitcnt_depctr 0xfff
	v_fma_f64 v[38:39], -v[34:35], v[36:37], 1.0
	v_fma_f64 v[36:37], v[36:37], v[38:39], v[36:37]
	s_delay_alu instid0(VALU_DEP_1) | instskip(NEXT) | instid1(VALU_DEP_1)
	v_fma_f64 v[38:39], -v[34:35], v[36:37], 1.0
	v_fma_f64 v[36:37], v[36:37], v[38:39], v[36:37]
	s_delay_alu instid0(VALU_DEP_1) | instskip(NEXT) | instid1(VALU_DEP_1)
	v_mul_f64 v[38:39], v[40:41], v[36:37]
	v_fma_f64 v[34:35], -v[34:35], v[38:39], v[40:41]
	s_delay_alu instid0(VALU_DEP_1) | instskip(SKIP_2) | instid1(VALU_DEP_3)
	v_div_fmas_f64 v[34:35], v[34:35], v[36:37], v[38:39]
	v_fma_f64 v[36:37], v[30:31], v[6:7], v[32:33]
	v_fma_f64 v[30:31], v[32:33], v[6:7], -v[30:31]
	v_div_fixup_f64 v[8:9], v[34:35], v[8:9], 1.0
	s_delay_alu instid0(VALU_DEP_1) | instskip(NEXT) | instid1(VALU_DEP_3)
	v_mul_f64 v[6:7], v[36:37], v[8:9]
	v_mul_f64 v[8:9], v[30:31], v[8:9]
.LBB79_57:                              ;   in Loop: Header=BB79_41 Depth=1
	s_or_b32 exec_lo, exec_lo, s4
	v_mul_f64 v[30:31], s[10:11], v[24:25]
	v_mul_f64 v[32:33], s[10:11], v[22:23]
	s_delay_alu instid0(VALU_DEP_2) | instskip(NEXT) | instid1(VALU_DEP_2)
	v_fma_f64 v[30:31], s[8:9], v[22:23], -v[30:31]
	v_fma_f64 v[32:33], s[8:9], v[24:25], v[32:33]
                                        ; implicit-def: $vgpr24_vgpr25
	s_delay_alu instid0(VALU_DEP_2) | instskip(NEXT) | instid1(VALU_DEP_2)
	v_cmp_gt_f64_e32 vcc_lo, 0, v[30:31]
	v_cmp_gt_f64_e64 s4, 0, v[32:33]
	v_xor_b32_e32 v22, 0x80000000, v31
	v_xor_b32_e32 v23, 0x80000000, v33
	s_delay_alu instid0(VALU_DEP_2) | instskip(NEXT) | instid1(VALU_DEP_2)
	v_cndmask_b32_e32 v35, v31, v22, vcc_lo
	v_cndmask_b32_e64 v37, v33, v23, s4
	v_cndmask_b32_e32 v34, v30, v30, vcc_lo
	v_cndmask_b32_e64 v36, v32, v32, s4
	s_mov_b32 s4, exec_lo
	s_delay_alu instid0(VALU_DEP_1)
	v_cmpx_ge_f64_e32 v[34:35], v[36:37]
	s_xor_b32 s15, exec_lo, s4
	s_cbranch_execz .LBB79_63
; %bb.58:                               ;   in Loop: Header=BB79_41 Depth=1
	v_cmp_neq_f64_e32 vcc_lo, 0, v[30:31]
	v_cmp_neq_f64_e64 s4, 0, v[32:33]
                                        ; implicit-def: $vgpr24_vgpr25
	s_delay_alu instid0(VALU_DEP_1) | instskip(NEXT) | instid1(SALU_CYCLE_1)
	s_or_b32 s4, vcc_lo, s4
	s_and_saveexec_b32 s23, s4
	s_delay_alu instid0(SALU_CYCLE_1)
	s_xor_b32 s4, exec_lo, s23
	s_cbranch_execz .LBB79_60
; %bb.59:                               ;   in Loop: Header=BB79_41 Depth=1
	v_div_scale_f64 v[22:23], null, v[30:31], v[30:31], v[32:33]
	v_div_scale_f64 v[36:37], vcc_lo, v[32:33], v[30:31], v[32:33]
	s_delay_alu instid0(VALU_DEP_2) | instskip(SKIP_2) | instid1(VALU_DEP_1)
	v_rcp_f64_e32 v[24:25], v[22:23]
	s_waitcnt_depctr 0xfff
	v_fma_f64 v[34:35], -v[22:23], v[24:25], 1.0
	v_fma_f64 v[24:25], v[24:25], v[34:35], v[24:25]
	s_delay_alu instid0(VALU_DEP_1) | instskip(NEXT) | instid1(VALU_DEP_1)
	v_fma_f64 v[34:35], -v[22:23], v[24:25], 1.0
	v_fma_f64 v[24:25], v[24:25], v[34:35], v[24:25]
	s_delay_alu instid0(VALU_DEP_1) | instskip(NEXT) | instid1(VALU_DEP_1)
	v_mul_f64 v[34:35], v[36:37], v[24:25]
	v_fma_f64 v[22:23], -v[22:23], v[34:35], v[36:37]
	s_delay_alu instid0(VALU_DEP_1) | instskip(NEXT) | instid1(VALU_DEP_1)
	v_div_fmas_f64 v[22:23], v[22:23], v[24:25], v[34:35]
	v_div_fixup_f64 v[22:23], v[22:23], v[30:31], v[32:33]
	s_delay_alu instid0(VALU_DEP_1) | instskip(NEXT) | instid1(VALU_DEP_1)
	v_fma_f64 v[24:25], v[32:33], v[22:23], v[30:31]
	v_div_scale_f64 v[30:31], null, v[24:25], v[24:25], 1.0
	v_div_scale_f64 v[36:37], vcc_lo, 1.0, v[24:25], 1.0
	s_delay_alu instid0(VALU_DEP_2) | instskip(SKIP_2) | instid1(VALU_DEP_1)
	v_rcp_f64_e32 v[32:33], v[30:31]
	s_waitcnt_depctr 0xfff
	v_fma_f64 v[34:35], -v[30:31], v[32:33], 1.0
	v_fma_f64 v[32:33], v[32:33], v[34:35], v[32:33]
	s_delay_alu instid0(VALU_DEP_1) | instskip(NEXT) | instid1(VALU_DEP_1)
	v_fma_f64 v[34:35], -v[30:31], v[32:33], 1.0
	v_fma_f64 v[32:33], v[32:33], v[34:35], v[32:33]
	s_delay_alu instid0(VALU_DEP_1) | instskip(NEXT) | instid1(VALU_DEP_1)
	v_mul_f64 v[34:35], v[36:37], v[32:33]
	v_fma_f64 v[30:31], -v[30:31], v[34:35], v[36:37]
                                        ; implicit-def: $vgpr36_vgpr37
	s_delay_alu instid0(VALU_DEP_1) | instskip(SKIP_2) | instid1(VALU_DEP_3)
	v_div_fmas_f64 v[30:31], v[30:31], v[32:33], v[34:35]
	v_fma_f64 v[32:33], v[20:21], v[22:23], v[18:19]
	v_fma_f64 v[18:19], -v[18:19], v[22:23], v[20:21]
                                        ; implicit-def: $vgpr34_vgpr35
	v_div_fixup_f64 v[24:25], v[30:31], v[24:25], 1.0
	s_delay_alu instid0(VALU_DEP_1) | instskip(NEXT) | instid1(VALU_DEP_3)
	v_mul_f64 v[22:23], v[32:33], v[24:25]
	v_mul_f64 v[24:25], v[18:19], v[24:25]
                                        ; implicit-def: $vgpr18_vgpr19
.LBB79_60:                              ;   in Loop: Header=BB79_41 Depth=1
	s_and_not1_saveexec_b32 s23, s4
	s_cbranch_execz .LBB79_62
; %bb.61:                               ;   in Loop: Header=BB79_41 Depth=1
	v_div_scale_f64 v[22:23], null, v[34:35], v[34:35], v[18:19]
	v_div_scale_f64 v[24:25], null, v[36:37], v[36:37], v[20:21]
	v_div_scale_f64 v[58:59], vcc_lo, v[18:19], v[34:35], v[18:19]
	s_delay_alu instid0(VALU_DEP_3) | instskip(NEXT) | instid1(VALU_DEP_2)
	v_rcp_f64_e32 v[30:31], v[22:23]
	v_rcp_f64_e32 v[32:33], v[24:25]
	s_waitcnt_depctr 0xfff
	v_fma_f64 v[38:39], -v[22:23], v[30:31], 1.0
	v_fma_f64 v[40:41], -v[24:25], v[32:33], 1.0
	s_delay_alu instid0(VALU_DEP_2) | instskip(NEXT) | instid1(VALU_DEP_2)
	v_fma_f64 v[30:31], v[30:31], v[38:39], v[30:31]
	v_fma_f64 v[32:33], v[32:33], v[40:41], v[32:33]
	s_delay_alu instid0(VALU_DEP_2) | instskip(NEXT) | instid1(VALU_DEP_2)
	v_fma_f64 v[38:39], -v[22:23], v[30:31], 1.0
	v_fma_f64 v[40:41], -v[24:25], v[32:33], 1.0
	s_delay_alu instid0(VALU_DEP_2) | instskip(SKIP_1) | instid1(VALU_DEP_3)
	v_fma_f64 v[30:31], v[30:31], v[38:39], v[30:31]
	v_div_scale_f64 v[38:39], s4, v[20:21], v[36:37], v[20:21]
	v_fma_f64 v[32:33], v[32:33], v[40:41], v[32:33]
	s_delay_alu instid0(VALU_DEP_3) | instskip(NEXT) | instid1(VALU_DEP_2)
	v_mul_f64 v[40:41], v[58:59], v[30:31]
	v_mul_f64 v[60:61], v[38:39], v[32:33]
	s_delay_alu instid0(VALU_DEP_2) | instskip(NEXT) | instid1(VALU_DEP_2)
	v_fma_f64 v[22:23], -v[22:23], v[40:41], v[58:59]
	v_fma_f64 v[24:25], -v[24:25], v[60:61], v[38:39]
	s_delay_alu instid0(VALU_DEP_2) | instskip(SKIP_1) | instid1(VALU_DEP_2)
	v_div_fmas_f64 v[22:23], v[22:23], v[30:31], v[40:41]
	s_mov_b32 vcc_lo, s4
	v_div_fmas_f64 v[24:25], v[24:25], v[32:33], v[60:61]
	s_delay_alu instid0(VALU_DEP_2) | instskip(NEXT) | instid1(VALU_DEP_2)
	v_div_fixup_f64 v[22:23], v[22:23], v[34:35], v[18:19]
	v_div_fixup_f64 v[24:25], v[24:25], v[36:37], v[20:21]
.LBB79_62:                              ;   in Loop: Header=BB79_41 Depth=1
	s_or_b32 exec_lo, exec_lo, s23
                                        ; implicit-def: $vgpr32_vgpr33
                                        ; implicit-def: $vgpr30_vgpr31
                                        ; implicit-def: $vgpr18_vgpr19
.LBB79_63:                              ;   in Loop: Header=BB79_41 Depth=1
	s_and_not1_saveexec_b32 s4, s15
	s_cbranch_execz .LBB79_65
; %bb.64:                               ;   in Loop: Header=BB79_41 Depth=1
	v_div_scale_f64 v[22:23], null, v[32:33], v[32:33], v[30:31]
	v_div_scale_f64 v[36:37], vcc_lo, v[30:31], v[32:33], v[30:31]
	s_delay_alu instid0(VALU_DEP_2) | instskip(SKIP_2) | instid1(VALU_DEP_1)
	v_rcp_f64_e32 v[24:25], v[22:23]
	s_waitcnt_depctr 0xfff
	v_fma_f64 v[34:35], -v[22:23], v[24:25], 1.0
	v_fma_f64 v[24:25], v[24:25], v[34:35], v[24:25]
	s_delay_alu instid0(VALU_DEP_1) | instskip(NEXT) | instid1(VALU_DEP_1)
	v_fma_f64 v[34:35], -v[22:23], v[24:25], 1.0
	v_fma_f64 v[24:25], v[24:25], v[34:35], v[24:25]
	s_delay_alu instid0(VALU_DEP_1) | instskip(NEXT) | instid1(VALU_DEP_1)
	v_mul_f64 v[34:35], v[36:37], v[24:25]
	v_fma_f64 v[22:23], -v[22:23], v[34:35], v[36:37]
	s_delay_alu instid0(VALU_DEP_1) | instskip(NEXT) | instid1(VALU_DEP_1)
	v_div_fmas_f64 v[22:23], v[22:23], v[24:25], v[34:35]
	v_div_fixup_f64 v[22:23], v[22:23], v[32:33], v[30:31]
	s_delay_alu instid0(VALU_DEP_1) | instskip(NEXT) | instid1(VALU_DEP_1)
	v_fma_f64 v[24:25], v[30:31], v[22:23], v[32:33]
	v_div_scale_f64 v[30:31], null, v[24:25], v[24:25], 1.0
	v_div_scale_f64 v[36:37], vcc_lo, 1.0, v[24:25], 1.0
	s_delay_alu instid0(VALU_DEP_2) | instskip(SKIP_2) | instid1(VALU_DEP_1)
	v_rcp_f64_e32 v[32:33], v[30:31]
	s_waitcnt_depctr 0xfff
	v_fma_f64 v[34:35], -v[30:31], v[32:33], 1.0
	v_fma_f64 v[32:33], v[32:33], v[34:35], v[32:33]
	s_delay_alu instid0(VALU_DEP_1) | instskip(NEXT) | instid1(VALU_DEP_1)
	v_fma_f64 v[34:35], -v[30:31], v[32:33], 1.0
	v_fma_f64 v[32:33], v[32:33], v[34:35], v[32:33]
	s_delay_alu instid0(VALU_DEP_1) | instskip(NEXT) | instid1(VALU_DEP_1)
	v_mul_f64 v[34:35], v[36:37], v[32:33]
	v_fma_f64 v[30:31], -v[30:31], v[34:35], v[36:37]
	s_delay_alu instid0(VALU_DEP_1) | instskip(SKIP_2) | instid1(VALU_DEP_3)
	v_div_fmas_f64 v[30:31], v[30:31], v[32:33], v[34:35]
	v_fma_f64 v[32:33], v[18:19], v[22:23], v[20:21]
	v_fma_f64 v[18:19], v[20:21], v[22:23], -v[18:19]
	v_div_fixup_f64 v[24:25], v[30:31], v[24:25], 1.0
	s_delay_alu instid0(VALU_DEP_1) | instskip(NEXT) | instid1(VALU_DEP_3)
	v_mul_f64 v[22:23], v[32:33], v[24:25]
	v_mul_f64 v[24:25], v[18:19], v[24:25]
.LBB79_65:                              ;   in Loop: Header=BB79_41 Depth=1
	s_or_b32 exec_lo, exec_lo, s4
	v_mul_f64 v[18:19], s[10:11], v[28:29]
	v_mul_f64 v[20:21], s[10:11], v[26:27]
	s_delay_alu instid0(VALU_DEP_2) | instskip(NEXT) | instid1(VALU_DEP_2)
	v_fma_f64 v[26:27], s[8:9], v[26:27], -v[18:19]
	v_fma_f64 v[28:29], s[8:9], v[28:29], v[20:21]
                                        ; implicit-def: $vgpr20_vgpr21
	s_delay_alu instid0(VALU_DEP_2) | instskip(NEXT) | instid1(VALU_DEP_2)
	v_cmp_gt_f64_e32 vcc_lo, 0, v[26:27]
	v_cmp_gt_f64_e64 s4, 0, v[28:29]
	v_xor_b32_e32 v18, 0x80000000, v27
	v_xor_b32_e32 v19, 0x80000000, v29
	s_delay_alu instid0(VALU_DEP_2) | instskip(NEXT) | instid1(VALU_DEP_2)
	v_cndmask_b32_e32 v31, v27, v18, vcc_lo
	v_cndmask_b32_e64 v33, v29, v19, s4
	v_cndmask_b32_e32 v30, v26, v26, vcc_lo
	v_cndmask_b32_e64 v32, v28, v28, s4
	s_mov_b32 s4, exec_lo
	s_delay_alu instid0(VALU_DEP_1)
	v_cmpx_ge_f64_e32 v[30:31], v[32:33]
	s_xor_b32 s15, exec_lo, s4
	s_cbranch_execz .LBB79_71
; %bb.66:                               ;   in Loop: Header=BB79_41 Depth=1
	v_cmp_neq_f64_e32 vcc_lo, 0, v[26:27]
	v_cmp_neq_f64_e64 s4, 0, v[28:29]
                                        ; implicit-def: $vgpr20_vgpr21
	s_delay_alu instid0(VALU_DEP_1) | instskip(NEXT) | instid1(SALU_CYCLE_1)
	s_or_b32 s4, vcc_lo, s4
	s_and_saveexec_b32 s23, s4
	s_delay_alu instid0(SALU_CYCLE_1)
	s_xor_b32 s4, exec_lo, s23
	s_cbranch_execz .LBB79_68
; %bb.67:                               ;   in Loop: Header=BB79_41 Depth=1
	v_div_scale_f64 v[18:19], null, v[26:27], v[26:27], v[28:29]
	v_div_scale_f64 v[32:33], vcc_lo, v[28:29], v[26:27], v[28:29]
	s_delay_alu instid0(VALU_DEP_2) | instskip(SKIP_2) | instid1(VALU_DEP_1)
	v_rcp_f64_e32 v[20:21], v[18:19]
	s_waitcnt_depctr 0xfff
	v_fma_f64 v[30:31], -v[18:19], v[20:21], 1.0
	v_fma_f64 v[20:21], v[20:21], v[30:31], v[20:21]
	s_delay_alu instid0(VALU_DEP_1) | instskip(NEXT) | instid1(VALU_DEP_1)
	v_fma_f64 v[30:31], -v[18:19], v[20:21], 1.0
	v_fma_f64 v[20:21], v[20:21], v[30:31], v[20:21]
	s_delay_alu instid0(VALU_DEP_1) | instskip(NEXT) | instid1(VALU_DEP_1)
	v_mul_f64 v[30:31], v[32:33], v[20:21]
	v_fma_f64 v[18:19], -v[18:19], v[30:31], v[32:33]
	s_delay_alu instid0(VALU_DEP_1) | instskip(NEXT) | instid1(VALU_DEP_1)
	v_div_fmas_f64 v[18:19], v[18:19], v[20:21], v[30:31]
	v_div_fixup_f64 v[18:19], v[18:19], v[26:27], v[28:29]
	s_delay_alu instid0(VALU_DEP_1) | instskip(NEXT) | instid1(VALU_DEP_1)
	v_fma_f64 v[20:21], v[28:29], v[18:19], v[26:27]
	v_div_scale_f64 v[26:27], null, v[20:21], v[20:21], 1.0
	v_div_scale_f64 v[32:33], vcc_lo, 1.0, v[20:21], 1.0
	s_delay_alu instid0(VALU_DEP_2) | instskip(SKIP_2) | instid1(VALU_DEP_1)
	v_rcp_f64_e32 v[28:29], v[26:27]
	s_waitcnt_depctr 0xfff
	v_fma_f64 v[30:31], -v[26:27], v[28:29], 1.0
	v_fma_f64 v[28:29], v[28:29], v[30:31], v[28:29]
	s_delay_alu instid0(VALU_DEP_1) | instskip(NEXT) | instid1(VALU_DEP_1)
	v_fma_f64 v[30:31], -v[26:27], v[28:29], 1.0
	v_fma_f64 v[28:29], v[28:29], v[30:31], v[28:29]
	s_delay_alu instid0(VALU_DEP_1) | instskip(NEXT) | instid1(VALU_DEP_1)
	v_mul_f64 v[30:31], v[32:33], v[28:29]
	v_fma_f64 v[26:27], -v[26:27], v[30:31], v[32:33]
                                        ; implicit-def: $vgpr32_vgpr33
	s_delay_alu instid0(VALU_DEP_1) | instskip(SKIP_2) | instid1(VALU_DEP_3)
	v_div_fmas_f64 v[26:27], v[26:27], v[28:29], v[30:31]
	v_fma_f64 v[28:29], v[16:17], v[18:19], v[14:15]
	v_fma_f64 v[14:15], -v[14:15], v[18:19], v[16:17]
                                        ; implicit-def: $vgpr30_vgpr31
	v_div_fixup_f64 v[20:21], v[26:27], v[20:21], 1.0
	s_delay_alu instid0(VALU_DEP_1) | instskip(NEXT) | instid1(VALU_DEP_3)
	v_mul_f64 v[18:19], v[28:29], v[20:21]
	v_mul_f64 v[20:21], v[14:15], v[20:21]
                                        ; implicit-def: $vgpr14_vgpr15
.LBB79_68:                              ;   in Loop: Header=BB79_41 Depth=1
	s_and_not1_saveexec_b32 s23, s4
	s_cbranch_execz .LBB79_70
; %bb.69:                               ;   in Loop: Header=BB79_41 Depth=1
	v_div_scale_f64 v[18:19], null, v[30:31], v[30:31], v[14:15]
	v_div_scale_f64 v[20:21], null, v[32:33], v[32:33], v[16:17]
	v_div_scale_f64 v[38:39], vcc_lo, v[14:15], v[30:31], v[14:15]
	s_delay_alu instid0(VALU_DEP_3) | instskip(NEXT) | instid1(VALU_DEP_2)
	v_rcp_f64_e32 v[26:27], v[18:19]
	v_rcp_f64_e32 v[28:29], v[20:21]
	s_waitcnt_depctr 0xfff
	v_fma_f64 v[34:35], -v[18:19], v[26:27], 1.0
	v_fma_f64 v[36:37], -v[20:21], v[28:29], 1.0
	s_delay_alu instid0(VALU_DEP_2) | instskip(NEXT) | instid1(VALU_DEP_2)
	v_fma_f64 v[26:27], v[26:27], v[34:35], v[26:27]
	v_fma_f64 v[28:29], v[28:29], v[36:37], v[28:29]
	s_delay_alu instid0(VALU_DEP_2) | instskip(NEXT) | instid1(VALU_DEP_2)
	v_fma_f64 v[34:35], -v[18:19], v[26:27], 1.0
	v_fma_f64 v[36:37], -v[20:21], v[28:29], 1.0
	s_delay_alu instid0(VALU_DEP_2) | instskip(SKIP_1) | instid1(VALU_DEP_3)
	v_fma_f64 v[26:27], v[26:27], v[34:35], v[26:27]
	v_div_scale_f64 v[34:35], s4, v[16:17], v[32:33], v[16:17]
	v_fma_f64 v[28:29], v[28:29], v[36:37], v[28:29]
	s_delay_alu instid0(VALU_DEP_3) | instskip(NEXT) | instid1(VALU_DEP_2)
	v_mul_f64 v[36:37], v[38:39], v[26:27]
	v_mul_f64 v[40:41], v[34:35], v[28:29]
	s_delay_alu instid0(VALU_DEP_2) | instskip(NEXT) | instid1(VALU_DEP_2)
	v_fma_f64 v[18:19], -v[18:19], v[36:37], v[38:39]
	v_fma_f64 v[20:21], -v[20:21], v[40:41], v[34:35]
	s_delay_alu instid0(VALU_DEP_2) | instskip(SKIP_1) | instid1(VALU_DEP_2)
	v_div_fmas_f64 v[18:19], v[18:19], v[26:27], v[36:37]
	s_mov_b32 vcc_lo, s4
	v_div_fmas_f64 v[20:21], v[20:21], v[28:29], v[40:41]
	s_delay_alu instid0(VALU_DEP_2) | instskip(NEXT) | instid1(VALU_DEP_2)
	v_div_fixup_f64 v[18:19], v[18:19], v[30:31], v[14:15]
	v_div_fixup_f64 v[20:21], v[20:21], v[32:33], v[16:17]
.LBB79_70:                              ;   in Loop: Header=BB79_41 Depth=1
	s_or_b32 exec_lo, exec_lo, s23
                                        ; implicit-def: $vgpr28_vgpr29
                                        ; implicit-def: $vgpr26_vgpr27
                                        ; implicit-def: $vgpr14_vgpr15
.LBB79_71:                              ;   in Loop: Header=BB79_41 Depth=1
	s_and_not1_saveexec_b32 s4, s15
	s_cbranch_execz .LBB79_73
; %bb.72:                               ;   in Loop: Header=BB79_41 Depth=1
	v_div_scale_f64 v[18:19], null, v[28:29], v[28:29], v[26:27]
	v_div_scale_f64 v[32:33], vcc_lo, v[26:27], v[28:29], v[26:27]
	s_delay_alu instid0(VALU_DEP_2) | instskip(SKIP_2) | instid1(VALU_DEP_1)
	v_rcp_f64_e32 v[20:21], v[18:19]
	s_waitcnt_depctr 0xfff
	v_fma_f64 v[30:31], -v[18:19], v[20:21], 1.0
	v_fma_f64 v[20:21], v[20:21], v[30:31], v[20:21]
	s_delay_alu instid0(VALU_DEP_1) | instskip(NEXT) | instid1(VALU_DEP_1)
	v_fma_f64 v[30:31], -v[18:19], v[20:21], 1.0
	v_fma_f64 v[20:21], v[20:21], v[30:31], v[20:21]
	s_delay_alu instid0(VALU_DEP_1) | instskip(NEXT) | instid1(VALU_DEP_1)
	v_mul_f64 v[30:31], v[32:33], v[20:21]
	v_fma_f64 v[18:19], -v[18:19], v[30:31], v[32:33]
	s_delay_alu instid0(VALU_DEP_1) | instskip(NEXT) | instid1(VALU_DEP_1)
	v_div_fmas_f64 v[18:19], v[18:19], v[20:21], v[30:31]
	v_div_fixup_f64 v[18:19], v[18:19], v[28:29], v[26:27]
	s_delay_alu instid0(VALU_DEP_1) | instskip(NEXT) | instid1(VALU_DEP_1)
	v_fma_f64 v[20:21], v[26:27], v[18:19], v[28:29]
	v_div_scale_f64 v[26:27], null, v[20:21], v[20:21], 1.0
	v_div_scale_f64 v[32:33], vcc_lo, 1.0, v[20:21], 1.0
	s_delay_alu instid0(VALU_DEP_2) | instskip(SKIP_2) | instid1(VALU_DEP_1)
	v_rcp_f64_e32 v[28:29], v[26:27]
	s_waitcnt_depctr 0xfff
	v_fma_f64 v[30:31], -v[26:27], v[28:29], 1.0
	v_fma_f64 v[28:29], v[28:29], v[30:31], v[28:29]
	s_delay_alu instid0(VALU_DEP_1) | instskip(NEXT) | instid1(VALU_DEP_1)
	v_fma_f64 v[30:31], -v[26:27], v[28:29], 1.0
	v_fma_f64 v[28:29], v[28:29], v[30:31], v[28:29]
	s_delay_alu instid0(VALU_DEP_1) | instskip(NEXT) | instid1(VALU_DEP_1)
	v_mul_f64 v[30:31], v[32:33], v[28:29]
	v_fma_f64 v[26:27], -v[26:27], v[30:31], v[32:33]
	s_delay_alu instid0(VALU_DEP_1) | instskip(SKIP_2) | instid1(VALU_DEP_3)
	v_div_fmas_f64 v[26:27], v[26:27], v[28:29], v[30:31]
	v_fma_f64 v[28:29], v[14:15], v[18:19], v[16:17]
	v_fma_f64 v[14:15], v[16:17], v[18:19], -v[14:15]
	v_div_fixup_f64 v[20:21], v[26:27], v[20:21], 1.0
	s_delay_alu instid0(VALU_DEP_1) | instskip(NEXT) | instid1(VALU_DEP_3)
	v_mul_f64 v[18:19], v[28:29], v[20:21]
	v_mul_f64 v[20:21], v[14:15], v[20:21]
.LBB79_73:                              ;   in Loop: Header=BB79_41 Depth=1
	s_or_b32 exec_lo, exec_lo, s4
	v_mul_f64 v[14:15], s[10:11], v[12:13]
	v_mul_f64 v[16:17], s[10:11], v[10:11]
	s_delay_alu instid0(VALU_DEP_2) | instskip(NEXT) | instid1(VALU_DEP_2)
	v_fma_f64 v[14:15], s[8:9], v[10:11], -v[14:15]
	v_fma_f64 v[16:17], s[8:9], v[12:13], v[16:17]
                                        ; implicit-def: $vgpr12_vgpr13
	s_delay_alu instid0(VALU_DEP_2) | instskip(NEXT) | instid1(VALU_DEP_2)
	v_cmp_gt_f64_e32 vcc_lo, 0, v[14:15]
	v_cmp_gt_f64_e64 s4, 0, v[16:17]
	v_xor_b32_e32 v10, 0x80000000, v15
	v_xor_b32_e32 v11, 0x80000000, v17
	s_delay_alu instid0(VALU_DEP_2) | instskip(NEXT) | instid1(VALU_DEP_2)
	v_cndmask_b32_e32 v27, v15, v10, vcc_lo
	v_cndmask_b32_e64 v29, v17, v11, s4
	v_cndmask_b32_e32 v26, v14, v14, vcc_lo
	v_cndmask_b32_e64 v28, v16, v16, s4
	s_mov_b32 s4, exec_lo
	s_delay_alu instid0(VALU_DEP_1)
	v_cmpx_ge_f64_e32 v[26:27], v[28:29]
	s_xor_b32 s15, exec_lo, s4
	s_cbranch_execnz .LBB79_79
; %bb.74:                               ;   in Loop: Header=BB79_41 Depth=1
	s_and_not1_saveexec_b32 s4, s15
	s_cbranch_execnz .LBB79_84
.LBB79_75:                              ;   in Loop: Header=BB79_41 Depth=1
	s_or_b32 exec_lo, exec_lo, s4
	s_and_saveexec_b32 s4, s0
	s_delay_alu instid0(SALU_CYCLE_1)
	s_xor_b32 s0, exec_lo, s4
	s_cbranch_execnz .LBB79_85
.LBB79_76:                              ;   in Loop: Header=BB79_41 Depth=1
	s_or_b32 exec_lo, exec_lo, s0
	s_and_saveexec_b32 s0, s1
	s_cbranch_execnz .LBB79_86
.LBB79_77:                              ;   in Loop: Header=BB79_41 Depth=1
	s_or_b32 exec_lo, exec_lo, s0
	s_and_saveexec_b32 s0, s2
	s_cbranch_execnz .LBB79_87
.LBB79_78:                              ;   in Loop: Header=BB79_41 Depth=1
	s_or_b32 exec_lo, exec_lo, s0
	s_and_saveexec_b32 s0, s3
	s_cbranch_execz .LBB79_40
	s_branch .LBB79_88
.LBB79_79:                              ;   in Loop: Header=BB79_41 Depth=1
	v_cmp_neq_f64_e32 vcc_lo, 0, v[14:15]
	v_cmp_neq_f64_e64 s4, 0, v[16:17]
                                        ; implicit-def: $vgpr12_vgpr13
	s_delay_alu instid0(VALU_DEP_1) | instskip(NEXT) | instid1(SALU_CYCLE_1)
	s_or_b32 s4, vcc_lo, s4
	s_and_saveexec_b32 s23, s4
	s_delay_alu instid0(SALU_CYCLE_1)
	s_xor_b32 s4, exec_lo, s23
	s_cbranch_execz .LBB79_81
; %bb.80:                               ;   in Loop: Header=BB79_41 Depth=1
	v_div_scale_f64 v[10:11], null, v[14:15], v[14:15], v[16:17]
	v_div_scale_f64 v[28:29], vcc_lo, v[16:17], v[14:15], v[16:17]
	s_delay_alu instid0(VALU_DEP_2) | instskip(SKIP_2) | instid1(VALU_DEP_1)
	v_rcp_f64_e32 v[12:13], v[10:11]
	s_waitcnt_depctr 0xfff
	v_fma_f64 v[26:27], -v[10:11], v[12:13], 1.0
	v_fma_f64 v[12:13], v[12:13], v[26:27], v[12:13]
	s_delay_alu instid0(VALU_DEP_1) | instskip(NEXT) | instid1(VALU_DEP_1)
	v_fma_f64 v[26:27], -v[10:11], v[12:13], 1.0
	v_fma_f64 v[12:13], v[12:13], v[26:27], v[12:13]
	s_delay_alu instid0(VALU_DEP_1) | instskip(NEXT) | instid1(VALU_DEP_1)
	v_mul_f64 v[26:27], v[28:29], v[12:13]
	v_fma_f64 v[10:11], -v[10:11], v[26:27], v[28:29]
	s_delay_alu instid0(VALU_DEP_1) | instskip(NEXT) | instid1(VALU_DEP_1)
	v_div_fmas_f64 v[10:11], v[10:11], v[12:13], v[26:27]
	v_div_fixup_f64 v[10:11], v[10:11], v[14:15], v[16:17]
	s_delay_alu instid0(VALU_DEP_1) | instskip(NEXT) | instid1(VALU_DEP_1)
	v_fma_f64 v[12:13], v[16:17], v[10:11], v[14:15]
	v_div_scale_f64 v[14:15], null, v[12:13], v[12:13], 1.0
	v_div_scale_f64 v[28:29], vcc_lo, 1.0, v[12:13], 1.0
	s_delay_alu instid0(VALU_DEP_2) | instskip(SKIP_2) | instid1(VALU_DEP_1)
	v_rcp_f64_e32 v[16:17], v[14:15]
	s_waitcnt_depctr 0xfff
	v_fma_f64 v[26:27], -v[14:15], v[16:17], 1.0
	v_fma_f64 v[16:17], v[16:17], v[26:27], v[16:17]
	s_delay_alu instid0(VALU_DEP_1) | instskip(NEXT) | instid1(VALU_DEP_1)
	v_fma_f64 v[26:27], -v[14:15], v[16:17], 1.0
	v_fma_f64 v[16:17], v[16:17], v[26:27], v[16:17]
	s_delay_alu instid0(VALU_DEP_1) | instskip(NEXT) | instid1(VALU_DEP_1)
	v_mul_f64 v[26:27], v[28:29], v[16:17]
	v_fma_f64 v[14:15], -v[14:15], v[26:27], v[28:29]
                                        ; implicit-def: $vgpr28_vgpr29
	s_delay_alu instid0(VALU_DEP_1) | instskip(SKIP_2) | instid1(VALU_DEP_3)
	v_div_fmas_f64 v[14:15], v[14:15], v[16:17], v[26:27]
	v_fma_f64 v[16:17], v[4:5], v[10:11], v[2:3]
	v_fma_f64 v[2:3], -v[2:3], v[10:11], v[4:5]
                                        ; implicit-def: $vgpr26_vgpr27
	v_div_fixup_f64 v[12:13], v[14:15], v[12:13], 1.0
	s_delay_alu instid0(VALU_DEP_1) | instskip(NEXT) | instid1(VALU_DEP_3)
	v_mul_f64 v[10:11], v[16:17], v[12:13]
	v_mul_f64 v[12:13], v[2:3], v[12:13]
                                        ; implicit-def: $vgpr2_vgpr3
.LBB79_81:                              ;   in Loop: Header=BB79_41 Depth=1
	s_and_not1_saveexec_b32 s23, s4
	s_cbranch_execz .LBB79_83
; %bb.82:                               ;   in Loop: Header=BB79_41 Depth=1
	v_div_scale_f64 v[10:11], null, v[26:27], v[26:27], v[2:3]
	v_div_scale_f64 v[12:13], null, v[28:29], v[28:29], v[4:5]
	v_div_scale_f64 v[34:35], vcc_lo, v[2:3], v[26:27], v[2:3]
	s_delay_alu instid0(VALU_DEP_3) | instskip(NEXT) | instid1(VALU_DEP_2)
	v_rcp_f64_e32 v[14:15], v[10:11]
	v_rcp_f64_e32 v[16:17], v[12:13]
	s_waitcnt_depctr 0xfff
	v_fma_f64 v[30:31], -v[10:11], v[14:15], 1.0
	v_fma_f64 v[32:33], -v[12:13], v[16:17], 1.0
	s_delay_alu instid0(VALU_DEP_2) | instskip(NEXT) | instid1(VALU_DEP_2)
	v_fma_f64 v[14:15], v[14:15], v[30:31], v[14:15]
	v_fma_f64 v[16:17], v[16:17], v[32:33], v[16:17]
	s_delay_alu instid0(VALU_DEP_2) | instskip(NEXT) | instid1(VALU_DEP_2)
	v_fma_f64 v[30:31], -v[10:11], v[14:15], 1.0
	v_fma_f64 v[32:33], -v[12:13], v[16:17], 1.0
	s_delay_alu instid0(VALU_DEP_2) | instskip(SKIP_1) | instid1(VALU_DEP_3)
	v_fma_f64 v[14:15], v[14:15], v[30:31], v[14:15]
	v_div_scale_f64 v[30:31], s4, v[4:5], v[28:29], v[4:5]
	v_fma_f64 v[16:17], v[16:17], v[32:33], v[16:17]
	s_delay_alu instid0(VALU_DEP_3) | instskip(NEXT) | instid1(VALU_DEP_2)
	v_mul_f64 v[32:33], v[34:35], v[14:15]
	v_mul_f64 v[36:37], v[30:31], v[16:17]
	s_delay_alu instid0(VALU_DEP_2) | instskip(NEXT) | instid1(VALU_DEP_2)
	v_fma_f64 v[10:11], -v[10:11], v[32:33], v[34:35]
	v_fma_f64 v[12:13], -v[12:13], v[36:37], v[30:31]
	s_delay_alu instid0(VALU_DEP_2) | instskip(SKIP_1) | instid1(VALU_DEP_2)
	v_div_fmas_f64 v[10:11], v[10:11], v[14:15], v[32:33]
	s_mov_b32 vcc_lo, s4
	v_div_fmas_f64 v[12:13], v[12:13], v[16:17], v[36:37]
	s_delay_alu instid0(VALU_DEP_2) | instskip(NEXT) | instid1(VALU_DEP_2)
	v_div_fixup_f64 v[10:11], v[10:11], v[26:27], v[2:3]
	v_div_fixup_f64 v[12:13], v[12:13], v[28:29], v[4:5]
.LBB79_83:                              ;   in Loop: Header=BB79_41 Depth=1
	s_or_b32 exec_lo, exec_lo, s23
                                        ; implicit-def: $vgpr16_vgpr17
                                        ; implicit-def: $vgpr14_vgpr15
                                        ; implicit-def: $vgpr2_vgpr3
	s_and_not1_saveexec_b32 s4, s15
	s_cbranch_execz .LBB79_75
.LBB79_84:                              ;   in Loop: Header=BB79_41 Depth=1
	v_div_scale_f64 v[10:11], null, v[16:17], v[16:17], v[14:15]
	v_div_scale_f64 v[28:29], vcc_lo, v[14:15], v[16:17], v[14:15]
	s_delay_alu instid0(VALU_DEP_2) | instskip(SKIP_2) | instid1(VALU_DEP_1)
	v_rcp_f64_e32 v[12:13], v[10:11]
	s_waitcnt_depctr 0xfff
	v_fma_f64 v[26:27], -v[10:11], v[12:13], 1.0
	v_fma_f64 v[12:13], v[12:13], v[26:27], v[12:13]
	s_delay_alu instid0(VALU_DEP_1) | instskip(NEXT) | instid1(VALU_DEP_1)
	v_fma_f64 v[26:27], -v[10:11], v[12:13], 1.0
	v_fma_f64 v[12:13], v[12:13], v[26:27], v[12:13]
	s_delay_alu instid0(VALU_DEP_1) | instskip(NEXT) | instid1(VALU_DEP_1)
	v_mul_f64 v[26:27], v[28:29], v[12:13]
	v_fma_f64 v[10:11], -v[10:11], v[26:27], v[28:29]
	s_delay_alu instid0(VALU_DEP_1) | instskip(NEXT) | instid1(VALU_DEP_1)
	v_div_fmas_f64 v[10:11], v[10:11], v[12:13], v[26:27]
	v_div_fixup_f64 v[10:11], v[10:11], v[16:17], v[14:15]
	s_delay_alu instid0(VALU_DEP_1) | instskip(NEXT) | instid1(VALU_DEP_1)
	v_fma_f64 v[12:13], v[14:15], v[10:11], v[16:17]
	v_div_scale_f64 v[14:15], null, v[12:13], v[12:13], 1.0
	v_div_scale_f64 v[28:29], vcc_lo, 1.0, v[12:13], 1.0
	s_delay_alu instid0(VALU_DEP_2) | instskip(SKIP_2) | instid1(VALU_DEP_1)
	v_rcp_f64_e32 v[16:17], v[14:15]
	s_waitcnt_depctr 0xfff
	v_fma_f64 v[26:27], -v[14:15], v[16:17], 1.0
	v_fma_f64 v[16:17], v[16:17], v[26:27], v[16:17]
	s_delay_alu instid0(VALU_DEP_1) | instskip(NEXT) | instid1(VALU_DEP_1)
	v_fma_f64 v[26:27], -v[14:15], v[16:17], 1.0
	v_fma_f64 v[16:17], v[16:17], v[26:27], v[16:17]
	s_delay_alu instid0(VALU_DEP_1) | instskip(NEXT) | instid1(VALU_DEP_1)
	v_mul_f64 v[26:27], v[28:29], v[16:17]
	v_fma_f64 v[14:15], -v[14:15], v[26:27], v[28:29]
	s_delay_alu instid0(VALU_DEP_1) | instskip(SKIP_2) | instid1(VALU_DEP_3)
	v_div_fmas_f64 v[14:15], v[14:15], v[16:17], v[26:27]
	v_fma_f64 v[16:17], v[2:3], v[10:11], v[4:5]
	v_fma_f64 v[2:3], v[4:5], v[10:11], -v[2:3]
	v_div_fixup_f64 v[12:13], v[14:15], v[12:13], 1.0
	s_delay_alu instid0(VALU_DEP_1) | instskip(NEXT) | instid1(VALU_DEP_3)
	v_mul_f64 v[10:11], v[16:17], v[12:13]
	v_mul_f64 v[12:13], v[2:3], v[12:13]
	s_or_b32 exec_lo, exec_lo, s4
	s_and_saveexec_b32 s4, s0
	s_delay_alu instid0(SALU_CYCLE_1)
	s_xor_b32 s0, exec_lo, s4
	s_cbranch_execz .LBB79_76
.LBB79_85:                              ;   in Loop: Header=BB79_41 Depth=1
	v_add_co_u32 v2, vcc_lo, v44, s6
	v_add_co_ci_u32_e32 v3, vcc_lo, s7, v45, vcc_lo
	global_store_b128 v[2:3], v[6:9], off offset:-8
	s_or_b32 exec_lo, exec_lo, s0
	s_and_saveexec_b32 s0, s1
	s_cbranch_execz .LBB79_77
.LBB79_86:                              ;   in Loop: Header=BB79_41 Depth=1
	v_add_co_u32 v2, vcc_lo, v46, s6
	v_add_co_ci_u32_e32 v3, vcc_lo, s7, v47, vcc_lo
	global_store_b128 v[2:3], v[22:25], off
	s_or_b32 exec_lo, exec_lo, s0
	s_and_saveexec_b32 s0, s2
	s_cbranch_execz .LBB79_78
.LBB79_87:                              ;   in Loop: Header=BB79_41 Depth=1
	v_add_co_u32 v2, vcc_lo, v56, s6
	v_add_co_ci_u32_e32 v3, vcc_lo, s7, v57, vcc_lo
	global_store_b128 v[2:3], v[18:21], off offset:-8
	s_or_b32 exec_lo, exec_lo, s0
	s_and_saveexec_b32 s0, s3
	s_cbranch_execz .LBB79_40
.LBB79_88:                              ;   in Loop: Header=BB79_41 Depth=1
	v_add_co_u32 v2, vcc_lo, v52, s6
	v_add_co_ci_u32_e32 v3, vcc_lo, s7, v53, vcc_lo
	global_store_b128 v[2:3], v[10:13], off offset:-8
	s_branch .LBB79_40
.LBB79_89:
	s_nop 0
	s_sendmsg sendmsg(MSG_DEALLOC_VGPRS)
	s_endpgm
	.section	.rodata,"a",@progbits
	.p2align	6, 0x0
	.amdhsa_kernel _ZN2at6native12_GLOBAL__N_125multi_tensor_apply_kernelINS1_18TensorListMetadataILi2EEENS1_24BinaryOpListAlphaFunctorIN3c107complexIdEELi2ELi2ELi0EEEJSt7dividesIS8_ES8_EEEvT_T0_DpT1_
		.amdhsa_group_segment_fixed_size 0
		.amdhsa_private_segment_fixed_size 0
		.amdhsa_kernarg_size 3424
		.amdhsa_user_sgpr_count 15
		.amdhsa_user_sgpr_dispatch_ptr 0
		.amdhsa_user_sgpr_queue_ptr 0
		.amdhsa_user_sgpr_kernarg_segment_ptr 1
		.amdhsa_user_sgpr_dispatch_id 0
		.amdhsa_user_sgpr_private_segment_size 0
		.amdhsa_wavefront_size32 1
		.amdhsa_uses_dynamic_stack 0
		.amdhsa_enable_private_segment 0
		.amdhsa_system_sgpr_workgroup_id_x 1
		.amdhsa_system_sgpr_workgroup_id_y 0
		.amdhsa_system_sgpr_workgroup_id_z 0
		.amdhsa_system_sgpr_workgroup_info 0
		.amdhsa_system_vgpr_workitem_id 0
		.amdhsa_next_free_vgpr 66
		.amdhsa_next_free_sgpr 26
		.amdhsa_reserve_vcc 1
		.amdhsa_float_round_mode_32 0
		.amdhsa_float_round_mode_16_64 0
		.amdhsa_float_denorm_mode_32 3
		.amdhsa_float_denorm_mode_16_64 3
		.amdhsa_dx10_clamp 1
		.amdhsa_ieee_mode 1
		.amdhsa_fp16_overflow 0
		.amdhsa_workgroup_processor_mode 1
		.amdhsa_memory_ordered 1
		.amdhsa_forward_progress 0
		.amdhsa_shared_vgpr_count 0
		.amdhsa_exception_fp_ieee_invalid_op 0
		.amdhsa_exception_fp_denorm_src 0
		.amdhsa_exception_fp_ieee_div_zero 0
		.amdhsa_exception_fp_ieee_overflow 0
		.amdhsa_exception_fp_ieee_underflow 0
		.amdhsa_exception_fp_ieee_inexact 0
		.amdhsa_exception_int_div_zero 0
	.end_amdhsa_kernel
	.section	.text._ZN2at6native12_GLOBAL__N_125multi_tensor_apply_kernelINS1_18TensorListMetadataILi2EEENS1_24BinaryOpListAlphaFunctorIN3c107complexIdEELi2ELi2ELi0EEEJSt7dividesIS8_ES8_EEEvT_T0_DpT1_,"axG",@progbits,_ZN2at6native12_GLOBAL__N_125multi_tensor_apply_kernelINS1_18TensorListMetadataILi2EEENS1_24BinaryOpListAlphaFunctorIN3c107complexIdEELi2ELi2ELi0EEEJSt7dividesIS8_ES8_EEEvT_T0_DpT1_,comdat
.Lfunc_end79:
	.size	_ZN2at6native12_GLOBAL__N_125multi_tensor_apply_kernelINS1_18TensorListMetadataILi2EEENS1_24BinaryOpListAlphaFunctorIN3c107complexIdEELi2ELi2ELi0EEEJSt7dividesIS8_ES8_EEEvT_T0_DpT1_, .Lfunc_end79-_ZN2at6native12_GLOBAL__N_125multi_tensor_apply_kernelINS1_18TensorListMetadataILi2EEENS1_24BinaryOpListAlphaFunctorIN3c107complexIdEELi2ELi2ELi0EEEJSt7dividesIS8_ES8_EEEvT_T0_DpT1_
                                        ; -- End function
	.section	.AMDGPU.csdata,"",@progbits
; Kernel info:
; codeLenInByte = 8780
; NumSgprs: 28
; NumVgprs: 66
; ScratchSize: 0
; MemoryBound: 1
; FloatMode: 240
; IeeeMode: 1
; LDSByteSize: 0 bytes/workgroup (compile time only)
; SGPRBlocks: 3
; VGPRBlocks: 8
; NumSGPRsForWavesPerEU: 28
; NumVGPRsForWavesPerEU: 66
; Occupancy: 16
; WaveLimiterHint : 0
; COMPUTE_PGM_RSRC2:SCRATCH_EN: 0
; COMPUTE_PGM_RSRC2:USER_SGPR: 15
; COMPUTE_PGM_RSRC2:TRAP_HANDLER: 0
; COMPUTE_PGM_RSRC2:TGID_X_EN: 1
; COMPUTE_PGM_RSRC2:TGID_Y_EN: 0
; COMPUTE_PGM_RSRC2:TGID_Z_EN: 0
; COMPUTE_PGM_RSRC2:TIDIG_COMP_CNT: 0
	.section	.text._ZN2at6native12_GLOBAL__N_125multi_tensor_apply_kernelINS1_18TensorListMetadataILi2EEENS1_24BinaryOpListAlphaFunctorIN3c107complexIfEELi2ELi2ELi0EEEJSt7dividesIS8_ES8_EEEvT_T0_DpT1_,"axG",@progbits,_ZN2at6native12_GLOBAL__N_125multi_tensor_apply_kernelINS1_18TensorListMetadataILi2EEENS1_24BinaryOpListAlphaFunctorIN3c107complexIfEELi2ELi2ELi0EEEJSt7dividesIS8_ES8_EEEvT_T0_DpT1_,comdat
	.globl	_ZN2at6native12_GLOBAL__N_125multi_tensor_apply_kernelINS1_18TensorListMetadataILi2EEENS1_24BinaryOpListAlphaFunctorIN3c107complexIfEELi2ELi2ELi0EEEJSt7dividesIS8_ES8_EEEvT_T0_DpT1_ ; -- Begin function _ZN2at6native12_GLOBAL__N_125multi_tensor_apply_kernelINS1_18TensorListMetadataILi2EEENS1_24BinaryOpListAlphaFunctorIN3c107complexIfEELi2ELi2ELi0EEEJSt7dividesIS8_ES8_EEEvT_T0_DpT1_
	.p2align	8
	.type	_ZN2at6native12_GLOBAL__N_125multi_tensor_apply_kernelINS1_18TensorListMetadataILi2EEENS1_24BinaryOpListAlphaFunctorIN3c107complexIfEELi2ELi2ELi0EEEJSt7dividesIS8_ES8_EEEvT_T0_DpT1_,@function
_ZN2at6native12_GLOBAL__N_125multi_tensor_apply_kernelINS1_18TensorListMetadataILi2EEENS1_24BinaryOpListAlphaFunctorIN3c107complexIfEELi2ELi2ELi0EEEJSt7dividesIS8_ES8_EEEvT_T0_DpT1_: ; @_ZN2at6native12_GLOBAL__N_125multi_tensor_apply_kernelINS1_18TensorListMetadataILi2EEENS1_24BinaryOpListAlphaFunctorIN3c107complexIfEELi2ELi2ELi0EEEJSt7dividesIS8_ES8_EEEvT_T0_DpT1_
; %bb.0:
	v_mov_b32_e32 v1, s15
	s_add_u32 s2, s0, s15
	s_mul_hi_u32 s3, s15, 3
	s_mul_i32 s15, s15, 3
	s_addc_u32 s4, s1, 0
	global_load_u8 v1, v1, s[0:1] offset:1536
	s_add_u32 s2, s2, s15
	s_addc_u32 s3, s4, s3
	s_mov_b32 s21, 0
	s_load_b32 s10, s[2:3], 0x740
	s_mov_b32 s23, s21
	s_mov_b32 s25, s21
	s_waitcnt lgkmcnt(0)
	s_ashr_i32 s11, s10, 31
	s_delay_alu instid0(SALU_CYCLE_1) | instskip(SKIP_2) | instid1(VALU_DEP_1)
	s_lshl_b64 s[8:9], s[10:11], 19
	s_waitcnt vmcnt(0)
	v_readfirstlane_b32 s2, v1
	s_lshl_b32 s2, s2, 3
	s_clause 0x3
	s_load_b64 s[4:5], s[0:1], s2 offset:0x0
	s_load_b64 s[16:17], s[0:1], s2 offset:0x200
	;; [unrolled: 1-line block ×3, first 2 shown]
	s_load_b64 s[6:7], s[0:1], 0xc50
	s_mov_b32 s2, -1
	s_waitcnt lgkmcnt(0)
	s_add_u32 s3, s4, s8
	s_addc_u32 s12, s5, s9
	s_add_u32 s13, s16, s8
	s_addc_u32 s14, s17, s9
	s_and_b32 s22, s3, 31
	s_and_b32 s24, s18, 3
	;; [unrolled: 1-line block ×3, first 2 shown]
	s_or_b64 s[22:23], s[22:23], s[24:25]
	s_lshl_b64 s[10:11], s[10:11], 16
	s_or_b64 s[20:21], s[20:21], s[22:23]
	s_sub_u32 s10, s18, s10
	s_subb_u32 s11, s19, s11
	s_cmp_eq_u64 s[20:21], 0
	s_cbranch_scc0 .LBB80_37
; %bb.1:
	v_dual_mov_b32 v18, 0 :: v_dual_lshlrev_b32 v17, 2, v0
	s_mov_b32 s15, exec_lo
	s_delay_alu instid0(VALU_DEP_1)
	v_cmpx_gt_i64_e64 s[10:11], v[17:18]
	s_cbranch_execz .LBB80_36
; %bb.2:
	s_load_b32 s2, s[0:1], 0xc64
	v_lshlrev_b32_e32 v21, 5, v0
	s_mov_b32 s18, 0
	s_waitcnt lgkmcnt(0)
	s_and_b32 s2, s2, 0xffff
	s_delay_alu instid0(SALU_CYCLE_1)
	v_add_lshl_u32 v17, v0, s2, 2
	s_lshl_b32 s19, s2, 2
	s_lshl_b32 s20, s2, 5
	s_branch .LBB80_4
.LBB80_3:                               ;   in Loop: Header=BB80_4 Depth=1
	s_or_b32 exec_lo, exec_lo, s2
	v_cmp_le_i64_e32 vcc_lo, s[10:11], v[17:18]
	v_cmp_lt_u64_e64 s2, 0xffff, v[17:18]
	s_clause 0x1
	global_store_b128 v[19:20], v[5:8], off
	global_store_b128 v[19:20], v[9:12], off offset:16
	s_or_b32 s2, vcc_lo, s2
	s_add_u32 s3, s3, s20
	v_add_co_u32 v17, vcc_lo, v17, s19
	s_addc_u32 s12, s12, 0
	s_add_u32 s13, s13, s20
	v_add_co_ci_u32_e32 v18, vcc_lo, 0, v18, vcc_lo
	s_addc_u32 s14, s14, 0
	s_and_b32 s2, exec_lo, s2
	s_delay_alu instid0(SALU_CYCLE_1) | instskip(NEXT) | instid1(SALU_CYCLE_1)
	s_or_b32 s18, s2, s18
	s_and_not1_b32 exec_lo, exec_lo, s18
	s_cbranch_execz .LBB80_36
.LBB80_4:                               ; =>This Inner Loop Header: Depth=1
	v_add_co_u32 v1, s2, s13, v21
	s_delay_alu instid0(VALU_DEP_1) | instskip(SKIP_1) | instid1(VALU_DEP_1)
	v_add_co_ci_u32_e64 v2, null, s14, 0, s2
	v_add_co_u32 v19, s2, s3, v21
	v_add_co_ci_u32_e64 v20, null, s12, 0, s2
	s_clause 0x1
	global_load_b128 v[5:8], v[1:2], off
	global_load_b128 v[9:12], v[1:2], off offset:16
	s_clause 0x1
	global_load_b128 v[1:4], v[19:20], off offset:16
	global_load_b128 v[13:16], v[19:20], off
	s_mov_b32 s2, exec_lo
	s_waitcnt vmcnt(3)
	v_mul_f32_e32 v22, s6, v6
	v_mul_f32_e32 v23, s7, v6
                                        ; implicit-def: $vgpr6
	s_delay_alu instid0(VALU_DEP_2) | instskip(NEXT) | instid1(VALU_DEP_2)
	v_fmac_f32_e32 v22, s7, v5
	v_fma_f32 v23, v5, s6, -v23
	s_delay_alu instid0(VALU_DEP_1) | instskip(SKIP_1) | instid1(VALU_DEP_4)
	v_cmp_gt_f32_e32 vcc_lo, 0, v23
	v_cndmask_b32_e64 v24, v23, -v23, vcc_lo
	v_cmp_gt_f32_e32 vcc_lo, 0, v22
	v_cndmask_b32_e64 v25, v22, -v22, vcc_lo
	s_delay_alu instid0(VALU_DEP_1)
	v_cmpx_ge_f32_e32 v24, v25
	s_xor_b32 s21, exec_lo, s2
	s_cbranch_execz .LBB80_10
; %bb.5:                                ;   in Loop: Header=BB80_4 Depth=1
	v_cmp_neq_f32_e32 vcc_lo, 0, v23
	v_cmp_neq_f32_e64 s2, 0, v22
                                        ; implicit-def: $vgpr6
	s_delay_alu instid0(VALU_DEP_1) | instskip(NEXT) | instid1(SALU_CYCLE_1)
	s_or_b32 s2, vcc_lo, s2
	s_and_saveexec_b32 s22, s2
	s_delay_alu instid0(SALU_CYCLE_1)
	s_xor_b32 s2, exec_lo, s22
	s_cbranch_execz .LBB80_7
; %bb.6:                                ;   in Loop: Header=BB80_4 Depth=1
	v_div_scale_f32 v5, null, v23, v23, v22
	v_div_scale_f32 v25, vcc_lo, v22, v23, v22
	s_delay_alu instid0(VALU_DEP_2) | instskip(SKIP_2) | instid1(VALU_DEP_1)
	v_rcp_f32_e32 v6, v5
	s_waitcnt_depctr 0xfff
	v_fma_f32 v24, -v5, v6, 1.0
	v_fmac_f32_e32 v6, v24, v6
	s_delay_alu instid0(VALU_DEP_1) | instskip(NEXT) | instid1(VALU_DEP_1)
	v_mul_f32_e32 v24, v25, v6
	v_fma_f32 v26, -v5, v24, v25
	s_delay_alu instid0(VALU_DEP_1) | instskip(NEXT) | instid1(VALU_DEP_1)
	v_fmac_f32_e32 v24, v26, v6
	v_fma_f32 v5, -v5, v24, v25
	s_delay_alu instid0(VALU_DEP_1) | instskip(NEXT) | instid1(VALU_DEP_1)
	v_div_fmas_f32 v5, v5, v6, v24
	v_div_fixup_f32 v5, v5, v23, v22
	s_delay_alu instid0(VALU_DEP_1) | instskip(NEXT) | instid1(VALU_DEP_1)
	v_fmac_f32_e32 v23, v22, v5
	v_div_scale_f32 v6, null, v23, v23, 1.0
	v_div_scale_f32 v25, vcc_lo, 1.0, v23, 1.0
	s_delay_alu instid0(VALU_DEP_2) | instskip(SKIP_2) | instid1(VALU_DEP_1)
	v_rcp_f32_e32 v22, v6
	s_waitcnt_depctr 0xfff
	v_fma_f32 v24, -v6, v22, 1.0
	v_fmac_f32_e32 v22, v24, v22
	s_delay_alu instid0(VALU_DEP_1) | instskip(NEXT) | instid1(VALU_DEP_1)
	v_mul_f32_e32 v24, v25, v22
	v_fma_f32 v26, -v6, v24, v25
	s_delay_alu instid0(VALU_DEP_1) | instskip(NEXT) | instid1(VALU_DEP_1)
	v_fmac_f32_e32 v24, v26, v22
	v_fma_f32 v6, -v6, v24, v25
                                        ; implicit-def: $vgpr25
	s_delay_alu instid0(VALU_DEP_1) | instskip(SKIP_2) | instid1(VALU_DEP_2)
	v_div_fmas_f32 v6, v6, v22, v24
	s_waitcnt vmcnt(0)
	v_fma_f32 v22, v14, v5, v13
                                        ; implicit-def: $vgpr24
	v_div_fixup_f32 v6, v6, v23, 1.0
	v_fma_f32 v23, -v13, v5, v14
	s_delay_alu instid0(VALU_DEP_2) | instskip(NEXT) | instid1(VALU_DEP_2)
	v_mul_f32_e32 v5, v22, v6
	v_mul_f32_e32 v6, v23, v6
.LBB80_7:                               ;   in Loop: Header=BB80_4 Depth=1
	s_and_not1_saveexec_b32 s22, s2
	s_cbranch_execz .LBB80_9
; %bb.8:                                ;   in Loop: Header=BB80_4 Depth=1
	s_waitcnt vmcnt(0)
	v_div_scale_f32 v5, null, v24, v24, v13
	v_div_scale_f32 v6, null, v25, v25, v14
	v_div_scale_f32 v28, vcc_lo, v13, v24, v13
	s_delay_alu instid0(VALU_DEP_3) | instskip(NEXT) | instid1(VALU_DEP_2)
	v_rcp_f32_e32 v22, v5
	v_rcp_f32_e32 v23, v6
	s_waitcnt_depctr 0xfff
	v_fma_f32 v26, -v5, v22, 1.0
	v_fma_f32 v27, -v6, v23, 1.0
	s_delay_alu instid0(VALU_DEP_1) | instskip(SKIP_1) | instid1(VALU_DEP_2)
	v_dual_fmac_f32 v22, v26, v22 :: v_dual_fmac_f32 v23, v27, v23
	v_div_scale_f32 v26, s2, v14, v25, v14
	v_mul_f32_e32 v27, v28, v22
	s_delay_alu instid0(VALU_DEP_2) | instskip(NEXT) | instid1(VALU_DEP_2)
	v_mul_f32_e32 v29, v26, v23
	v_fma_f32 v30, -v5, v27, v28
	s_delay_alu instid0(VALU_DEP_2) | instskip(NEXT) | instid1(VALU_DEP_2)
	v_fma_f32 v31, -v6, v29, v26
	v_fmac_f32_e32 v27, v30, v22
	s_delay_alu instid0(VALU_DEP_2) | instskip(NEXT) | instid1(VALU_DEP_2)
	v_fmac_f32_e32 v29, v31, v23
	v_fma_f32 v5, -v5, v27, v28
	s_delay_alu instid0(VALU_DEP_2) | instskip(NEXT) | instid1(VALU_DEP_2)
	v_fma_f32 v6, -v6, v29, v26
	v_div_fmas_f32 v5, v5, v22, v27
	s_mov_b32 vcc_lo, s2
	s_delay_alu instid0(VALU_DEP_2) | instskip(NEXT) | instid1(VALU_DEP_2)
	v_div_fmas_f32 v6, v6, v23, v29
	v_div_fixup_f32 v5, v5, v24, v13
	s_delay_alu instid0(VALU_DEP_2)
	v_div_fixup_f32 v6, v6, v25, v14
.LBB80_9:                               ;   in Loop: Header=BB80_4 Depth=1
	s_or_b32 exec_lo, exec_lo, s22
                                        ; implicit-def: $vgpr22
                                        ; implicit-def: $vgpr23
.LBB80_10:                              ;   in Loop: Header=BB80_4 Depth=1
	s_and_not1_saveexec_b32 s2, s21
	s_cbranch_execz .LBB80_12
; %bb.11:                               ;   in Loop: Header=BB80_4 Depth=1
	v_div_scale_f32 v5, null, v22, v22, v23
	v_div_scale_f32 v25, vcc_lo, v23, v22, v23
	s_delay_alu instid0(VALU_DEP_2) | instskip(SKIP_2) | instid1(VALU_DEP_1)
	v_rcp_f32_e32 v6, v5
	s_waitcnt_depctr 0xfff
	v_fma_f32 v24, -v5, v6, 1.0
	v_fmac_f32_e32 v6, v24, v6
	s_delay_alu instid0(VALU_DEP_1) | instskip(NEXT) | instid1(VALU_DEP_1)
	v_mul_f32_e32 v24, v25, v6
	v_fma_f32 v26, -v5, v24, v25
	s_delay_alu instid0(VALU_DEP_1) | instskip(NEXT) | instid1(VALU_DEP_1)
	v_fmac_f32_e32 v24, v26, v6
	v_fma_f32 v5, -v5, v24, v25
	s_delay_alu instid0(VALU_DEP_1) | instskip(NEXT) | instid1(VALU_DEP_1)
	v_div_fmas_f32 v5, v5, v6, v24
	v_div_fixup_f32 v5, v5, v22, v23
	s_delay_alu instid0(VALU_DEP_1) | instskip(NEXT) | instid1(VALU_DEP_1)
	v_fmac_f32_e32 v22, v23, v5
	v_div_scale_f32 v6, null, v22, v22, 1.0
	s_delay_alu instid0(VALU_DEP_1) | instskip(SKIP_2) | instid1(VALU_DEP_1)
	v_rcp_f32_e32 v23, v6
	s_waitcnt_depctr 0xfff
	v_fma_f32 v24, -v6, v23, 1.0
	v_fmac_f32_e32 v23, v24, v23
	v_div_scale_f32 v25, vcc_lo, 1.0, v22, 1.0
	s_delay_alu instid0(VALU_DEP_1) | instskip(NEXT) | instid1(VALU_DEP_1)
	v_mul_f32_e32 v24, v25, v23
	v_fma_f32 v26, -v6, v24, v25
	s_delay_alu instid0(VALU_DEP_1) | instskip(NEXT) | instid1(VALU_DEP_1)
	v_fmac_f32_e32 v24, v26, v23
	v_fma_f32 v6, -v6, v24, v25
	s_delay_alu instid0(VALU_DEP_1) | instskip(SKIP_3) | instid1(VALU_DEP_3)
	v_div_fmas_f32 v6, v6, v23, v24
	s_waitcnt vmcnt(0)
	v_fma_f32 v23, v13, v5, v14
	v_fma_f32 v13, v14, v5, -v13
	v_div_fixup_f32 v6, v6, v22, 1.0
	s_delay_alu instid0(VALU_DEP_1) | instskip(NEXT) | instid1(VALU_DEP_3)
	v_mul_f32_e32 v5, v23, v6
	v_mul_f32_e32 v6, v13, v6
.LBB80_12:                              ;   in Loop: Header=BB80_4 Depth=1
	s_or_b32 exec_lo, exec_lo, s2
	v_mul_f32_e32 v22, s6, v8
	s_waitcnt vmcnt(0)
	v_mul_f32_e32 v13, s7, v8
	s_mov_b32 s2, exec_lo
	s_delay_alu instid0(VALU_DEP_2) | instskip(NEXT) | instid1(VALU_DEP_2)
	v_fmac_f32_e32 v22, s7, v7
	v_fma_f32 v23, v7, s6, -v13
	s_delay_alu instid0(VALU_DEP_1) | instskip(SKIP_1) | instid1(VALU_DEP_4)
	v_cmp_gt_f32_e32 vcc_lo, 0, v23
	v_cndmask_b32_e64 v24, v23, -v23, vcc_lo
	v_cmp_gt_f32_e32 vcc_lo, 0, v22
	v_cndmask_b32_e64 v13, v22, -v22, vcc_lo
	s_delay_alu instid0(VALU_DEP_1)
	v_cmpx_ge_f32_e32 v24, v13
	s_xor_b32 s21, exec_lo, s2
	s_cbranch_execz .LBB80_18
; %bb.13:                               ;   in Loop: Header=BB80_4 Depth=1
	v_cmp_neq_f32_e32 vcc_lo, 0, v23
	v_cmp_neq_f32_e64 s2, 0, v22
	s_delay_alu instid0(VALU_DEP_1) | instskip(NEXT) | instid1(SALU_CYCLE_1)
	s_or_b32 s2, vcc_lo, s2
	s_and_saveexec_b32 s22, s2
	s_delay_alu instid0(SALU_CYCLE_1)
	s_xor_b32 s2, exec_lo, s22
	s_cbranch_execz .LBB80_15
; %bb.14:                               ;   in Loop: Header=BB80_4 Depth=1
	v_div_scale_f32 v7, null, v23, v23, v22
	v_div_scale_f32 v14, vcc_lo, v22, v23, v22
	s_delay_alu instid0(VALU_DEP_2) | instskip(SKIP_2) | instid1(VALU_DEP_1)
	v_rcp_f32_e32 v8, v7
	s_waitcnt_depctr 0xfff
	v_fma_f32 v13, -v7, v8, 1.0
	v_fmac_f32_e32 v8, v13, v8
	s_delay_alu instid0(VALU_DEP_1) | instskip(NEXT) | instid1(VALU_DEP_1)
	v_mul_f32_e32 v13, v14, v8
	v_fma_f32 v24, -v7, v13, v14
	s_delay_alu instid0(VALU_DEP_1) | instskip(NEXT) | instid1(VALU_DEP_1)
	v_fmac_f32_e32 v13, v24, v8
	v_fma_f32 v7, -v7, v13, v14
	s_delay_alu instid0(VALU_DEP_1) | instskip(NEXT) | instid1(VALU_DEP_1)
	v_div_fmas_f32 v7, v7, v8, v13
	v_div_fixup_f32 v7, v7, v23, v22
	s_delay_alu instid0(VALU_DEP_1) | instskip(NEXT) | instid1(VALU_DEP_1)
	v_fmac_f32_e32 v23, v22, v7
	v_div_scale_f32 v8, null, v23, v23, 1.0
	v_div_scale_f32 v22, vcc_lo, 1.0, v23, 1.0
	s_delay_alu instid0(VALU_DEP_2) | instskip(SKIP_2) | instid1(VALU_DEP_1)
	v_rcp_f32_e32 v13, v8
	s_waitcnt_depctr 0xfff
	v_fma_f32 v14, -v8, v13, 1.0
	v_fmac_f32_e32 v13, v14, v13
	s_delay_alu instid0(VALU_DEP_1) | instskip(NEXT) | instid1(VALU_DEP_1)
	v_mul_f32_e32 v14, v22, v13
	v_fma_f32 v24, -v8, v14, v22
	s_delay_alu instid0(VALU_DEP_1) | instskip(NEXT) | instid1(VALU_DEP_1)
	v_fmac_f32_e32 v14, v24, v13
                                        ; implicit-def: $vgpr24
	v_fma_f32 v8, -v8, v14, v22
	s_delay_alu instid0(VALU_DEP_1) | instskip(SKIP_2) | instid1(VALU_DEP_3)
	v_div_fmas_f32 v8, v8, v13, v14
	v_fma_f32 v13, v16, v7, v15
	v_fma_f32 v14, -v15, v7, v16
	v_div_fixup_f32 v8, v8, v23, 1.0
	s_delay_alu instid0(VALU_DEP_1) | instskip(NEXT) | instid1(VALU_DEP_3)
	v_mul_f32_e32 v7, v13, v8
	v_mul_f32_e32 v8, v14, v8
                                        ; implicit-def: $vgpr13_vgpr14_vgpr15_vgpr16
                                        ; implicit-def: $vgpr13
.LBB80_15:                              ;   in Loop: Header=BB80_4 Depth=1
	s_and_not1_saveexec_b32 s22, s2
	s_cbranch_execz .LBB80_17
; %bb.16:                               ;   in Loop: Header=BB80_4 Depth=1
	v_div_scale_f32 v7, null, v24, v24, v15
	v_div_scale_f32 v8, null, v13, v13, v16
	v_div_scale_f32 v26, vcc_lo, v15, v24, v15
	s_delay_alu instid0(VALU_DEP_3) | instskip(NEXT) | instid1(VALU_DEP_2)
	v_rcp_f32_e32 v14, v7
	v_rcp_f32_e32 v22, v8
	s_waitcnt_depctr 0xfff
	v_fma_f32 v23, -v7, v14, 1.0
	v_fma_f32 v25, -v8, v22, 1.0
	s_delay_alu instid0(VALU_DEP_2) | instskip(SKIP_1) | instid1(VALU_DEP_3)
	v_fmac_f32_e32 v14, v23, v14
	v_div_scale_f32 v23, s2, v16, v13, v16
	v_fmac_f32_e32 v22, v25, v22
	s_delay_alu instid0(VALU_DEP_3) | instskip(NEXT) | instid1(VALU_DEP_2)
	v_mul_f32_e32 v25, v26, v14
	v_mul_f32_e32 v27, v23, v22
	s_delay_alu instid0(VALU_DEP_2) | instskip(NEXT) | instid1(VALU_DEP_2)
	v_fma_f32 v28, -v7, v25, v26
	v_fma_f32 v29, -v8, v27, v23
	s_delay_alu instid0(VALU_DEP_2) | instskip(NEXT) | instid1(VALU_DEP_2)
	v_fmac_f32_e32 v25, v28, v14
	v_fmac_f32_e32 v27, v29, v22
	s_delay_alu instid0(VALU_DEP_2) | instskip(NEXT) | instid1(VALU_DEP_2)
	v_fma_f32 v7, -v7, v25, v26
	v_fma_f32 v8, -v8, v27, v23
	s_delay_alu instid0(VALU_DEP_2) | instskip(SKIP_1) | instid1(VALU_DEP_2)
	v_div_fmas_f32 v7, v7, v14, v25
	s_mov_b32 vcc_lo, s2
	v_div_fmas_f32 v8, v8, v22, v27
	s_delay_alu instid0(VALU_DEP_2) | instskip(NEXT) | instid1(VALU_DEP_2)
	v_div_fixup_f32 v7, v7, v24, v15
	v_div_fixup_f32 v8, v8, v13, v16
.LBB80_17:                              ;   in Loop: Header=BB80_4 Depth=1
	s_or_b32 exec_lo, exec_lo, s22
                                        ; implicit-def: $vgpr22
                                        ; implicit-def: $vgpr23
                                        ; implicit-def: $vgpr13_vgpr14_vgpr15_vgpr16
.LBB80_18:                              ;   in Loop: Header=BB80_4 Depth=1
	s_and_not1_saveexec_b32 s2, s21
	s_cbranch_execz .LBB80_20
; %bb.19:                               ;   in Loop: Header=BB80_4 Depth=1
	v_div_scale_f32 v7, null, v22, v22, v23
	v_div_scale_f32 v14, vcc_lo, v23, v22, v23
	s_delay_alu instid0(VALU_DEP_2) | instskip(SKIP_2) | instid1(VALU_DEP_1)
	v_rcp_f32_e32 v8, v7
	s_waitcnt_depctr 0xfff
	v_fma_f32 v13, -v7, v8, 1.0
	v_fmac_f32_e32 v8, v13, v8
	s_delay_alu instid0(VALU_DEP_1) | instskip(NEXT) | instid1(VALU_DEP_1)
	v_mul_f32_e32 v13, v14, v8
	v_fma_f32 v24, -v7, v13, v14
	s_delay_alu instid0(VALU_DEP_1) | instskip(NEXT) | instid1(VALU_DEP_1)
	v_fmac_f32_e32 v13, v24, v8
	v_fma_f32 v7, -v7, v13, v14
	s_delay_alu instid0(VALU_DEP_1) | instskip(NEXT) | instid1(VALU_DEP_1)
	v_div_fmas_f32 v7, v7, v8, v13
	v_div_fixup_f32 v7, v7, v22, v23
	s_delay_alu instid0(VALU_DEP_1) | instskip(NEXT) | instid1(VALU_DEP_1)
	v_fmac_f32_e32 v22, v23, v7
	v_div_scale_f32 v8, null, v22, v22, 1.0
	v_div_scale_f32 v23, vcc_lo, 1.0, v22, 1.0
	s_delay_alu instid0(VALU_DEP_2) | instskip(SKIP_2) | instid1(VALU_DEP_1)
	v_rcp_f32_e32 v13, v8
	s_waitcnt_depctr 0xfff
	v_fma_f32 v14, -v8, v13, 1.0
	v_fmac_f32_e32 v13, v14, v13
	s_delay_alu instid0(VALU_DEP_1) | instskip(NEXT) | instid1(VALU_DEP_1)
	v_mul_f32_e32 v14, v23, v13
	v_fma_f32 v24, -v8, v14, v23
	s_delay_alu instid0(VALU_DEP_1) | instskip(NEXT) | instid1(VALU_DEP_1)
	v_fmac_f32_e32 v14, v24, v13
	v_fma_f32 v8, -v8, v14, v23
	s_delay_alu instid0(VALU_DEP_1) | instskip(SKIP_2) | instid1(VALU_DEP_3)
	v_div_fmas_f32 v8, v8, v13, v14
	v_fma_f32 v13, v15, v7, v16
	v_fma_f32 v14, v16, v7, -v15
	v_div_fixup_f32 v8, v8, v22, 1.0
	s_delay_alu instid0(VALU_DEP_1) | instskip(NEXT) | instid1(VALU_DEP_3)
	v_mul_f32_e32 v7, v13, v8
	v_mul_f32_e32 v8, v14, v8
.LBB80_20:                              ;   in Loop: Header=BB80_4 Depth=1
	s_or_b32 exec_lo, exec_lo, s2
	v_mul_f32_e32 v13, s6, v10
	v_mul_f32_e32 v14, s7, v10
                                        ; implicit-def: $vgpr10
	s_mov_b32 s2, exec_lo
	s_delay_alu instid0(VALU_DEP_2) | instskip(NEXT) | instid1(VALU_DEP_2)
	v_fmac_f32_e32 v13, s7, v9
	v_fma_f32 v14, v9, s6, -v14
	s_delay_alu instid0(VALU_DEP_1) | instskip(SKIP_1) | instid1(VALU_DEP_4)
	v_cmp_gt_f32_e32 vcc_lo, 0, v14
	v_cndmask_b32_e64 v15, v14, -v14, vcc_lo
	v_cmp_gt_f32_e32 vcc_lo, 0, v13
	v_cndmask_b32_e64 v16, v13, -v13, vcc_lo
	s_delay_alu instid0(VALU_DEP_1)
	v_cmpx_ge_f32_e32 v15, v16
	s_xor_b32 s21, exec_lo, s2
	s_cbranch_execz .LBB80_26
; %bb.21:                               ;   in Loop: Header=BB80_4 Depth=1
	v_cmp_neq_f32_e32 vcc_lo, 0, v14
	v_cmp_neq_f32_e64 s2, 0, v13
                                        ; implicit-def: $vgpr10
	s_delay_alu instid0(VALU_DEP_1) | instskip(NEXT) | instid1(SALU_CYCLE_1)
	s_or_b32 s2, vcc_lo, s2
	s_and_saveexec_b32 s22, s2
	s_delay_alu instid0(SALU_CYCLE_1)
	s_xor_b32 s2, exec_lo, s22
	s_cbranch_execz .LBB80_23
; %bb.22:                               ;   in Loop: Header=BB80_4 Depth=1
	v_div_scale_f32 v9, null, v14, v14, v13
	v_div_scale_f32 v16, vcc_lo, v13, v14, v13
	s_delay_alu instid0(VALU_DEP_2) | instskip(SKIP_2) | instid1(VALU_DEP_1)
	v_rcp_f32_e32 v10, v9
	s_waitcnt_depctr 0xfff
	v_fma_f32 v15, -v9, v10, 1.0
	v_fmac_f32_e32 v10, v15, v10
	s_delay_alu instid0(VALU_DEP_1) | instskip(NEXT) | instid1(VALU_DEP_1)
	v_mul_f32_e32 v15, v16, v10
	v_fma_f32 v22, -v9, v15, v16
	s_delay_alu instid0(VALU_DEP_1) | instskip(NEXT) | instid1(VALU_DEP_1)
	v_fmac_f32_e32 v15, v22, v10
	v_fma_f32 v9, -v9, v15, v16
	s_delay_alu instid0(VALU_DEP_1) | instskip(NEXT) | instid1(VALU_DEP_1)
	v_div_fmas_f32 v9, v9, v10, v15
	v_div_fixup_f32 v9, v9, v14, v13
	s_delay_alu instid0(VALU_DEP_1) | instskip(NEXT) | instid1(VALU_DEP_1)
	v_fmac_f32_e32 v14, v13, v9
	v_div_scale_f32 v10, null, v14, v14, 1.0
	v_div_scale_f32 v16, vcc_lo, 1.0, v14, 1.0
	s_delay_alu instid0(VALU_DEP_2) | instskip(SKIP_2) | instid1(VALU_DEP_1)
	v_rcp_f32_e32 v13, v10
	s_waitcnt_depctr 0xfff
	v_fma_f32 v15, -v10, v13, 1.0
	v_fmac_f32_e32 v13, v15, v13
	s_delay_alu instid0(VALU_DEP_1) | instskip(NEXT) | instid1(VALU_DEP_1)
	v_mul_f32_e32 v15, v16, v13
	v_fma_f32 v22, -v10, v15, v16
	s_delay_alu instid0(VALU_DEP_1) | instskip(NEXT) | instid1(VALU_DEP_1)
	v_fmac_f32_e32 v15, v22, v13
	v_fma_f32 v10, -v10, v15, v16
                                        ; implicit-def: $vgpr16
	s_delay_alu instid0(VALU_DEP_1) | instskip(SKIP_1) | instid1(VALU_DEP_2)
	v_div_fmas_f32 v10, v10, v13, v15
	v_fma_f32 v13, v2, v9, v1
                                        ; implicit-def: $vgpr15
	v_div_fixup_f32 v10, v10, v14, 1.0
	v_fma_f32 v14, -v1, v9, v2
	s_delay_alu instid0(VALU_DEP_2) | instskip(NEXT) | instid1(VALU_DEP_2)
	v_mul_f32_e32 v9, v13, v10
	v_mul_f32_e32 v10, v14, v10
.LBB80_23:                              ;   in Loop: Header=BB80_4 Depth=1
	s_and_not1_saveexec_b32 s22, s2
	s_cbranch_execz .LBB80_25
; %bb.24:                               ;   in Loop: Header=BB80_4 Depth=1
	v_div_scale_f32 v9, null, v15, v15, v1
	v_div_scale_f32 v10, null, v16, v16, v2
	v_div_scale_f32 v24, vcc_lo, v1, v15, v1
	s_delay_alu instid0(VALU_DEP_3) | instskip(NEXT) | instid1(VALU_DEP_2)
	v_rcp_f32_e32 v13, v9
	v_rcp_f32_e32 v14, v10
	s_waitcnt_depctr 0xfff
	v_fma_f32 v22, -v9, v13, 1.0
	v_fma_f32 v23, -v10, v14, 1.0
	s_delay_alu instid0(VALU_DEP_1) | instskip(SKIP_1) | instid1(VALU_DEP_2)
	v_dual_fmac_f32 v13, v22, v13 :: v_dual_fmac_f32 v14, v23, v14
	v_div_scale_f32 v22, s2, v2, v16, v2
	v_mul_f32_e32 v23, v24, v13
	s_delay_alu instid0(VALU_DEP_2) | instskip(NEXT) | instid1(VALU_DEP_2)
	v_mul_f32_e32 v25, v22, v14
	v_fma_f32 v26, -v9, v23, v24
	s_delay_alu instid0(VALU_DEP_2) | instskip(NEXT) | instid1(VALU_DEP_2)
	v_fma_f32 v27, -v10, v25, v22
	v_fmac_f32_e32 v23, v26, v13
	s_delay_alu instid0(VALU_DEP_2) | instskip(NEXT) | instid1(VALU_DEP_2)
	v_fmac_f32_e32 v25, v27, v14
	v_fma_f32 v9, -v9, v23, v24
	s_delay_alu instid0(VALU_DEP_2) | instskip(NEXT) | instid1(VALU_DEP_2)
	v_fma_f32 v10, -v10, v25, v22
	v_div_fmas_f32 v9, v9, v13, v23
	s_mov_b32 vcc_lo, s2
	s_delay_alu instid0(VALU_DEP_2) | instskip(NEXT) | instid1(VALU_DEP_2)
	v_div_fmas_f32 v10, v10, v14, v25
	v_div_fixup_f32 v9, v9, v15, v1
	s_delay_alu instid0(VALU_DEP_2)
	v_div_fixup_f32 v10, v10, v16, v2
.LBB80_25:                              ;   in Loop: Header=BB80_4 Depth=1
	s_or_b32 exec_lo, exec_lo, s22
                                        ; implicit-def: $vgpr13
                                        ; implicit-def: $vgpr14
.LBB80_26:                              ;   in Loop: Header=BB80_4 Depth=1
	s_and_not1_saveexec_b32 s2, s21
	s_cbranch_execz .LBB80_28
; %bb.27:                               ;   in Loop: Header=BB80_4 Depth=1
	v_div_scale_f32 v9, null, v13, v13, v14
	v_div_scale_f32 v16, vcc_lo, v14, v13, v14
	s_delay_alu instid0(VALU_DEP_2) | instskip(SKIP_2) | instid1(VALU_DEP_1)
	v_rcp_f32_e32 v10, v9
	s_waitcnt_depctr 0xfff
	v_fma_f32 v15, -v9, v10, 1.0
	v_fmac_f32_e32 v10, v15, v10
	s_delay_alu instid0(VALU_DEP_1) | instskip(NEXT) | instid1(VALU_DEP_1)
	v_mul_f32_e32 v15, v16, v10
	v_fma_f32 v22, -v9, v15, v16
	s_delay_alu instid0(VALU_DEP_1) | instskip(NEXT) | instid1(VALU_DEP_1)
	v_fmac_f32_e32 v15, v22, v10
	v_fma_f32 v9, -v9, v15, v16
	s_delay_alu instid0(VALU_DEP_1) | instskip(NEXT) | instid1(VALU_DEP_1)
	v_div_fmas_f32 v9, v9, v10, v15
	v_div_fixup_f32 v9, v9, v13, v14
	s_delay_alu instid0(VALU_DEP_1) | instskip(NEXT) | instid1(VALU_DEP_1)
	v_fmac_f32_e32 v13, v14, v9
	v_div_scale_f32 v10, null, v13, v13, 1.0
	v_div_scale_f32 v16, vcc_lo, 1.0, v13, 1.0
	s_delay_alu instid0(VALU_DEP_2) | instskip(SKIP_2) | instid1(VALU_DEP_1)
	v_rcp_f32_e32 v14, v10
	s_waitcnt_depctr 0xfff
	v_fma_f32 v15, -v10, v14, 1.0
	v_fmac_f32_e32 v14, v15, v14
	s_delay_alu instid0(VALU_DEP_1) | instskip(NEXT) | instid1(VALU_DEP_1)
	v_mul_f32_e32 v15, v16, v14
	v_fma_f32 v22, -v10, v15, v16
	s_delay_alu instid0(VALU_DEP_1) | instskip(NEXT) | instid1(VALU_DEP_1)
	v_fmac_f32_e32 v15, v22, v14
	v_fma_f32 v10, -v10, v15, v16
	s_delay_alu instid0(VALU_DEP_1) | instskip(SKIP_2) | instid1(VALU_DEP_3)
	v_div_fmas_f32 v10, v10, v14, v15
	v_fma_f32 v14, v1, v9, v2
	v_fma_f32 v1, v2, v9, -v1
	v_div_fixup_f32 v10, v10, v13, 1.0
	s_delay_alu instid0(VALU_DEP_1) | instskip(NEXT) | instid1(VALU_DEP_3)
	v_mul_f32_e32 v9, v14, v10
	v_mul_f32_e32 v10, v1, v10
.LBB80_28:                              ;   in Loop: Header=BB80_4 Depth=1
	s_or_b32 exec_lo, exec_lo, s2
	v_mul_f32_e32 v1, s7, v12
	v_mul_f32_e32 v13, s6, v12
	s_mov_b32 s2, exec_lo
	s_delay_alu instid0(VALU_DEP_2) | instskip(NEXT) | instid1(VALU_DEP_2)
	v_fma_f32 v14, v11, s6, -v1
	v_fmac_f32_e32 v13, s7, v11
	s_delay_alu instid0(VALU_DEP_2) | instskip(SKIP_1) | instid1(VALU_DEP_3)
	v_cmp_gt_f32_e32 vcc_lo, 0, v14
	v_cndmask_b32_e64 v15, v14, -v14, vcc_lo
	v_cmp_gt_f32_e32 vcc_lo, 0, v13
	v_cndmask_b32_e64 v1, v13, -v13, vcc_lo
	s_delay_alu instid0(VALU_DEP_1)
	v_cmpx_ge_f32_e32 v15, v1
	s_xor_b32 s21, exec_lo, s2
	s_cbranch_execz .LBB80_34
; %bb.29:                               ;   in Loop: Header=BB80_4 Depth=1
	v_cmp_neq_f32_e32 vcc_lo, 0, v14
	v_cmp_neq_f32_e64 s2, 0, v13
	s_delay_alu instid0(VALU_DEP_1) | instskip(NEXT) | instid1(SALU_CYCLE_1)
	s_or_b32 s2, vcc_lo, s2
	s_and_saveexec_b32 s22, s2
	s_delay_alu instid0(SALU_CYCLE_1)
	s_xor_b32 s2, exec_lo, s22
	s_cbranch_execz .LBB80_31
; %bb.30:                               ;   in Loop: Header=BB80_4 Depth=1
	v_div_scale_f32 v1, null, v14, v14, v13
	v_div_scale_f32 v12, vcc_lo, v13, v14, v13
	s_delay_alu instid0(VALU_DEP_2) | instskip(SKIP_2) | instid1(VALU_DEP_1)
	v_rcp_f32_e32 v2, v1
	s_waitcnt_depctr 0xfff
	v_fma_f32 v11, -v1, v2, 1.0
	v_fmac_f32_e32 v2, v11, v2
	s_delay_alu instid0(VALU_DEP_1) | instskip(NEXT) | instid1(VALU_DEP_1)
	v_mul_f32_e32 v11, v12, v2
	v_fma_f32 v15, -v1, v11, v12
	s_delay_alu instid0(VALU_DEP_1) | instskip(NEXT) | instid1(VALU_DEP_1)
	v_fmac_f32_e32 v11, v15, v2
	v_fma_f32 v1, -v1, v11, v12
	s_delay_alu instid0(VALU_DEP_1) | instskip(NEXT) | instid1(VALU_DEP_1)
	v_div_fmas_f32 v1, v1, v2, v11
	v_div_fixup_f32 v1, v1, v14, v13
	s_delay_alu instid0(VALU_DEP_1) | instskip(NEXT) | instid1(VALU_DEP_1)
	v_fmac_f32_e32 v14, v13, v1
	v_div_scale_f32 v2, null, v14, v14, 1.0
	v_div_scale_f32 v13, vcc_lo, 1.0, v14, 1.0
	s_delay_alu instid0(VALU_DEP_2) | instskip(SKIP_2) | instid1(VALU_DEP_1)
	v_rcp_f32_e32 v11, v2
	s_waitcnt_depctr 0xfff
	v_fma_f32 v12, -v2, v11, 1.0
	v_fmac_f32_e32 v11, v12, v11
	s_delay_alu instid0(VALU_DEP_1) | instskip(NEXT) | instid1(VALU_DEP_1)
	v_mul_f32_e32 v12, v13, v11
	v_fma_f32 v15, -v2, v12, v13
	s_delay_alu instid0(VALU_DEP_1) | instskip(NEXT) | instid1(VALU_DEP_1)
	v_fmac_f32_e32 v12, v15, v11
                                        ; implicit-def: $vgpr15
	v_fma_f32 v2, -v2, v12, v13
	s_delay_alu instid0(VALU_DEP_1) | instskip(SKIP_2) | instid1(VALU_DEP_3)
	v_div_fmas_f32 v2, v2, v11, v12
	v_fma_f32 v11, v4, v1, v3
	v_fma_f32 v1, -v3, v1, v4
	v_div_fixup_f32 v2, v2, v14, 1.0
	s_delay_alu instid0(VALU_DEP_1) | instskip(NEXT) | instid1(VALU_DEP_3)
	v_mul_f32_e32 v11, v11, v2
	v_mul_f32_e32 v12, v1, v2
                                        ; implicit-def: $vgpr1_vgpr2_vgpr3_vgpr4
                                        ; implicit-def: $vgpr1
.LBB80_31:                              ;   in Loop: Header=BB80_4 Depth=1
	s_and_not1_saveexec_b32 s22, s2
	s_cbranch_execz .LBB80_33
; %bb.32:                               ;   in Loop: Header=BB80_4 Depth=1
	v_div_scale_f32 v2, null, v15, v15, v3
	v_div_scale_f32 v11, null, v1, v1, v4
	v_div_scale_f32 v22, vcc_lo, v3, v15, v3
	s_delay_alu instid0(VALU_DEP_3) | instskip(NEXT) | instid1(VALU_DEP_2)
	v_rcp_f32_e32 v12, v2
	v_rcp_f32_e32 v13, v11
	s_waitcnt_depctr 0xfff
	v_fma_f32 v14, -v2, v12, 1.0
	v_fma_f32 v16, -v11, v13, 1.0
	s_delay_alu instid0(VALU_DEP_1) | instskip(SKIP_1) | instid1(VALU_DEP_1)
	v_dual_fmac_f32 v12, v14, v12 :: v_dual_fmac_f32 v13, v16, v13
	v_div_scale_f32 v14, s2, v4, v1, v4
	v_mul_f32_e32 v23, v14, v13
	s_delay_alu instid0(VALU_DEP_1) | instskip(NEXT) | instid1(VALU_DEP_1)
	v_fma_f32 v25, -v11, v23, v14
	v_dual_mul_f32 v16, v22, v12 :: v_dual_fmac_f32 v23, v25, v13
	s_delay_alu instid0(VALU_DEP_1) | instskip(NEXT) | instid1(VALU_DEP_2)
	v_fma_f32 v24, -v2, v16, v22
	v_fma_f32 v11, -v11, v23, v14
	s_delay_alu instid0(VALU_DEP_2) | instskip(NEXT) | instid1(VALU_DEP_1)
	v_fmac_f32_e32 v16, v24, v12
	v_fma_f32 v2, -v2, v16, v22
	s_delay_alu instid0(VALU_DEP_1) | instskip(SKIP_2) | instid1(VALU_DEP_2)
	v_div_fmas_f32 v2, v2, v12, v16
	s_mov_b32 vcc_lo, s2
	v_div_fmas_f32 v12, v11, v13, v23
	v_div_fixup_f32 v11, v2, v15, v3
	s_delay_alu instid0(VALU_DEP_2)
	v_div_fixup_f32 v12, v12, v1, v4
.LBB80_33:                              ;   in Loop: Header=BB80_4 Depth=1
	s_or_b32 exec_lo, exec_lo, s22
                                        ; implicit-def: $vgpr13
                                        ; implicit-def: $vgpr14
                                        ; implicit-def: $vgpr1_vgpr2_vgpr3_vgpr4
.LBB80_34:                              ;   in Loop: Header=BB80_4 Depth=1
	s_and_not1_saveexec_b32 s2, s21
	s_cbranch_execz .LBB80_3
; %bb.35:                               ;   in Loop: Header=BB80_4 Depth=1
	v_div_scale_f32 v1, null, v13, v13, v14
	v_div_scale_f32 v12, vcc_lo, v14, v13, v14
	s_delay_alu instid0(VALU_DEP_2) | instskip(SKIP_2) | instid1(VALU_DEP_1)
	v_rcp_f32_e32 v2, v1
	s_waitcnt_depctr 0xfff
	v_fma_f32 v11, -v1, v2, 1.0
	v_fmac_f32_e32 v2, v11, v2
	s_delay_alu instid0(VALU_DEP_1) | instskip(NEXT) | instid1(VALU_DEP_1)
	v_mul_f32_e32 v11, v12, v2
	v_fma_f32 v15, -v1, v11, v12
	s_delay_alu instid0(VALU_DEP_1) | instskip(NEXT) | instid1(VALU_DEP_1)
	v_fmac_f32_e32 v11, v15, v2
	v_fma_f32 v1, -v1, v11, v12
	s_delay_alu instid0(VALU_DEP_1) | instskip(NEXT) | instid1(VALU_DEP_1)
	v_div_fmas_f32 v1, v1, v2, v11
	v_div_fixup_f32 v1, v1, v13, v14
	s_delay_alu instid0(VALU_DEP_1) | instskip(NEXT) | instid1(VALU_DEP_1)
	v_fmac_f32_e32 v13, v14, v1
	v_div_scale_f32 v2, null, v13, v13, 1.0
	v_div_scale_f32 v14, vcc_lo, 1.0, v13, 1.0
	s_delay_alu instid0(VALU_DEP_2) | instskip(SKIP_2) | instid1(VALU_DEP_1)
	v_rcp_f32_e32 v11, v2
	s_waitcnt_depctr 0xfff
	v_fma_f32 v12, -v2, v11, 1.0
	v_fmac_f32_e32 v11, v12, v11
	s_delay_alu instid0(VALU_DEP_1) | instskip(NEXT) | instid1(VALU_DEP_1)
	v_mul_f32_e32 v12, v14, v11
	v_fma_f32 v15, -v2, v12, v14
	s_delay_alu instid0(VALU_DEP_1) | instskip(NEXT) | instid1(VALU_DEP_1)
	v_fmac_f32_e32 v12, v15, v11
	v_fma_f32 v2, -v2, v12, v14
	s_delay_alu instid0(VALU_DEP_1) | instskip(SKIP_2) | instid1(VALU_DEP_3)
	v_div_fmas_f32 v2, v2, v11, v12
	v_fma_f32 v11, v3, v1, v4
	v_fma_f32 v1, v4, v1, -v3
	v_div_fixup_f32 v2, v2, v13, 1.0
	s_delay_alu instid0(VALU_DEP_1) | instskip(NEXT) | instid1(VALU_DEP_3)
	v_mul_f32_e32 v11, v11, v2
	v_mul_f32_e32 v12, v1, v2
	s_branch .LBB80_3
.LBB80_36:
	s_or_b32 exec_lo, exec_lo, s15
	s_mov_b32 s2, 0
.LBB80_37:
	s_delay_alu instid0(SALU_CYCLE_1)
	s_and_not1_b32 vcc_lo, exec_lo, s2
	s_cbranch_vccnz .LBB80_89
; %bb.38:
	v_cmp_lt_i64_e64 s2, s[10:11], 1
	s_delay_alu instid0(VALU_DEP_1)
	s_and_b32 vcc_lo, exec_lo, s2
	s_cbranch_vccnz .LBB80_89
; %bb.39:
	s_load_b32 s0, s[0:1], 0xc64
	v_mov_b32_e32 v1, 0
	v_lshl_or_b32 v2, v0, 3, 4
	v_cmp_gt_u64_e64 s1, 0x10000, s[10:11]
	s_mov_b32 s13, 0
	s_delay_alu instid0(VALU_DEP_3) | instskip(NEXT) | instid1(VALU_DEP_3)
	v_mov_b32_e32 v3, v1
	v_add_co_u32 v18, s2, s16, v2
	s_delay_alu instid0(VALU_DEP_1) | instskip(SKIP_1) | instid1(VALU_DEP_1)
	v_add_co_ci_u32_e64 v19, null, s17, 0, s2
	v_add_co_u32 v20, s2, s4, v2
	v_add_co_ci_u32_e64 v21, null, s5, 0, s2
	s_waitcnt lgkmcnt(0)
	s_and_b32 s18, s0, 0xffff
	s_and_b32 s0, s1, exec_lo
	v_add_lshl_u32 v6, v0, s18, 3
	v_mad_u64_u32 v[4:5], null, s18, 24, v[2:3]
	s_cselect_b32 s15, s11, 0
	s_cselect_b32 s14, s10, 0x10000
	s_delay_alu instid0(VALU_DEP_2) | instskip(NEXT) | instid1(VALU_DEP_1)
	v_add_co_u32 v22, s0, s4, v6
	v_add_co_ci_u32_e64 v23, null, s5, 0, s0
	v_add_co_u32 v26, s0, s16, v6
	s_delay_alu instid0(VALU_DEP_1)
	v_add_co_ci_u32_e64 v27, null, s17, 0, s0
	s_lshl_b32 s0, s18, 4
	v_add_co_u32 v24, vcc_lo, s16, v4
	v_add_co_u32 v2, s0, v2, s0
	v_add_co_ci_u32_e32 v25, vcc_lo, s17, v5, vcc_lo
	v_add_co_ci_u32_e64 v3, null, 0, 0, s0
	v_add_co_u32 v28, vcc_lo, s4, v4
	v_add_co_ci_u32_e32 v29, vcc_lo, s5, v5, vcc_lo
	v_add_co_u32 v30, vcc_lo, s16, v2
	s_delay_alu instid0(VALU_DEP_4)
	v_add_co_ci_u32_e32 v31, vcc_lo, s17, v3, vcc_lo
	v_add_co_u32 v32, vcc_lo, s4, v2
	v_add_co_ci_u32_e32 v33, vcc_lo, s5, v3, vcc_lo
	s_lshl_b32 s12, s18, 2
	s_lshl_b32 s19, s18, 1
	s_mul_i32 s20, s18, 3
	s_lshl_b32 s5, s18, 5
	s_mov_b64 s[16:17], s[12:13]
	s_branch .LBB80_41
.LBB80_40:                              ;   in Loop: Header=BB80_41 Depth=1
	s_or_b32 exec_lo, exec_lo, s0
	v_add_co_u32 v0, vcc_lo, v0, s12
	v_add_co_ci_u32_e32 v1, vcc_lo, 0, v1, vcc_lo
	v_add_co_u32 v18, vcc_lo, v18, s5
	v_add_co_ci_u32_e32 v19, vcc_lo, 0, v19, vcc_lo
	v_add_co_u32 v20, vcc_lo, v20, s5
	v_add_co_ci_u32_e32 v21, vcc_lo, 0, v21, vcc_lo
	v_add_co_u32 v22, vcc_lo, v22, s5
	v_add_co_ci_u32_e32 v23, vcc_lo, 0, v23, vcc_lo
	v_add_co_u32 v24, vcc_lo, v24, s5
	v_add_co_ci_u32_e32 v25, vcc_lo, 0, v25, vcc_lo
	v_add_co_u32 v26, vcc_lo, v26, s5
	v_add_co_ci_u32_e32 v27, vcc_lo, 0, v27, vcc_lo
	v_add_co_u32 v28, vcc_lo, v28, s5
	v_add_co_ci_u32_e32 v29, vcc_lo, 0, v29, vcc_lo
	v_cmp_ge_i64_e64 s0, s[16:17], s[10:11]
	v_cmp_lt_u64_e64 s1, 0xffff, s[16:17]
	v_add_co_u32 v30, vcc_lo, v30, s5
	v_add_co_ci_u32_e32 v31, vcc_lo, 0, v31, vcc_lo
	v_add_co_u32 v32, vcc_lo, v32, s5
	v_add_co_ci_u32_e32 v33, vcc_lo, 0, v33, vcc_lo
	s_or_b32 s0, s0, s1
	s_add_u32 s16, s16, s12
	s_addc_u32 s17, s17, 0
	s_and_b32 vcc_lo, exec_lo, s0
	s_cbranch_vccnz .LBB80_89
.LBB80_41:                              ; =>This Inner Loop Header: Depth=1
	v_cmp_gt_u64_e64 s0, s[14:15], v[0:1]
	v_dual_mov_b32 v11, 0 :: v_dual_mov_b32 v10, 0
	v_dual_mov_b32 v5, 0 :: v_dual_mov_b32 v4, 0
	s_delay_alu instid0(VALU_DEP_3)
	s_and_saveexec_b32 s1, s0
	s_cbranch_execz .LBB80_43
; %bb.42:                               ;   in Loop: Header=BB80_41 Depth=1
	v_add_co_u32 v2, vcc_lo, v20, s8
	v_add_co_ci_u32_e32 v3, vcc_lo, s9, v21, vcc_lo
	v_add_co_u32 v4, vcc_lo, v18, s8
	v_add_co_ci_u32_e32 v5, vcc_lo, s9, v19, vcc_lo
	global_load_b64 v[10:11], v[2:3], off offset:-4
	global_load_b64 v[4:5], v[4:5], off offset:-4
.LBB80_43:                              ;   in Loop: Header=BB80_41 Depth=1
	s_or_b32 exec_lo, exec_lo, s1
	v_add_co_u32 v2, vcc_lo, s18, v0
	v_add_co_ci_u32_e32 v3, vcc_lo, 0, v1, vcc_lo
	v_dual_mov_b32 v7, 0 :: v_dual_mov_b32 v12, 0
	v_dual_mov_b32 v13, 0 :: v_dual_mov_b32 v16, 0
	s_delay_alu instid0(VALU_DEP_3) | instskip(SKIP_1) | instid1(VALU_DEP_2)
	v_cmp_gt_u64_e64 s1, s[14:15], v[2:3]
	v_mov_b32_e32 v17, 0
	s_and_saveexec_b32 s2, s1
	s_cbranch_execz .LBB80_45
; %bb.44:                               ;   in Loop: Header=BB80_41 Depth=1
	v_add_co_u32 v2, vcc_lo, v22, s8
	v_add_co_ci_u32_e32 v3, vcc_lo, s9, v23, vcc_lo
	v_add_co_u32 v8, vcc_lo, v26, s8
	v_add_co_ci_u32_e32 v9, vcc_lo, s9, v27, vcc_lo
	global_load_b64 v[12:13], v[2:3], off
	global_load_b64 v[16:17], v[8:9], off
.LBB80_45:                              ;   in Loop: Header=BB80_41 Depth=1
	s_or_b32 exec_lo, exec_lo, s2
	v_add_co_u32 v2, vcc_lo, s19, v0
	v_add_co_ci_u32_e32 v3, vcc_lo, 0, v1, vcc_lo
	v_dual_mov_b32 v6, 0 :: v_dual_mov_b32 v15, 0
	v_mov_b32_e32 v14, 0
	s_delay_alu instid0(VALU_DEP_3) | instskip(NEXT) | instid1(VALU_DEP_1)
	v_cmp_gt_u64_e64 s2, s[14:15], v[2:3]
	s_and_saveexec_b32 s3, s2
	s_cbranch_execz .LBB80_47
; %bb.46:                               ;   in Loop: Header=BB80_41 Depth=1
	v_add_co_u32 v2, vcc_lo, v32, s8
	v_add_co_ci_u32_e32 v3, vcc_lo, s9, v33, vcc_lo
	v_add_co_u32 v8, vcc_lo, v30, s8
	v_add_co_ci_u32_e32 v9, vcc_lo, s9, v31, vcc_lo
	global_load_b64 v[6:7], v[2:3], off offset:-4
	global_load_b64 v[14:15], v[8:9], off offset:-4
.LBB80_47:                              ;   in Loop: Header=BB80_41 Depth=1
	s_or_b32 exec_lo, exec_lo, s3
	v_add_co_u32 v8, vcc_lo, s20, v0
	v_add_co_ci_u32_e32 v9, vcc_lo, 0, v1, vcc_lo
	v_dual_mov_b32 v3, 0 :: v_dual_mov_b32 v2, 0
	s_delay_alu instid0(VALU_DEP_2) | instskip(SKIP_1) | instid1(VALU_DEP_2)
	v_cmp_gt_u64_e64 s3, s[14:15], v[8:9]
	v_dual_mov_b32 v9, 0 :: v_dual_mov_b32 v8, 0
	s_and_saveexec_b32 s4, s3
	s_cbranch_execz .LBB80_49
; %bb.48:                               ;   in Loop: Header=BB80_41 Depth=1
	v_add_co_u32 v2, vcc_lo, v28, s8
	v_add_co_ci_u32_e32 v3, vcc_lo, s9, v29, vcc_lo
	v_add_co_u32 v8, vcc_lo, v24, s8
	v_add_co_ci_u32_e32 v9, vcc_lo, s9, v25, vcc_lo
	global_load_b64 v[2:3], v[2:3], off offset:-4
	global_load_b64 v[8:9], v[8:9], off offset:-4
.LBB80_49:                              ;   in Loop: Header=BB80_41 Depth=1
	s_or_b32 exec_lo, exec_lo, s4
	s_waitcnt vmcnt(0)
	v_dual_mul_f32 v35, s7, v5 :: v_dual_mul_f32 v34, s7, v4
	s_mov_b32 s4, exec_lo
	s_delay_alu instid0(VALU_DEP_1) | instskip(NEXT) | instid1(VALU_DEP_2)
	v_fma_f32 v35, v4, s6, -v35
	v_fmac_f32_e32 v34, s6, v5
                                        ; implicit-def: $vgpr5
	s_delay_alu instid0(VALU_DEP_2) | instskip(SKIP_1) | instid1(VALU_DEP_3)
	v_cmp_gt_f32_e32 vcc_lo, 0, v35
	v_cndmask_b32_e64 v36, v35, -v35, vcc_lo
	v_cmp_gt_f32_e32 vcc_lo, 0, v34
	v_cndmask_b32_e64 v37, v34, -v34, vcc_lo
	s_delay_alu instid0(VALU_DEP_1)
	v_cmpx_ge_f32_e32 v36, v37
	s_xor_b32 s13, exec_lo, s4
	s_cbranch_execz .LBB80_55
; %bb.50:                               ;   in Loop: Header=BB80_41 Depth=1
	v_cmp_neq_f32_e32 vcc_lo, 0, v35
	v_cmp_neq_f32_e64 s4, 0, v34
                                        ; implicit-def: $vgpr5
	s_delay_alu instid0(VALU_DEP_1) | instskip(NEXT) | instid1(SALU_CYCLE_1)
	s_or_b32 s4, vcc_lo, s4
	s_and_saveexec_b32 s21, s4
	s_delay_alu instid0(SALU_CYCLE_1)
	s_xor_b32 s4, exec_lo, s21
	s_cbranch_execz .LBB80_52
; %bb.51:                               ;   in Loop: Header=BB80_41 Depth=1
	v_div_scale_f32 v4, null, v35, v35, v34
	v_div_scale_f32 v37, vcc_lo, v34, v35, v34
	s_delay_alu instid0(VALU_DEP_2) | instskip(SKIP_2) | instid1(VALU_DEP_1)
	v_rcp_f32_e32 v5, v4
	s_waitcnt_depctr 0xfff
	v_fma_f32 v36, -v4, v5, 1.0
	v_fmac_f32_e32 v5, v36, v5
	s_delay_alu instid0(VALU_DEP_1) | instskip(NEXT) | instid1(VALU_DEP_1)
	v_mul_f32_e32 v36, v37, v5
	v_fma_f32 v38, -v4, v36, v37
	s_delay_alu instid0(VALU_DEP_1) | instskip(NEXT) | instid1(VALU_DEP_1)
	v_fmac_f32_e32 v36, v38, v5
	v_fma_f32 v4, -v4, v36, v37
	s_delay_alu instid0(VALU_DEP_1) | instskip(NEXT) | instid1(VALU_DEP_1)
	v_div_fmas_f32 v4, v4, v5, v36
	v_div_fixup_f32 v4, v4, v35, v34
	s_delay_alu instid0(VALU_DEP_1) | instskip(NEXT) | instid1(VALU_DEP_1)
	v_fmac_f32_e32 v35, v34, v4
	v_div_scale_f32 v5, null, v35, v35, 1.0
	v_div_scale_f32 v37, vcc_lo, 1.0, v35, 1.0
	s_delay_alu instid0(VALU_DEP_2) | instskip(SKIP_2) | instid1(VALU_DEP_1)
	v_rcp_f32_e32 v34, v5
	s_waitcnt_depctr 0xfff
	v_fma_f32 v36, -v5, v34, 1.0
	v_fmac_f32_e32 v34, v36, v34
	s_delay_alu instid0(VALU_DEP_1) | instskip(NEXT) | instid1(VALU_DEP_1)
	v_mul_f32_e32 v36, v37, v34
	v_fma_f32 v38, -v5, v36, v37
	s_delay_alu instid0(VALU_DEP_1) | instskip(NEXT) | instid1(VALU_DEP_1)
	v_fmac_f32_e32 v36, v38, v34
	v_fma_f32 v5, -v5, v36, v37
                                        ; implicit-def: $vgpr37
	s_delay_alu instid0(VALU_DEP_1) | instskip(SKIP_2) | instid1(VALU_DEP_3)
	v_div_fmas_f32 v5, v5, v34, v36
	v_fma_f32 v34, v11, v4, v10
	v_fma_f32 v10, -v10, v4, v11
                                        ; implicit-def: $vgpr36
	v_div_fixup_f32 v5, v5, v35, 1.0
	s_delay_alu instid0(VALU_DEP_1) | instskip(NEXT) | instid1(VALU_DEP_3)
	v_mul_f32_e32 v4, v34, v5
	v_mul_f32_e32 v5, v10, v5
                                        ; implicit-def: $vgpr10
.LBB80_52:                              ;   in Loop: Header=BB80_41 Depth=1
	s_and_not1_saveexec_b32 s21, s4
	s_cbranch_execz .LBB80_54
; %bb.53:                               ;   in Loop: Header=BB80_41 Depth=1
	v_div_scale_f32 v4, null, v36, v36, v10
	v_div_scale_f32 v5, null, v37, v37, v11
	v_div_scale_f32 v40, vcc_lo, v10, v36, v10
	s_delay_alu instid0(VALU_DEP_3) | instskip(NEXT) | instid1(VALU_DEP_2)
	v_rcp_f32_e32 v34, v4
	v_rcp_f32_e32 v35, v5
	s_waitcnt_depctr 0xfff
	v_fma_f32 v38, -v4, v34, 1.0
	v_fma_f32 v39, -v5, v35, 1.0
	s_delay_alu instid0(VALU_DEP_1) | instskip(SKIP_1) | instid1(VALU_DEP_2)
	v_dual_fmac_f32 v34, v38, v34 :: v_dual_fmac_f32 v35, v39, v35
	v_div_scale_f32 v38, s4, v11, v37, v11
	v_mul_f32_e32 v39, v40, v34
	s_delay_alu instid0(VALU_DEP_2) | instskip(NEXT) | instid1(VALU_DEP_2)
	v_mul_f32_e32 v41, v38, v35
	v_fma_f32 v42, -v4, v39, v40
	s_delay_alu instid0(VALU_DEP_2) | instskip(NEXT) | instid1(VALU_DEP_2)
	v_fma_f32 v43, -v5, v41, v38
	v_fmac_f32_e32 v39, v42, v34
	s_delay_alu instid0(VALU_DEP_2) | instskip(NEXT) | instid1(VALU_DEP_2)
	v_fmac_f32_e32 v41, v43, v35
	v_fma_f32 v4, -v4, v39, v40
	s_delay_alu instid0(VALU_DEP_2) | instskip(NEXT) | instid1(VALU_DEP_2)
	v_fma_f32 v5, -v5, v41, v38
	v_div_fmas_f32 v4, v4, v34, v39
	s_mov_b32 vcc_lo, s4
	s_delay_alu instid0(VALU_DEP_2) | instskip(NEXT) | instid1(VALU_DEP_2)
	v_div_fmas_f32 v5, v5, v35, v41
	v_div_fixup_f32 v4, v4, v36, v10
	s_delay_alu instid0(VALU_DEP_2)
	v_div_fixup_f32 v5, v5, v37, v11
.LBB80_54:                              ;   in Loop: Header=BB80_41 Depth=1
	s_or_b32 exec_lo, exec_lo, s21
                                        ; implicit-def: $vgpr34
                                        ; implicit-def: $vgpr35
                                        ; implicit-def: $vgpr10
.LBB80_55:                              ;   in Loop: Header=BB80_41 Depth=1
	s_and_not1_saveexec_b32 s4, s13
	s_cbranch_execz .LBB80_57
; %bb.56:                               ;   in Loop: Header=BB80_41 Depth=1
	v_div_scale_f32 v4, null, v34, v34, v35
	v_div_scale_f32 v37, vcc_lo, v35, v34, v35
	s_delay_alu instid0(VALU_DEP_2) | instskip(SKIP_2) | instid1(VALU_DEP_1)
	v_rcp_f32_e32 v5, v4
	s_waitcnt_depctr 0xfff
	v_fma_f32 v36, -v4, v5, 1.0
	v_fmac_f32_e32 v5, v36, v5
	s_delay_alu instid0(VALU_DEP_1) | instskip(NEXT) | instid1(VALU_DEP_1)
	v_mul_f32_e32 v36, v37, v5
	v_fma_f32 v38, -v4, v36, v37
	s_delay_alu instid0(VALU_DEP_1) | instskip(NEXT) | instid1(VALU_DEP_1)
	v_fmac_f32_e32 v36, v38, v5
	v_fma_f32 v4, -v4, v36, v37
	s_delay_alu instid0(VALU_DEP_1) | instskip(NEXT) | instid1(VALU_DEP_1)
	v_div_fmas_f32 v4, v4, v5, v36
	v_div_fixup_f32 v4, v4, v34, v35
	s_delay_alu instid0(VALU_DEP_1) | instskip(NEXT) | instid1(VALU_DEP_1)
	v_fmac_f32_e32 v34, v35, v4
	v_div_scale_f32 v5, null, v34, v34, 1.0
	v_div_scale_f32 v37, vcc_lo, 1.0, v34, 1.0
	s_delay_alu instid0(VALU_DEP_2) | instskip(SKIP_2) | instid1(VALU_DEP_1)
	v_rcp_f32_e32 v35, v5
	s_waitcnt_depctr 0xfff
	v_fma_f32 v36, -v5, v35, 1.0
	v_fmac_f32_e32 v35, v36, v35
	s_delay_alu instid0(VALU_DEP_1) | instskip(NEXT) | instid1(VALU_DEP_1)
	v_mul_f32_e32 v36, v37, v35
	v_fma_f32 v38, -v5, v36, v37
	s_delay_alu instid0(VALU_DEP_1) | instskip(NEXT) | instid1(VALU_DEP_1)
	v_fmac_f32_e32 v36, v38, v35
	v_fma_f32 v5, -v5, v36, v37
	s_delay_alu instid0(VALU_DEP_1) | instskip(SKIP_2) | instid1(VALU_DEP_3)
	v_div_fmas_f32 v5, v5, v35, v36
	v_fma_f32 v35, v10, v4, v11
	v_fma_f32 v10, v11, v4, -v10
	v_div_fixup_f32 v5, v5, v34, 1.0
	s_delay_alu instid0(VALU_DEP_1) | instskip(NEXT) | instid1(VALU_DEP_3)
	v_mul_f32_e32 v4, v35, v5
	v_mul_f32_e32 v5, v10, v5
.LBB80_57:                              ;   in Loop: Header=BB80_41 Depth=1
	s_or_b32 exec_lo, exec_lo, s4
	v_mul_f32_e32 v10, s7, v17
	v_mul_f32_e32 v34, s7, v16
                                        ; implicit-def: $vgpr11
	s_mov_b32 s4, exec_lo
	s_delay_alu instid0(VALU_DEP_2) | instskip(NEXT) | instid1(VALU_DEP_2)
	v_fma_f32 v16, v16, s6, -v10
	v_fmac_f32_e32 v34, s6, v17
	s_delay_alu instid0(VALU_DEP_2) | instskip(SKIP_1) | instid1(VALU_DEP_3)
	v_cmp_gt_f32_e32 vcc_lo, 0, v16
	v_cndmask_b32_e64 v17, v16, -v16, vcc_lo
	v_cmp_gt_f32_e32 vcc_lo, 0, v34
	v_cndmask_b32_e64 v35, v34, -v34, vcc_lo
	s_delay_alu instid0(VALU_DEP_1)
	v_cmpx_ge_f32_e32 v17, v35
	s_xor_b32 s13, exec_lo, s4
	s_cbranch_execz .LBB80_63
; %bb.58:                               ;   in Loop: Header=BB80_41 Depth=1
	v_cmp_neq_f32_e32 vcc_lo, 0, v16
	v_cmp_neq_f32_e64 s4, 0, v34
                                        ; implicit-def: $vgpr11
	s_delay_alu instid0(VALU_DEP_1) | instskip(NEXT) | instid1(SALU_CYCLE_1)
	s_or_b32 s4, vcc_lo, s4
	s_and_saveexec_b32 s21, s4
	s_delay_alu instid0(SALU_CYCLE_1)
	s_xor_b32 s4, exec_lo, s21
	s_cbranch_execz .LBB80_60
; %bb.59:                               ;   in Loop: Header=BB80_41 Depth=1
	v_div_scale_f32 v10, null, v16, v16, v34
	v_div_scale_f32 v35, vcc_lo, v34, v16, v34
	s_delay_alu instid0(VALU_DEP_2) | instskip(SKIP_2) | instid1(VALU_DEP_1)
	v_rcp_f32_e32 v11, v10
	s_waitcnt_depctr 0xfff
	v_fma_f32 v17, -v10, v11, 1.0
	v_fmac_f32_e32 v11, v17, v11
	s_delay_alu instid0(VALU_DEP_1) | instskip(NEXT) | instid1(VALU_DEP_1)
	v_mul_f32_e32 v17, v35, v11
	v_fma_f32 v36, -v10, v17, v35
	s_delay_alu instid0(VALU_DEP_1) | instskip(NEXT) | instid1(VALU_DEP_1)
	v_fmac_f32_e32 v17, v36, v11
	v_fma_f32 v10, -v10, v17, v35
	s_delay_alu instid0(VALU_DEP_1) | instskip(NEXT) | instid1(VALU_DEP_1)
	v_div_fmas_f32 v10, v10, v11, v17
	v_div_fixup_f32 v10, v10, v16, v34
	s_delay_alu instid0(VALU_DEP_1) | instskip(NEXT) | instid1(VALU_DEP_1)
	v_fmac_f32_e32 v16, v34, v10
	v_div_scale_f32 v11, null, v16, v16, 1.0
	v_div_scale_f32 v35, vcc_lo, 1.0, v16, 1.0
	s_delay_alu instid0(VALU_DEP_2) | instskip(SKIP_2) | instid1(VALU_DEP_1)
	v_rcp_f32_e32 v17, v11
	s_waitcnt_depctr 0xfff
	v_fma_f32 v34, -v11, v17, 1.0
	v_fmac_f32_e32 v17, v34, v17
	s_delay_alu instid0(VALU_DEP_1) | instskip(NEXT) | instid1(VALU_DEP_1)
	v_mul_f32_e32 v34, v35, v17
	v_fma_f32 v36, -v11, v34, v35
	s_delay_alu instid0(VALU_DEP_1) | instskip(NEXT) | instid1(VALU_DEP_1)
	v_fmac_f32_e32 v34, v36, v17
	v_fma_f32 v11, -v11, v34, v35
                                        ; implicit-def: $vgpr35
	s_delay_alu instid0(VALU_DEP_1) | instskip(SKIP_2) | instid1(VALU_DEP_3)
	v_div_fmas_f32 v11, v11, v17, v34
	v_fma_f32 v17, v13, v10, v12
	v_fma_f32 v12, -v12, v10, v13
	v_div_fixup_f32 v11, v11, v16, 1.0
	s_delay_alu instid0(VALU_DEP_1) | instskip(NEXT) | instid1(VALU_DEP_3)
	v_mul_f32_e32 v10, v17, v11
	v_mul_f32_e32 v11, v12, v11
                                        ; implicit-def: $vgpr17
                                        ; implicit-def: $vgpr12
.LBB80_60:                              ;   in Loop: Header=BB80_41 Depth=1
	s_and_not1_saveexec_b32 s21, s4
	s_cbranch_execz .LBB80_62
; %bb.61:                               ;   in Loop: Header=BB80_41 Depth=1
	v_div_scale_f32 v10, null, v17, v17, v12
	v_div_scale_f32 v11, null, v35, v35, v13
	v_div_scale_f32 v38, vcc_lo, v12, v17, v12
	s_delay_alu instid0(VALU_DEP_3) | instskip(NEXT) | instid1(VALU_DEP_2)
	v_rcp_f32_e32 v16, v10
	v_rcp_f32_e32 v34, v11
	s_waitcnt_depctr 0xfff
	v_fma_f32 v36, -v10, v16, 1.0
	v_fma_f32 v37, -v11, v34, 1.0
	s_delay_alu instid0(VALU_DEP_1) | instskip(NEXT) | instid1(VALU_DEP_3)
	v_fmac_f32_e32 v34, v37, v34
	v_fmac_f32_e32 v16, v36, v16
	v_div_scale_f32 v36, s4, v13, v35, v13
	s_delay_alu instid0(VALU_DEP_1) | instskip(NEXT) | instid1(VALU_DEP_1)
	v_mul_f32_e32 v39, v36, v34
	v_fma_f32 v41, -v11, v39, v36
	s_delay_alu instid0(VALU_DEP_1) | instskip(SKIP_1) | instid1(VALU_DEP_2)
	v_fmac_f32_e32 v39, v41, v34
	v_mul_f32_e32 v37, v38, v16
	v_fma_f32 v11, -v11, v39, v36
	s_delay_alu instid0(VALU_DEP_2) | instskip(NEXT) | instid1(VALU_DEP_1)
	v_fma_f32 v40, -v10, v37, v38
	v_fmac_f32_e32 v37, v40, v16
	s_delay_alu instid0(VALU_DEP_1) | instskip(NEXT) | instid1(VALU_DEP_1)
	v_fma_f32 v10, -v10, v37, v38
	v_div_fmas_f32 v10, v10, v16, v37
	s_mov_b32 vcc_lo, s4
	v_div_fmas_f32 v11, v11, v34, v39
	s_delay_alu instid0(VALU_DEP_2) | instskip(NEXT) | instid1(VALU_DEP_2)
	v_div_fixup_f32 v10, v10, v17, v12
	v_div_fixup_f32 v11, v11, v35, v13
.LBB80_62:                              ;   in Loop: Header=BB80_41 Depth=1
	s_or_b32 exec_lo, exec_lo, s21
                                        ; implicit-def: $vgpr34
                                        ; implicit-def: $vgpr16
                                        ; implicit-def: $vgpr12
.LBB80_63:                              ;   in Loop: Header=BB80_41 Depth=1
	s_and_not1_saveexec_b32 s4, s13
	s_cbranch_execz .LBB80_65
; %bb.64:                               ;   in Loop: Header=BB80_41 Depth=1
	v_div_scale_f32 v10, null, v34, v34, v16
	v_div_scale_f32 v35, vcc_lo, v16, v34, v16
	s_delay_alu instid0(VALU_DEP_2) | instskip(SKIP_2) | instid1(VALU_DEP_1)
	v_rcp_f32_e32 v11, v10
	s_waitcnt_depctr 0xfff
	v_fma_f32 v17, -v10, v11, 1.0
	v_fmac_f32_e32 v11, v17, v11
	s_delay_alu instid0(VALU_DEP_1) | instskip(NEXT) | instid1(VALU_DEP_1)
	v_mul_f32_e32 v17, v35, v11
	v_fma_f32 v36, -v10, v17, v35
	s_delay_alu instid0(VALU_DEP_1) | instskip(NEXT) | instid1(VALU_DEP_1)
	v_fmac_f32_e32 v17, v36, v11
	v_fma_f32 v10, -v10, v17, v35
	s_delay_alu instid0(VALU_DEP_1) | instskip(NEXT) | instid1(VALU_DEP_1)
	v_div_fmas_f32 v10, v10, v11, v17
	v_div_fixup_f32 v10, v10, v34, v16
	s_delay_alu instid0(VALU_DEP_1) | instskip(NEXT) | instid1(VALU_DEP_1)
	v_fmac_f32_e32 v34, v16, v10
	v_div_scale_f32 v11, null, v34, v34, 1.0
	v_div_scale_f32 v35, vcc_lo, 1.0, v34, 1.0
	s_delay_alu instid0(VALU_DEP_2) | instskip(SKIP_2) | instid1(VALU_DEP_1)
	v_rcp_f32_e32 v16, v11
	s_waitcnt_depctr 0xfff
	v_fma_f32 v17, -v11, v16, 1.0
	v_fmac_f32_e32 v16, v17, v16
	s_delay_alu instid0(VALU_DEP_1) | instskip(NEXT) | instid1(VALU_DEP_1)
	v_mul_f32_e32 v17, v35, v16
	v_fma_f32 v36, -v11, v17, v35
	s_delay_alu instid0(VALU_DEP_1) | instskip(NEXT) | instid1(VALU_DEP_1)
	v_fmac_f32_e32 v17, v36, v16
	v_fma_f32 v11, -v11, v17, v35
	s_delay_alu instid0(VALU_DEP_1) | instskip(SKIP_2) | instid1(VALU_DEP_3)
	v_div_fmas_f32 v11, v11, v16, v17
	v_fma_f32 v16, v12, v10, v13
	v_fma_f32 v12, v13, v10, -v12
	v_div_fixup_f32 v11, v11, v34, 1.0
	s_delay_alu instid0(VALU_DEP_1) | instskip(NEXT) | instid1(VALU_DEP_3)
	v_mul_f32_e32 v10, v16, v11
	v_mul_f32_e32 v11, v12, v11
.LBB80_65:                              ;   in Loop: Header=BB80_41 Depth=1
	s_or_b32 exec_lo, exec_lo, s4
	v_mul_f32_e32 v12, s7, v15
	v_mul_f32_e32 v16, s7, v14
                                        ; implicit-def: $vgpr13
	s_mov_b32 s4, exec_lo
	s_delay_alu instid0(VALU_DEP_2) | instskip(NEXT) | instid1(VALU_DEP_2)
	v_fma_f32 v14, v14, s6, -v12
	v_fmac_f32_e32 v16, s6, v15
	s_delay_alu instid0(VALU_DEP_2) | instskip(SKIP_1) | instid1(VALU_DEP_3)
	v_cmp_gt_f32_e32 vcc_lo, 0, v14
	v_cndmask_b32_e64 v15, v14, -v14, vcc_lo
	v_cmp_gt_f32_e32 vcc_lo, 0, v16
	v_cndmask_b32_e64 v17, v16, -v16, vcc_lo
	s_delay_alu instid0(VALU_DEP_1)
	v_cmpx_ge_f32_e32 v15, v17
	s_xor_b32 s13, exec_lo, s4
	s_cbranch_execz .LBB80_71
; %bb.66:                               ;   in Loop: Header=BB80_41 Depth=1
	v_cmp_neq_f32_e32 vcc_lo, 0, v14
	v_cmp_neq_f32_e64 s4, 0, v16
                                        ; implicit-def: $vgpr13
	s_delay_alu instid0(VALU_DEP_1) | instskip(NEXT) | instid1(SALU_CYCLE_1)
	s_or_b32 s4, vcc_lo, s4
	s_and_saveexec_b32 s21, s4
	s_delay_alu instid0(SALU_CYCLE_1)
	s_xor_b32 s4, exec_lo, s21
	s_cbranch_execz .LBB80_68
; %bb.67:                               ;   in Loop: Header=BB80_41 Depth=1
	v_div_scale_f32 v12, null, v14, v14, v16
	v_div_scale_f32 v17, vcc_lo, v16, v14, v16
	s_delay_alu instid0(VALU_DEP_2) | instskip(SKIP_2) | instid1(VALU_DEP_1)
	v_rcp_f32_e32 v13, v12
	s_waitcnt_depctr 0xfff
	v_fma_f32 v15, -v12, v13, 1.0
	v_fmac_f32_e32 v13, v15, v13
	s_delay_alu instid0(VALU_DEP_1) | instskip(NEXT) | instid1(VALU_DEP_1)
	v_mul_f32_e32 v15, v17, v13
	v_fma_f32 v34, -v12, v15, v17
	s_delay_alu instid0(VALU_DEP_1) | instskip(NEXT) | instid1(VALU_DEP_1)
	v_fmac_f32_e32 v15, v34, v13
	v_fma_f32 v12, -v12, v15, v17
	s_delay_alu instid0(VALU_DEP_1) | instskip(NEXT) | instid1(VALU_DEP_1)
	v_div_fmas_f32 v12, v12, v13, v15
	v_div_fixup_f32 v12, v12, v14, v16
	s_delay_alu instid0(VALU_DEP_1) | instskip(NEXT) | instid1(VALU_DEP_1)
	v_fmac_f32_e32 v14, v16, v12
	v_div_scale_f32 v13, null, v14, v14, 1.0
	v_div_scale_f32 v17, vcc_lo, 1.0, v14, 1.0
	s_delay_alu instid0(VALU_DEP_2) | instskip(SKIP_2) | instid1(VALU_DEP_1)
	v_rcp_f32_e32 v15, v13
	s_waitcnt_depctr 0xfff
	v_fma_f32 v16, -v13, v15, 1.0
	v_fmac_f32_e32 v15, v16, v15
	s_delay_alu instid0(VALU_DEP_1) | instskip(NEXT) | instid1(VALU_DEP_1)
	v_mul_f32_e32 v16, v17, v15
	v_fma_f32 v34, -v13, v16, v17
	s_delay_alu instid0(VALU_DEP_1) | instskip(NEXT) | instid1(VALU_DEP_1)
	v_fmac_f32_e32 v16, v34, v15
	v_fma_f32 v13, -v13, v16, v17
                                        ; implicit-def: $vgpr17
	s_delay_alu instid0(VALU_DEP_1) | instskip(SKIP_2) | instid1(VALU_DEP_3)
	v_div_fmas_f32 v13, v13, v15, v16
	v_fma_f32 v15, v7, v12, v6
	v_fma_f32 v6, -v6, v12, v7
	v_div_fixup_f32 v13, v13, v14, 1.0
	s_delay_alu instid0(VALU_DEP_1) | instskip(NEXT) | instid1(VALU_DEP_3)
	v_mul_f32_e32 v12, v15, v13
	v_mul_f32_e32 v13, v6, v13
                                        ; implicit-def: $vgpr15
                                        ; implicit-def: $vgpr6
.LBB80_68:                              ;   in Loop: Header=BB80_41 Depth=1
	s_and_not1_saveexec_b32 s21, s4
	s_cbranch_execz .LBB80_70
; %bb.69:                               ;   in Loop: Header=BB80_41 Depth=1
	v_div_scale_f32 v12, null, v15, v15, v6
	v_div_scale_f32 v13, null, v17, v17, v7
	v_div_scale_f32 v36, vcc_lo, v6, v15, v6
	s_delay_alu instid0(VALU_DEP_3) | instskip(NEXT) | instid1(VALU_DEP_2)
	v_rcp_f32_e32 v14, v12
	v_rcp_f32_e32 v16, v13
	s_waitcnt_depctr 0xfff
	v_fma_f32 v34, -v12, v14, 1.0
	v_fma_f32 v35, -v13, v16, 1.0
	s_delay_alu instid0(VALU_DEP_1) | instskip(NEXT) | instid1(VALU_DEP_3)
	v_fmac_f32_e32 v16, v35, v16
	v_fmac_f32_e32 v14, v34, v14
	v_div_scale_f32 v34, s4, v7, v17, v7
	s_delay_alu instid0(VALU_DEP_1) | instskip(NEXT) | instid1(VALU_DEP_1)
	v_mul_f32_e32 v37, v34, v16
	v_fma_f32 v39, -v13, v37, v34
	s_delay_alu instid0(VALU_DEP_1) | instskip(SKIP_1) | instid1(VALU_DEP_2)
	v_fmac_f32_e32 v37, v39, v16
	v_mul_f32_e32 v35, v36, v14
	v_fma_f32 v13, -v13, v37, v34
	s_delay_alu instid0(VALU_DEP_2) | instskip(NEXT) | instid1(VALU_DEP_1)
	v_fma_f32 v38, -v12, v35, v36
	v_fmac_f32_e32 v35, v38, v14
	s_delay_alu instid0(VALU_DEP_1) | instskip(NEXT) | instid1(VALU_DEP_1)
	v_fma_f32 v12, -v12, v35, v36
	v_div_fmas_f32 v12, v12, v14, v35
	s_mov_b32 vcc_lo, s4
	v_div_fmas_f32 v13, v13, v16, v37
	s_delay_alu instid0(VALU_DEP_2) | instskip(NEXT) | instid1(VALU_DEP_2)
	v_div_fixup_f32 v12, v12, v15, v6
	v_div_fixup_f32 v13, v13, v17, v7
.LBB80_70:                              ;   in Loop: Header=BB80_41 Depth=1
	s_or_b32 exec_lo, exec_lo, s21
                                        ; implicit-def: $vgpr16
                                        ; implicit-def: $vgpr14
                                        ; implicit-def: $vgpr6
.LBB80_71:                              ;   in Loop: Header=BB80_41 Depth=1
	s_and_not1_saveexec_b32 s4, s13
	s_cbranch_execz .LBB80_73
; %bb.72:                               ;   in Loop: Header=BB80_41 Depth=1
	v_div_scale_f32 v12, null, v16, v16, v14
	v_div_scale_f32 v17, vcc_lo, v14, v16, v14
	s_delay_alu instid0(VALU_DEP_2) | instskip(SKIP_2) | instid1(VALU_DEP_1)
	v_rcp_f32_e32 v13, v12
	s_waitcnt_depctr 0xfff
	v_fma_f32 v15, -v12, v13, 1.0
	v_fmac_f32_e32 v13, v15, v13
	s_delay_alu instid0(VALU_DEP_1) | instskip(NEXT) | instid1(VALU_DEP_1)
	v_mul_f32_e32 v15, v17, v13
	v_fma_f32 v34, -v12, v15, v17
	s_delay_alu instid0(VALU_DEP_1) | instskip(NEXT) | instid1(VALU_DEP_1)
	v_fmac_f32_e32 v15, v34, v13
	v_fma_f32 v12, -v12, v15, v17
	s_delay_alu instid0(VALU_DEP_1) | instskip(NEXT) | instid1(VALU_DEP_1)
	v_div_fmas_f32 v12, v12, v13, v15
	v_div_fixup_f32 v12, v12, v16, v14
	s_delay_alu instid0(VALU_DEP_1) | instskip(NEXT) | instid1(VALU_DEP_1)
	v_fmac_f32_e32 v16, v14, v12
	v_div_scale_f32 v13, null, v16, v16, 1.0
	v_div_scale_f32 v17, vcc_lo, 1.0, v16, 1.0
	s_delay_alu instid0(VALU_DEP_2) | instskip(SKIP_2) | instid1(VALU_DEP_1)
	v_rcp_f32_e32 v14, v13
	s_waitcnt_depctr 0xfff
	v_fma_f32 v15, -v13, v14, 1.0
	v_fmac_f32_e32 v14, v15, v14
	s_delay_alu instid0(VALU_DEP_1) | instskip(NEXT) | instid1(VALU_DEP_1)
	v_mul_f32_e32 v15, v17, v14
	v_fma_f32 v34, -v13, v15, v17
	s_delay_alu instid0(VALU_DEP_1) | instskip(NEXT) | instid1(VALU_DEP_1)
	v_fmac_f32_e32 v15, v34, v14
	v_fma_f32 v13, -v13, v15, v17
	s_delay_alu instid0(VALU_DEP_1) | instskip(SKIP_2) | instid1(VALU_DEP_3)
	v_div_fmas_f32 v13, v13, v14, v15
	v_fma_f32 v14, v6, v12, v7
	v_fma_f32 v6, v7, v12, -v6
	v_div_fixup_f32 v13, v13, v16, 1.0
	s_delay_alu instid0(VALU_DEP_1) | instskip(NEXT) | instid1(VALU_DEP_3)
	v_mul_f32_e32 v12, v14, v13
	v_mul_f32_e32 v13, v6, v13
.LBB80_73:                              ;   in Loop: Header=BB80_41 Depth=1
	s_or_b32 exec_lo, exec_lo, s4
	v_mul_f32_e32 v6, s7, v9
	v_mul_f32_e32 v14, s7, v8
                                        ; implicit-def: $vgpr7
	s_mov_b32 s4, exec_lo
	s_delay_alu instid0(VALU_DEP_2) | instskip(NEXT) | instid1(VALU_DEP_2)
	v_fma_f32 v8, v8, s6, -v6
	v_fmac_f32_e32 v14, s6, v9
	s_delay_alu instid0(VALU_DEP_2) | instskip(SKIP_1) | instid1(VALU_DEP_3)
	v_cmp_gt_f32_e32 vcc_lo, 0, v8
	v_cndmask_b32_e64 v9, v8, -v8, vcc_lo
	v_cmp_gt_f32_e32 vcc_lo, 0, v14
	v_cndmask_b32_e64 v15, v14, -v14, vcc_lo
	s_delay_alu instid0(VALU_DEP_1)
	v_cmpx_ge_f32_e32 v9, v15
	s_xor_b32 s13, exec_lo, s4
	s_cbranch_execnz .LBB80_79
; %bb.74:                               ;   in Loop: Header=BB80_41 Depth=1
	s_and_not1_saveexec_b32 s4, s13
	s_cbranch_execnz .LBB80_84
.LBB80_75:                              ;   in Loop: Header=BB80_41 Depth=1
	s_or_b32 exec_lo, exec_lo, s4
	s_and_saveexec_b32 s4, s0
	s_delay_alu instid0(SALU_CYCLE_1)
	s_xor_b32 s0, exec_lo, s4
	s_cbranch_execnz .LBB80_85
.LBB80_76:                              ;   in Loop: Header=BB80_41 Depth=1
	s_or_b32 exec_lo, exec_lo, s0
	s_and_saveexec_b32 s0, s1
	s_cbranch_execnz .LBB80_86
.LBB80_77:                              ;   in Loop: Header=BB80_41 Depth=1
	s_or_b32 exec_lo, exec_lo, s0
	s_and_saveexec_b32 s0, s2
	s_cbranch_execnz .LBB80_87
.LBB80_78:                              ;   in Loop: Header=BB80_41 Depth=1
	s_or_b32 exec_lo, exec_lo, s0
	s_and_saveexec_b32 s0, s3
	s_cbranch_execz .LBB80_40
	s_branch .LBB80_88
.LBB80_79:                              ;   in Loop: Header=BB80_41 Depth=1
	v_cmp_neq_f32_e32 vcc_lo, 0, v8
	v_cmp_neq_f32_e64 s4, 0, v14
                                        ; implicit-def: $vgpr7
	s_delay_alu instid0(VALU_DEP_1) | instskip(NEXT) | instid1(SALU_CYCLE_1)
	s_or_b32 s4, vcc_lo, s4
	s_and_saveexec_b32 s21, s4
	s_delay_alu instid0(SALU_CYCLE_1)
	s_xor_b32 s4, exec_lo, s21
	s_cbranch_execz .LBB80_81
; %bb.80:                               ;   in Loop: Header=BB80_41 Depth=1
	v_div_scale_f32 v6, null, v8, v8, v14
	v_div_scale_f32 v15, vcc_lo, v14, v8, v14
	s_delay_alu instid0(VALU_DEP_2) | instskip(SKIP_2) | instid1(VALU_DEP_1)
	v_rcp_f32_e32 v7, v6
	s_waitcnt_depctr 0xfff
	v_fma_f32 v9, -v6, v7, 1.0
	v_fmac_f32_e32 v7, v9, v7
	s_delay_alu instid0(VALU_DEP_1) | instskip(NEXT) | instid1(VALU_DEP_1)
	v_mul_f32_e32 v9, v15, v7
	v_fma_f32 v16, -v6, v9, v15
	s_delay_alu instid0(VALU_DEP_1) | instskip(NEXT) | instid1(VALU_DEP_1)
	v_fmac_f32_e32 v9, v16, v7
	v_fma_f32 v6, -v6, v9, v15
	s_delay_alu instid0(VALU_DEP_1) | instskip(NEXT) | instid1(VALU_DEP_1)
	v_div_fmas_f32 v6, v6, v7, v9
	v_div_fixup_f32 v6, v6, v8, v14
	s_delay_alu instid0(VALU_DEP_1) | instskip(NEXT) | instid1(VALU_DEP_1)
	v_fmac_f32_e32 v8, v14, v6
	v_div_scale_f32 v7, null, v8, v8, 1.0
	v_div_scale_f32 v15, vcc_lo, 1.0, v8, 1.0
	s_delay_alu instid0(VALU_DEP_2) | instskip(SKIP_2) | instid1(VALU_DEP_1)
	v_rcp_f32_e32 v9, v7
	s_waitcnt_depctr 0xfff
	v_fma_f32 v14, -v7, v9, 1.0
	v_fmac_f32_e32 v9, v14, v9
	s_delay_alu instid0(VALU_DEP_1) | instskip(NEXT) | instid1(VALU_DEP_1)
	v_mul_f32_e32 v14, v15, v9
	v_fma_f32 v16, -v7, v14, v15
	s_delay_alu instid0(VALU_DEP_1) | instskip(NEXT) | instid1(VALU_DEP_1)
	v_fmac_f32_e32 v14, v16, v9
	v_fma_f32 v7, -v7, v14, v15
                                        ; implicit-def: $vgpr15
	s_delay_alu instid0(VALU_DEP_1) | instskip(SKIP_2) | instid1(VALU_DEP_3)
	v_div_fmas_f32 v7, v7, v9, v14
	v_fma_f32 v9, v3, v6, v2
	v_fma_f32 v2, -v2, v6, v3
	v_div_fixup_f32 v7, v7, v8, 1.0
	s_delay_alu instid0(VALU_DEP_1) | instskip(NEXT) | instid1(VALU_DEP_3)
	v_mul_f32_e32 v6, v9, v7
	v_mul_f32_e32 v7, v2, v7
                                        ; implicit-def: $vgpr9
                                        ; implicit-def: $vgpr2
.LBB80_81:                              ;   in Loop: Header=BB80_41 Depth=1
	s_and_not1_saveexec_b32 s21, s4
	s_cbranch_execz .LBB80_83
; %bb.82:                               ;   in Loop: Header=BB80_41 Depth=1
	v_div_scale_f32 v6, null, v9, v9, v2
	v_div_scale_f32 v7, null, v15, v15, v3
	v_div_scale_f32 v34, vcc_lo, v2, v9, v2
	s_delay_alu instid0(VALU_DEP_3) | instskip(NEXT) | instid1(VALU_DEP_2)
	v_rcp_f32_e32 v8, v6
	v_rcp_f32_e32 v14, v7
	s_waitcnt_depctr 0xfff
	v_fma_f32 v16, -v6, v8, 1.0
	v_fma_f32 v17, -v7, v14, 1.0
	s_delay_alu instid0(VALU_DEP_1) | instskip(NEXT) | instid1(VALU_DEP_3)
	v_fmac_f32_e32 v14, v17, v14
	v_fmac_f32_e32 v8, v16, v8
	v_div_scale_f32 v16, s4, v3, v15, v3
	s_delay_alu instid0(VALU_DEP_1) | instskip(NEXT) | instid1(VALU_DEP_1)
	v_mul_f32_e32 v35, v16, v14
	v_fma_f32 v37, -v7, v35, v16
	s_delay_alu instid0(VALU_DEP_1) | instskip(SKIP_1) | instid1(VALU_DEP_2)
	v_fmac_f32_e32 v35, v37, v14
	v_mul_f32_e32 v17, v34, v8
	v_fma_f32 v7, -v7, v35, v16
	s_delay_alu instid0(VALU_DEP_2) | instskip(NEXT) | instid1(VALU_DEP_1)
	v_fma_f32 v36, -v6, v17, v34
	v_fmac_f32_e32 v17, v36, v8
	s_delay_alu instid0(VALU_DEP_1) | instskip(NEXT) | instid1(VALU_DEP_1)
	v_fma_f32 v6, -v6, v17, v34
	v_div_fmas_f32 v6, v6, v8, v17
	s_mov_b32 vcc_lo, s4
	v_div_fmas_f32 v7, v7, v14, v35
	s_delay_alu instid0(VALU_DEP_2) | instskip(NEXT) | instid1(VALU_DEP_2)
	v_div_fixup_f32 v6, v6, v9, v2
	v_div_fixup_f32 v7, v7, v15, v3
.LBB80_83:                              ;   in Loop: Header=BB80_41 Depth=1
	s_or_b32 exec_lo, exec_lo, s21
                                        ; implicit-def: $vgpr14
                                        ; implicit-def: $vgpr8
                                        ; implicit-def: $vgpr2
	s_and_not1_saveexec_b32 s4, s13
	s_cbranch_execz .LBB80_75
.LBB80_84:                              ;   in Loop: Header=BB80_41 Depth=1
	v_div_scale_f32 v6, null, v14, v14, v8
	v_div_scale_f32 v15, vcc_lo, v8, v14, v8
	s_delay_alu instid0(VALU_DEP_2) | instskip(SKIP_2) | instid1(VALU_DEP_1)
	v_rcp_f32_e32 v7, v6
	s_waitcnt_depctr 0xfff
	v_fma_f32 v9, -v6, v7, 1.0
	v_fmac_f32_e32 v7, v9, v7
	s_delay_alu instid0(VALU_DEP_1) | instskip(NEXT) | instid1(VALU_DEP_1)
	v_mul_f32_e32 v9, v15, v7
	v_fma_f32 v16, -v6, v9, v15
	s_delay_alu instid0(VALU_DEP_1) | instskip(NEXT) | instid1(VALU_DEP_1)
	v_fmac_f32_e32 v9, v16, v7
	v_fma_f32 v6, -v6, v9, v15
	s_delay_alu instid0(VALU_DEP_1) | instskip(NEXT) | instid1(VALU_DEP_1)
	v_div_fmas_f32 v6, v6, v7, v9
	v_div_fixup_f32 v6, v6, v14, v8
	s_delay_alu instid0(VALU_DEP_1) | instskip(NEXT) | instid1(VALU_DEP_1)
	v_fmac_f32_e32 v14, v8, v6
	v_div_scale_f32 v7, null, v14, v14, 1.0
	v_div_scale_f32 v15, vcc_lo, 1.0, v14, 1.0
	s_delay_alu instid0(VALU_DEP_2) | instskip(SKIP_2) | instid1(VALU_DEP_1)
	v_rcp_f32_e32 v8, v7
	s_waitcnt_depctr 0xfff
	v_fma_f32 v9, -v7, v8, 1.0
	v_fmac_f32_e32 v8, v9, v8
	s_delay_alu instid0(VALU_DEP_1) | instskip(NEXT) | instid1(VALU_DEP_1)
	v_mul_f32_e32 v9, v15, v8
	v_fma_f32 v16, -v7, v9, v15
	s_delay_alu instid0(VALU_DEP_1) | instskip(NEXT) | instid1(VALU_DEP_1)
	v_fmac_f32_e32 v9, v16, v8
	v_fma_f32 v7, -v7, v9, v15
	s_delay_alu instid0(VALU_DEP_1) | instskip(SKIP_2) | instid1(VALU_DEP_3)
	v_div_fmas_f32 v7, v7, v8, v9
	v_fma_f32 v8, v2, v6, v3
	v_fma_f32 v2, v3, v6, -v2
	v_div_fixup_f32 v7, v7, v14, 1.0
	s_delay_alu instid0(VALU_DEP_1) | instskip(NEXT) | instid1(VALU_DEP_3)
	v_mul_f32_e32 v6, v8, v7
	v_mul_f32_e32 v7, v2, v7
	s_or_b32 exec_lo, exec_lo, s4
	s_and_saveexec_b32 s4, s0
	s_delay_alu instid0(SALU_CYCLE_1)
	s_xor_b32 s0, exec_lo, s4
	s_cbranch_execz .LBB80_76
.LBB80_85:                              ;   in Loop: Header=BB80_41 Depth=1
	v_add_co_u32 v2, vcc_lo, v20, s8
	v_add_co_ci_u32_e32 v3, vcc_lo, s9, v21, vcc_lo
	global_store_b64 v[2:3], v[4:5], off offset:-4
	s_or_b32 exec_lo, exec_lo, s0
	s_and_saveexec_b32 s0, s1
	s_cbranch_execz .LBB80_77
.LBB80_86:                              ;   in Loop: Header=BB80_41 Depth=1
	v_add_co_u32 v2, vcc_lo, v22, s8
	v_add_co_ci_u32_e32 v3, vcc_lo, s9, v23, vcc_lo
	global_store_b64 v[2:3], v[10:11], off
	s_or_b32 exec_lo, exec_lo, s0
	s_and_saveexec_b32 s0, s2
	s_cbranch_execz .LBB80_78
.LBB80_87:                              ;   in Loop: Header=BB80_41 Depth=1
	v_add_co_u32 v2, vcc_lo, v32, s8
	v_add_co_ci_u32_e32 v3, vcc_lo, s9, v33, vcc_lo
	global_store_b64 v[2:3], v[12:13], off offset:-4
	s_or_b32 exec_lo, exec_lo, s0
	s_and_saveexec_b32 s0, s3
	s_cbranch_execz .LBB80_40
.LBB80_88:                              ;   in Loop: Header=BB80_41 Depth=1
	v_add_co_u32 v2, vcc_lo, v28, s8
	v_add_co_ci_u32_e32 v3, vcc_lo, s9, v29, vcc_lo
	global_store_b64 v[2:3], v[6:7], off offset:-4
	s_branch .LBB80_40
.LBB80_89:
	s_nop 0
	s_sendmsg sendmsg(MSG_DEALLOC_VGPRS)
	s_endpgm
	.section	.rodata,"a",@progbits
	.p2align	6, 0x0
	.amdhsa_kernel _ZN2at6native12_GLOBAL__N_125multi_tensor_apply_kernelINS1_18TensorListMetadataILi2EEENS1_24BinaryOpListAlphaFunctorIN3c107complexIfEELi2ELi2ELi0EEEJSt7dividesIS8_ES8_EEEvT_T0_DpT1_
		.amdhsa_group_segment_fixed_size 0
		.amdhsa_private_segment_fixed_size 0
		.amdhsa_kernarg_size 3416
		.amdhsa_user_sgpr_count 15
		.amdhsa_user_sgpr_dispatch_ptr 0
		.amdhsa_user_sgpr_queue_ptr 0
		.amdhsa_user_sgpr_kernarg_segment_ptr 1
		.amdhsa_user_sgpr_dispatch_id 0
		.amdhsa_user_sgpr_private_segment_size 0
		.amdhsa_wavefront_size32 1
		.amdhsa_uses_dynamic_stack 0
		.amdhsa_enable_private_segment 0
		.amdhsa_system_sgpr_workgroup_id_x 1
		.amdhsa_system_sgpr_workgroup_id_y 0
		.amdhsa_system_sgpr_workgroup_id_z 0
		.amdhsa_system_sgpr_workgroup_info 0
		.amdhsa_system_vgpr_workitem_id 0
		.amdhsa_next_free_vgpr 44
		.amdhsa_next_free_sgpr 26
		.amdhsa_reserve_vcc 1
		.amdhsa_float_round_mode_32 0
		.amdhsa_float_round_mode_16_64 0
		.amdhsa_float_denorm_mode_32 3
		.amdhsa_float_denorm_mode_16_64 3
		.amdhsa_dx10_clamp 1
		.amdhsa_ieee_mode 1
		.amdhsa_fp16_overflow 0
		.amdhsa_workgroup_processor_mode 1
		.amdhsa_memory_ordered 1
		.amdhsa_forward_progress 0
		.amdhsa_shared_vgpr_count 0
		.amdhsa_exception_fp_ieee_invalid_op 0
		.amdhsa_exception_fp_denorm_src 0
		.amdhsa_exception_fp_ieee_div_zero 0
		.amdhsa_exception_fp_ieee_overflow 0
		.amdhsa_exception_fp_ieee_underflow 0
		.amdhsa_exception_fp_ieee_inexact 0
		.amdhsa_exception_int_div_zero 0
	.end_amdhsa_kernel
	.section	.text._ZN2at6native12_GLOBAL__N_125multi_tensor_apply_kernelINS1_18TensorListMetadataILi2EEENS1_24BinaryOpListAlphaFunctorIN3c107complexIfEELi2ELi2ELi0EEEJSt7dividesIS8_ES8_EEEvT_T0_DpT1_,"axG",@progbits,_ZN2at6native12_GLOBAL__N_125multi_tensor_apply_kernelINS1_18TensorListMetadataILi2EEENS1_24BinaryOpListAlphaFunctorIN3c107complexIfEELi2ELi2ELi0EEEJSt7dividesIS8_ES8_EEEvT_T0_DpT1_,comdat
.Lfunc_end80:
	.size	_ZN2at6native12_GLOBAL__N_125multi_tensor_apply_kernelINS1_18TensorListMetadataILi2EEENS1_24BinaryOpListAlphaFunctorIN3c107complexIfEELi2ELi2ELi0EEEJSt7dividesIS8_ES8_EEEvT_T0_DpT1_, .Lfunc_end80-_ZN2at6native12_GLOBAL__N_125multi_tensor_apply_kernelINS1_18TensorListMetadataILi2EEENS1_24BinaryOpListAlphaFunctorIN3c107complexIfEELi2ELi2ELi0EEEJSt7dividesIS8_ES8_EEEvT_T0_DpT1_
                                        ; -- End function
	.section	.AMDGPU.csdata,"",@progbits
; Kernel info:
; codeLenInByte = 7512
; NumSgprs: 28
; NumVgprs: 44
; ScratchSize: 0
; MemoryBound: 1
; FloatMode: 240
; IeeeMode: 1
; LDSByteSize: 0 bytes/workgroup (compile time only)
; SGPRBlocks: 3
; VGPRBlocks: 5
; NumSGPRsForWavesPerEU: 28
; NumVGPRsForWavesPerEU: 44
; Occupancy: 16
; WaveLimiterHint : 0
; COMPUTE_PGM_RSRC2:SCRATCH_EN: 0
; COMPUTE_PGM_RSRC2:USER_SGPR: 15
; COMPUTE_PGM_RSRC2:TRAP_HANDLER: 0
; COMPUTE_PGM_RSRC2:TGID_X_EN: 1
; COMPUTE_PGM_RSRC2:TGID_Y_EN: 0
; COMPUTE_PGM_RSRC2:TGID_Z_EN: 0
; COMPUTE_PGM_RSRC2:TIDIG_COMP_CNT: 0
	.section	.text._ZN2at6native12_GLOBAL__N_125multi_tensor_apply_kernelINS1_18TensorListMetadataILi2EEENS1_24BinaryOpListAlphaFunctorIbLi2ELi2ELi0EEEJSt7dividesIbEbEEEvT_T0_DpT1_,"axG",@progbits,_ZN2at6native12_GLOBAL__N_125multi_tensor_apply_kernelINS1_18TensorListMetadataILi2EEENS1_24BinaryOpListAlphaFunctorIbLi2ELi2ELi0EEEJSt7dividesIbEbEEEvT_T0_DpT1_,comdat
	.globl	_ZN2at6native12_GLOBAL__N_125multi_tensor_apply_kernelINS1_18TensorListMetadataILi2EEENS1_24BinaryOpListAlphaFunctorIbLi2ELi2ELi0EEEJSt7dividesIbEbEEEvT_T0_DpT1_ ; -- Begin function _ZN2at6native12_GLOBAL__N_125multi_tensor_apply_kernelINS1_18TensorListMetadataILi2EEENS1_24BinaryOpListAlphaFunctorIbLi2ELi2ELi0EEEJSt7dividesIbEbEEEvT_T0_DpT1_
	.p2align	8
	.type	_ZN2at6native12_GLOBAL__N_125multi_tensor_apply_kernelINS1_18TensorListMetadataILi2EEENS1_24BinaryOpListAlphaFunctorIbLi2ELi2ELi0EEEJSt7dividesIbEbEEEvT_T0_DpT1_,@function
_ZN2at6native12_GLOBAL__N_125multi_tensor_apply_kernelINS1_18TensorListMetadataILi2EEENS1_24BinaryOpListAlphaFunctorIbLi2ELi2ELi0EEEJSt7dividesIbEbEEEvT_T0_DpT1_: ; @_ZN2at6native12_GLOBAL__N_125multi_tensor_apply_kernelINS1_18TensorListMetadataILi2EEENS1_24BinaryOpListAlphaFunctorIbLi2ELi2ELi0EEEJSt7dividesIbEbEEEvT_T0_DpT1_
; %bb.0:
	v_mov_b32_e32 v1, s15
	s_add_u32 s2, s0, s15
	s_mul_hi_u32 s3, s15, 3
	s_mul_i32 s15, s15, 3
	s_addc_u32 s4, s1, 0
	global_load_u8 v1, v1, s[0:1] offset:1536
	s_add_u32 s2, s2, s15
	s_addc_u32 s3, s4, s3
	s_load_b32 s4, s[2:3], 0x740
	s_waitcnt vmcnt(0)
	v_readfirstlane_b32 s5, v1
	s_delay_alu instid0(VALU_DEP_1)
	s_lshl_b32 s5, s5, 3
	s_clause 0x2
	s_load_b64 s[2:3], s[0:1], s5 offset:0x0
	s_load_b64 s[6:7], s[0:1], s5 offset:0x400
	s_load_b32 s8, s[0:1], s5 offset:0x200
	s_waitcnt lgkmcnt(0)
	s_ashr_i32 s5, s4, 31
	s_delay_alu instid0(SALU_CYCLE_1) | instskip(NEXT) | instid1(SALU_CYCLE_1)
	s_lshl_b64 s[10:11], s[4:5], 16
	s_add_u32 s4, s2, s10
	s_addc_u32 s5, s3, s11
	s_delay_alu instid0(SALU_CYCLE_1) | instskip(NEXT) | instid1(SALU_CYCLE_1)
	s_or_b64 s[4:5], s[6:7], s[4:5]
	s_or_b32 s4, s8, s4
	s_delay_alu instid0(SALU_CYCLE_1)
	s_and_b32 s8, s4, 3
	s_sub_u32 s4, s6, s10
	s_subb_u32 s5, s7, s11
	s_cmp_lg_u32 s8, 0
	v_cmp_gt_i64_e64 s6, s[4:5], 0
	s_cselect_b32 s7, -1, 0
	s_delay_alu instid0(VALU_DEP_1) | instid1(SALU_CYCLE_1)
	s_and_b32 s6, s7, s6
	s_delay_alu instid0(SALU_CYCLE_1)
	s_and_not1_b32 vcc_lo, exec_lo, s6
	s_mov_b64 s[6:7], 0
	s_cbranch_vccnz .LBB81_19
; %bb.1:
	s_load_b32 s0, s[0:1], 0xc5c
	v_add_co_u32 v11, s1, s10, v0
	s_delay_alu instid0(VALU_DEP_1) | instskip(SKIP_1) | instid1(VALU_DEP_3)
	v_add_co_ci_u32_e64 v12, null, s11, 0, s1
	v_cmp_gt_u64_e64 s1, 0x10000, s[4:5]
	v_add_co_u32 v1, vcc_lo, s2, v11
	s_delay_alu instid0(VALU_DEP_3) | instskip(SKIP_2) | instid1(VALU_DEP_3)
	v_add_co_ci_u32_e32 v2, vcc_lo, s3, v12, vcc_lo
	s_waitcnt lgkmcnt(0)
	s_and_b32 s0, s0, 0xffff
	s_and_b32 s1, s1, exec_lo
	s_mul_i32 s13, s0, 3
	s_cselect_b32 s9, s5, 0
	s_cselect_b32 s8, s4, 0x10000
	s_lshl_b32 s1, s0, 1
	s_lshl_b32 s12, s0, 2
	s_add_u32 s14, s10, s13
	v_add_co_u32 v3, s13, s13, v0
	s_delay_alu instid0(VALU_DEP_1)
	v_add_co_ci_u32_e64 v4, null, 0, 0, s13
	s_addc_u32 s13, s11, 0
	s_add_u32 s14, s2, s14
	s_addc_u32 s13, s3, s13
	s_add_u32 s10, s10, s1
	;; [unrolled: 2-line block ×3, first 2 shown]
	v_add_co_u32 v9, s1, s1, v0
	s_addc_u32 s11, s3, s11
	v_add_co_ci_u32_e64 v10, null, 0, 0, s1
	s_add_u32 s1, s2, s0
	v_add_co_u32 v5, s14, s14, v0
	v_add_co_u32 v7, s10, s10, v0
	s_addc_u32 s2, s3, 0
	v_add_co_u32 v11, vcc_lo, s1, v11
	v_add_co_u32 v13, s0, v0, s0
	v_add_co_ci_u32_e64 v6, null, s13, 0, s14
	v_add_co_ci_u32_e64 v8, null, s11, 0, s10
	v_add_co_ci_u32_e32 v12, vcc_lo, s2, v12, vcc_lo
	v_add_co_ci_u32_e64 v14, null, 0, 0, s0
	s_branch .LBB81_3
.LBB81_2:                               ;   in Loop: Header=BB81_3 Depth=1
	s_or_b32 exec_lo, exec_lo, s0
	s_add_u32 s6, s6, s12
	s_addc_u32 s7, s7, 0
	s_delay_alu instid0(SALU_CYCLE_1) | instskip(SKIP_1) | instid1(VALU_DEP_1)
	v_cmp_lt_i64_e64 s0, s[6:7], s[4:5]
	v_cmp_gt_u64_e64 s1, 0x10000, s[6:7]
	s_and_b32 s0, s0, s1
	s_delay_alu instid0(SALU_CYCLE_1)
	s_and_b32 vcc_lo, exec_lo, s0
	s_cbranch_vccz .LBB81_19
.LBB81_3:                               ; =>This Inner Loop Header: Depth=1
	s_waitcnt vmcnt(0)
	v_add_co_u32 v15, s0, v0, s6
	s_delay_alu instid0(VALU_DEP_1) | instskip(NEXT) | instid1(VALU_DEP_1)
	v_add_co_ci_u32_e64 v16, null, 0, s7, s0
	v_cmp_gt_u64_e32 vcc_lo, s[8:9], v[15:16]
	v_mov_b32_e32 v15, 0
	s_and_saveexec_b32 s1, vcc_lo
	s_cbranch_execz .LBB81_5
; %bb.4:                                ;   in Loop: Header=BB81_3 Depth=1
	v_add_co_u32 v15, s0, v1, s6
	s_delay_alu instid0(VALU_DEP_1)
	v_add_co_ci_u32_e64 v16, s0, s7, v2, s0
	global_load_u8 v15, v[15:16], off
.LBB81_5:                               ;   in Loop: Header=BB81_3 Depth=1
	s_or_b32 exec_lo, exec_lo, s1
	v_add_co_u32 v16, s0, v13, s6
	s_delay_alu instid0(VALU_DEP_1) | instskip(NEXT) | instid1(VALU_DEP_1)
	v_add_co_ci_u32_e64 v17, s0, s7, v14, s0
	v_cmp_gt_u64_e64 s0, s[8:9], v[16:17]
	v_mov_b32_e32 v17, 0
	s_delay_alu instid0(VALU_DEP_2)
	s_and_saveexec_b32 s2, s0
	s_cbranch_execz .LBB81_7
; %bb.6:                                ;   in Loop: Header=BB81_3 Depth=1
	v_add_co_u32 v16, s1, v11, s6
	s_delay_alu instid0(VALU_DEP_1)
	v_add_co_ci_u32_e64 v17, s1, s7, v12, s1
	global_load_u8 v17, v[16:17], off
.LBB81_7:                               ;   in Loop: Header=BB81_3 Depth=1
	s_or_b32 exec_lo, exec_lo, s2
	v_add_co_u32 v18, s1, v9, s6
	s_delay_alu instid0(VALU_DEP_1) | instskip(SKIP_1) | instid1(VALU_DEP_2)
	v_add_co_ci_u32_e64 v19, s1, s7, v10, s1
	v_mov_b32_e32 v16, 0
	v_cmp_gt_u64_e64 s1, s[8:9], v[18:19]
	v_mov_b32_e32 v18, 0
	s_delay_alu instid0(VALU_DEP_2)
	s_and_saveexec_b32 s3, s1
	s_cbranch_execz .LBB81_9
; %bb.8:                                ;   in Loop: Header=BB81_3 Depth=1
	v_add_co_u32 v18, s2, v7, s6
	s_delay_alu instid0(VALU_DEP_1)
	v_add_co_ci_u32_e64 v19, s2, s7, v8, s2
	global_load_u8 v18, v[18:19], off
.LBB81_9:                               ;   in Loop: Header=BB81_3 Depth=1
	s_or_b32 exec_lo, exec_lo, s3
	v_add_co_u32 v19, s2, v3, s6
	s_delay_alu instid0(VALU_DEP_1) | instskip(NEXT) | instid1(VALU_DEP_1)
	v_add_co_ci_u32_e64 v20, s2, s7, v4, s2
	v_cmp_gt_u64_e64 s2, s[8:9], v[19:20]
	s_delay_alu instid0(VALU_DEP_1)
	s_and_saveexec_b32 s10, s2
	s_cbranch_execnz .LBB81_14
; %bb.10:                               ;   in Loop: Header=BB81_3 Depth=1
	s_or_b32 exec_lo, exec_lo, s10
	s_and_saveexec_b32 s3, vcc_lo
	s_cbranch_execnz .LBB81_15
.LBB81_11:                              ;   in Loop: Header=BB81_3 Depth=1
	s_or_b32 exec_lo, exec_lo, s3
	s_and_saveexec_b32 s3, s0
	s_cbranch_execnz .LBB81_16
.LBB81_12:                              ;   in Loop: Header=BB81_3 Depth=1
	s_or_b32 exec_lo, exec_lo, s3
	s_and_saveexec_b32 s0, s1
	s_cbranch_execnz .LBB81_17
.LBB81_13:                              ;   in Loop: Header=BB81_3 Depth=1
	s_or_b32 exec_lo, exec_lo, s0
	s_and_saveexec_b32 s0, s2
	s_cbranch_execz .LBB81_2
	s_branch .LBB81_18
.LBB81_14:                              ;   in Loop: Header=BB81_3 Depth=1
	v_add_co_u32 v19, s3, v5, s6
	s_delay_alu instid0(VALU_DEP_1)
	v_add_co_ci_u32_e64 v20, s3, s7, v6, s3
	global_load_u8 v16, v[19:20], off
	s_or_b32 exec_lo, exec_lo, s10
	s_and_saveexec_b32 s3, vcc_lo
	s_cbranch_execz .LBB81_11
.LBB81_15:                              ;   in Loop: Header=BB81_3 Depth=1
	v_add_co_u32 v19, vcc_lo, v1, s6
	v_add_co_ci_u32_e32 v20, vcc_lo, s7, v2, vcc_lo
	s_waitcnt vmcnt(0)
	global_store_b8 v[19:20], v15, off
	s_or_b32 exec_lo, exec_lo, s3
	s_and_saveexec_b32 s3, s0
	s_cbranch_execz .LBB81_12
.LBB81_16:                              ;   in Loop: Header=BB81_3 Depth=1
	v_add_co_u32 v19, vcc_lo, v11, s6
	v_add_co_ci_u32_e32 v20, vcc_lo, s7, v12, vcc_lo
	s_waitcnt vmcnt(0)
	global_store_b8 v[19:20], v17, off
	s_or_b32 exec_lo, exec_lo, s3
	s_and_saveexec_b32 s0, s1
	s_cbranch_execz .LBB81_13
.LBB81_17:                              ;   in Loop: Header=BB81_3 Depth=1
	v_add_co_u32 v19, vcc_lo, v7, s6
	v_add_co_ci_u32_e32 v20, vcc_lo, s7, v8, vcc_lo
	s_waitcnt vmcnt(0)
	global_store_b8 v[19:20], v18, off
	s_or_b32 exec_lo, exec_lo, s0
	s_and_saveexec_b32 s0, s2
	s_cbranch_execz .LBB81_2
.LBB81_18:                              ;   in Loop: Header=BB81_3 Depth=1
	s_waitcnt vmcnt(0)
	v_add_co_u32 v17, vcc_lo, v5, s6
	v_add_co_ci_u32_e32 v18, vcc_lo, s7, v6, vcc_lo
	global_store_b8 v[17:18], v16, off
	s_branch .LBB81_2
.LBB81_19:
	s_nop 0
	s_sendmsg sendmsg(MSG_DEALLOC_VGPRS)
	s_endpgm
	.section	.rodata,"a",@progbits
	.p2align	6, 0x0
	.amdhsa_kernel _ZN2at6native12_GLOBAL__N_125multi_tensor_apply_kernelINS1_18TensorListMetadataILi2EEENS1_24BinaryOpListAlphaFunctorIbLi2ELi2ELi0EEEJSt7dividesIbEbEEEvT_T0_DpT1_
		.amdhsa_group_segment_fixed_size 0
		.amdhsa_private_segment_fixed_size 0
		.amdhsa_kernarg_size 3408
		.amdhsa_user_sgpr_count 15
		.amdhsa_user_sgpr_dispatch_ptr 0
		.amdhsa_user_sgpr_queue_ptr 0
		.amdhsa_user_sgpr_kernarg_segment_ptr 1
		.amdhsa_user_sgpr_dispatch_id 0
		.amdhsa_user_sgpr_private_segment_size 0
		.amdhsa_wavefront_size32 1
		.amdhsa_uses_dynamic_stack 0
		.amdhsa_enable_private_segment 0
		.amdhsa_system_sgpr_workgroup_id_x 1
		.amdhsa_system_sgpr_workgroup_id_y 0
		.amdhsa_system_sgpr_workgroup_id_z 0
		.amdhsa_system_sgpr_workgroup_info 0
		.amdhsa_system_vgpr_workitem_id 0
		.amdhsa_next_free_vgpr 21
		.amdhsa_next_free_sgpr 16
		.amdhsa_reserve_vcc 1
		.amdhsa_float_round_mode_32 0
		.amdhsa_float_round_mode_16_64 0
		.amdhsa_float_denorm_mode_32 3
		.amdhsa_float_denorm_mode_16_64 3
		.amdhsa_dx10_clamp 1
		.amdhsa_ieee_mode 1
		.amdhsa_fp16_overflow 0
		.amdhsa_workgroup_processor_mode 1
		.amdhsa_memory_ordered 1
		.amdhsa_forward_progress 0
		.amdhsa_shared_vgpr_count 0
		.amdhsa_exception_fp_ieee_invalid_op 0
		.amdhsa_exception_fp_denorm_src 0
		.amdhsa_exception_fp_ieee_div_zero 0
		.amdhsa_exception_fp_ieee_overflow 0
		.amdhsa_exception_fp_ieee_underflow 0
		.amdhsa_exception_fp_ieee_inexact 0
		.amdhsa_exception_int_div_zero 0
	.end_amdhsa_kernel
	.section	.text._ZN2at6native12_GLOBAL__N_125multi_tensor_apply_kernelINS1_18TensorListMetadataILi2EEENS1_24BinaryOpListAlphaFunctorIbLi2ELi2ELi0EEEJSt7dividesIbEbEEEvT_T0_DpT1_,"axG",@progbits,_ZN2at6native12_GLOBAL__N_125multi_tensor_apply_kernelINS1_18TensorListMetadataILi2EEENS1_24BinaryOpListAlphaFunctorIbLi2ELi2ELi0EEEJSt7dividesIbEbEEEvT_T0_DpT1_,comdat
.Lfunc_end81:
	.size	_ZN2at6native12_GLOBAL__N_125multi_tensor_apply_kernelINS1_18TensorListMetadataILi2EEENS1_24BinaryOpListAlphaFunctorIbLi2ELi2ELi0EEEJSt7dividesIbEbEEEvT_T0_DpT1_, .Lfunc_end81-_ZN2at6native12_GLOBAL__N_125multi_tensor_apply_kernelINS1_18TensorListMetadataILi2EEENS1_24BinaryOpListAlphaFunctorIbLi2ELi2ELi0EEEJSt7dividesIbEbEEEvT_T0_DpT1_
                                        ; -- End function
	.section	.AMDGPU.csdata,"",@progbits
; Kernel info:
; codeLenInByte = 976
; NumSgprs: 18
; NumVgprs: 21
; ScratchSize: 0
; MemoryBound: 0
; FloatMode: 240
; IeeeMode: 1
; LDSByteSize: 0 bytes/workgroup (compile time only)
; SGPRBlocks: 2
; VGPRBlocks: 2
; NumSGPRsForWavesPerEU: 18
; NumVGPRsForWavesPerEU: 21
; Occupancy: 16
; WaveLimiterHint : 0
; COMPUTE_PGM_RSRC2:SCRATCH_EN: 0
; COMPUTE_PGM_RSRC2:USER_SGPR: 15
; COMPUTE_PGM_RSRC2:TRAP_HANDLER: 0
; COMPUTE_PGM_RSRC2:TGID_X_EN: 1
; COMPUTE_PGM_RSRC2:TGID_Y_EN: 0
; COMPUTE_PGM_RSRC2:TGID_Z_EN: 0
; COMPUTE_PGM_RSRC2:TIDIG_COMP_CNT: 0
	.section	.text._ZN2at6native12_GLOBAL__N_125multi_tensor_apply_kernelINS1_18TensorListMetadataILi2EEENS1_24BinaryOpListAlphaFunctorIN3c108BFloat16ELi2ELi2ELi0EEEJSt7dividesIfEfEEEvT_T0_DpT1_,"axG",@progbits,_ZN2at6native12_GLOBAL__N_125multi_tensor_apply_kernelINS1_18TensorListMetadataILi2EEENS1_24BinaryOpListAlphaFunctorIN3c108BFloat16ELi2ELi2ELi0EEEJSt7dividesIfEfEEEvT_T0_DpT1_,comdat
	.globl	_ZN2at6native12_GLOBAL__N_125multi_tensor_apply_kernelINS1_18TensorListMetadataILi2EEENS1_24BinaryOpListAlphaFunctorIN3c108BFloat16ELi2ELi2ELi0EEEJSt7dividesIfEfEEEvT_T0_DpT1_ ; -- Begin function _ZN2at6native12_GLOBAL__N_125multi_tensor_apply_kernelINS1_18TensorListMetadataILi2EEENS1_24BinaryOpListAlphaFunctorIN3c108BFloat16ELi2ELi2ELi0EEEJSt7dividesIfEfEEEvT_T0_DpT1_
	.p2align	8
	.type	_ZN2at6native12_GLOBAL__N_125multi_tensor_apply_kernelINS1_18TensorListMetadataILi2EEENS1_24BinaryOpListAlphaFunctorIN3c108BFloat16ELi2ELi2ELi0EEEJSt7dividesIfEfEEEvT_T0_DpT1_,@function
_ZN2at6native12_GLOBAL__N_125multi_tensor_apply_kernelINS1_18TensorListMetadataILi2EEENS1_24BinaryOpListAlphaFunctorIN3c108BFloat16ELi2ELi2ELi0EEEJSt7dividesIfEfEEEvT_T0_DpT1_: ; @_ZN2at6native12_GLOBAL__N_125multi_tensor_apply_kernelINS1_18TensorListMetadataILi2EEENS1_24BinaryOpListAlphaFunctorIN3c108BFloat16ELi2ELi2ELi0EEEJSt7dividesIfEfEEEvT_T0_DpT1_
; %bb.0:
	v_mov_b32_e32 v1, s15
	s_add_u32 s2, s0, s15
	s_mul_hi_u32 s3, s15, 3
	s_mul_i32 s15, s15, 3
	s_addc_u32 s4, s1, 0
	global_load_u8 v1, v1, s[0:1] offset:1536
	s_add_u32 s2, s2, s15
	s_addc_u32 s3, s4, s3
	s_mov_b32 s7, 0
	s_load_b32 s2, s[2:3], 0x740
	s_mov_b32 s19, s7
	s_mov_b32 s11, s7
	s_waitcnt vmcnt(0)
	v_readfirstlane_b32 s3, v1
	s_delay_alu instid0(VALU_DEP_1)
	s_lshl_b32 s3, s3, 3
	s_clause 0x3
	s_load_b64 s[12:13], s[0:1], s3 offset:0x0
	s_load_b64 s[14:15], s[0:1], s3 offset:0x200
	;; [unrolled: 1-line block ×3, first 2 shown]
	s_load_b32 s16, s[0:1], 0xc4c
	s_waitcnt lgkmcnt(0)
	s_ashr_i32 s3, s2, 31
	s_delay_alu instid0(SALU_CYCLE_1) | instskip(SKIP_4) | instid1(SALU_CYCLE_1)
	s_lshl_b64 s[8:9], s[2:3], 17
	s_lshl_b64 s[2:3], s[2:3], 16
	s_and_b32 s6, s12, 7
	s_and_b32 s10, s14, 7
	;; [unrolled: 1-line block ×3, first 2 shown]
	s_or_b64 s[6:7], s[6:7], s[18:19]
	s_delay_alu instid0(SALU_CYCLE_1)
	s_or_b64 s[6:7], s[10:11], s[6:7]
	s_sub_u32 s10, s4, s2
	s_subb_u32 s11, s5, s3
	s_cmp_eq_u64 s[6:7], 0
	s_mov_b32 s2, -1
	s_cbranch_scc0 .LBB82_5
; %bb.1:
	v_dual_mov_b32 v2, 0 :: v_dual_lshlrev_b32 v1, 2, v0
	s_mov_b32 s17, exec_lo
	s_delay_alu instid0(VALU_DEP_1)
	v_cmpx_gt_i64_e64 s[10:11], v[1:2]
	s_cbranch_execz .LBB82_4
; %bb.2:
	s_load_b32 s2, s[0:1], 0xc5c
	v_lshlrev_b32_e32 v1, 3, v0
	s_mov_b32 s18, 0
	s_delay_alu instid0(VALU_DEP_1) | instskip(NEXT) | instid1(VALU_DEP_1)
	v_add_co_u32 v3, s3, s8, v1
	v_add_co_ci_u32_e64 v4, null, s9, 0, s3
	s_waitcnt lgkmcnt(0)
	s_and_b32 s2, s2, 0xffff
	s_delay_alu instid0(SALU_CYCLE_1)
	v_add_lshl_u32 v1, v0, s2, 2
	s_lshl_b32 s19, s2, 3
	s_lshl_b32 s20, s2, 2
.LBB82_3:                               ; =>This Inner Loop Header: Depth=1
	v_add_co_u32 v5, vcc_lo, s14, v3
	v_add_co_ci_u32_e32 v6, vcc_lo, s15, v4, vcc_lo
	v_add_co_u32 v7, vcc_lo, s12, v3
	v_add_co_ci_u32_e32 v8, vcc_lo, s13, v4, vcc_lo
	v_add_co_u32 v3, vcc_lo, v3, s19
	global_load_b64 v[5:6], v[5:6], off
	global_load_b64 v[9:10], v[7:8], off
	v_add_co_ci_u32_e32 v4, vcc_lo, 0, v4, vcc_lo
	v_cmp_le_i64_e64 s2, s[10:11], v[1:2]
	v_cmp_lt_u64_e64 s3, 0xffff, v[1:2]
	v_add_co_u32 v1, s4, v1, s20
	s_delay_alu instid0(VALU_DEP_2) | instskip(NEXT) | instid1(SALU_CYCLE_1)
	s_or_b32 s2, s2, s3
	s_and_b32 s2, exec_lo, s2
	s_delay_alu instid0(SALU_CYCLE_1) | instskip(SKIP_3) | instid1(VALU_DEP_1)
	s_or_b32 s18, s2, s18
	s_waitcnt vmcnt(1)
	v_and_b32_e32 v14, 0xffff0000, v5
	s_waitcnt vmcnt(0)
	v_dual_mul_f32 v14, s16, v14 :: v_dual_and_b32 v13, 0xffff0000, v9
	s_delay_alu instid0(VALU_DEP_1) | instskip(SKIP_1) | instid1(VALU_DEP_2)
	v_div_scale_f32 v17, null, v14, v14, v13
	v_div_scale_f32 v18, s5, v13, v14, v13
	v_rcp_f32_e32 v22, v17
	s_waitcnt_depctr 0xfff
	v_fma_f32 v28, -v17, v22, 1.0
	s_delay_alu instid0(VALU_DEP_1)
	v_fmac_f32_e32 v22, v28, v22
	v_lshlrev_b32_e32 v12, 16, v5
	v_lshlrev_b32_e32 v11, 16, v9
	v_alignbit_b32 v9, v10, v9, 16
	v_alignbit_b32 v5, v6, v5, 16
	v_and_b32_e32 v6, 0xffff0000, v6
	s_delay_alu instid0(VALU_DEP_3) | instskip(NEXT) | instid1(VALU_DEP_3)
	v_and_b32_e32 v9, 0xffff0000, v9
	v_and_b32_e32 v5, 0xffff0000, v5
	v_and_b32_e32 v10, 0xffff0000, v10
	s_delay_alu instid0(VALU_DEP_2) | instskip(NEXT) | instid1(VALU_DEP_1)
	v_dual_mul_f32 v6, s16, v6 :: v_dual_mul_f32 v5, s16, v5
	v_div_scale_f32 v19, null, v6, v6, v10
	v_div_scale_f32 v20, s6, v10, v6, v10
	s_delay_alu instid0(VALU_DEP_3) | instskip(NEXT) | instid1(VALU_DEP_3)
	v_div_scale_f32 v23, null, v5, v5, v9
	v_rcp_f32_e32 v24, v19
	v_div_scale_f32 v25, s7, v9, v5, v9
	s_delay_alu instid0(VALU_DEP_2) | instskip(SKIP_2) | instid1(VALU_DEP_1)
	v_rcp_f32_e32 v26, v23
	s_waitcnt_depctr 0xfff
	v_fma_f32 v29, -v19, v24, 1.0
	v_dual_fmac_f32 v24, v29, v24 :: v_dual_mul_f32 v29, v18, v22
	v_mul_f32_e32 v12, s16, v12
	s_delay_alu instid0(VALU_DEP_2) | instskip(NEXT) | instid1(VALU_DEP_2)
	v_fma_f32 v31, -v17, v29, v18
	v_div_scale_f32 v15, null, v12, v12, v11
	v_div_scale_f32 v16, vcc_lo, v11, v12, v11
	s_delay_alu instid0(VALU_DEP_2) | instskip(SKIP_2) | instid1(VALU_DEP_1)
	v_rcp_f32_e32 v21, v15
	s_waitcnt_depctr 0xfff
	v_fma_f32 v27, -v15, v21, 1.0
	v_fmac_f32_e32 v21, v27, v21
	v_fma_f32 v27, -v23, v26, 1.0
	s_delay_alu instid0(VALU_DEP_1) | instskip(NEXT) | instid1(VALU_DEP_1)
	v_dual_fmac_f32 v26, v27, v26 :: v_dual_mul_f32 v27, v20, v24
	v_mul_f32_e32 v32, v25, v26
	s_delay_alu instid0(VALU_DEP_2) | instskip(NEXT) | instid1(VALU_DEP_1)
	v_fma_f32 v33, -v19, v27, v20
	v_dual_fmac_f32 v27, v33, v24 :: v_dual_mul_f32 v28, v16, v21
	v_fmac_f32_e32 v29, v31, v22
	s_delay_alu instid0(VALU_DEP_2) | instskip(NEXT) | instid1(VALU_DEP_1)
	v_fma_f32 v30, -v15, v28, v16
	v_fmac_f32_e32 v28, v30, v21
	v_fma_f32 v30, -v23, v32, v25
	s_delay_alu instid0(VALU_DEP_2) | instskip(NEXT) | instid1(VALU_DEP_2)
	v_fma_f32 v15, -v15, v28, v16
	v_fmac_f32_e32 v32, v30, v26
	v_fma_f32 v16, -v17, v29, v18
	v_fma_f32 v17, -v19, v27, v20
	s_delay_alu instid0(VALU_DEP_4) | instskip(NEXT) | instid1(VALU_DEP_4)
	v_div_fmas_f32 v15, v15, v21, v28
	v_fma_f32 v18, -v23, v32, v25
	s_mov_b32 vcc_lo, s5
	v_div_fmas_f32 v16, v16, v22, v29
	s_mov_b32 vcc_lo, s7
	v_div_fixup_f32 v11, v15, v12, v11
	v_div_fmas_f32 v12, v18, v26, v32
	s_mov_b32 vcc_lo, s6
	v_div_fixup_f32 v13, v16, v14, v13
	v_div_fmas_f32 v15, v17, v24, v27
	v_bfe_u32 v14, v11, 16, 1
	v_div_fixup_f32 v5, v12, v5, v9
	v_cmp_o_f32_e32 vcc_lo, v11, v11
	v_bfe_u32 v9, v13, 16, 1
	v_div_fixup_f32 v6, v15, v6, v10
	v_add3_u32 v10, v11, v14, 0x7fff
	v_bfe_u32 v12, v5, 16, 1
	v_cmp_o_f32_e64 s5, v13, v13
	v_add3_u32 v9, v13, v9, 0x7fff
	v_bfe_u32 v14, v6, 16, 1
	v_lshrrev_b32_e32 v10, 16, v10
	v_add3_u32 v12, v5, v12, 0x7fff
	s_delay_alu instid0(VALU_DEP_4) | instskip(NEXT) | instid1(VALU_DEP_4)
	v_and_b32_e32 v9, 0xffff0000, v9
	v_add3_u32 v11, v6, v14, 0x7fff
	s_delay_alu instid0(VALU_DEP_4) | instskip(NEXT) | instid1(VALU_DEP_4)
	v_cndmask_b32_e32 v10, 0x7fc0, v10, vcc_lo
	v_lshrrev_b32_e32 v12, 16, v12
	v_cmp_o_f32_e32 vcc_lo, v5, v5
	v_cndmask_b32_e64 v9, 0x7fc00000, v9, s5
	v_and_b32_e32 v11, 0xffff0000, v11
	v_cmp_o_f32_e64 s5, v6, v6
	v_cndmask_b32_e32 v5, 0x7fc0, v12, vcc_lo
	s_delay_alu instid0(VALU_DEP_4) | instskip(SKIP_1) | instid1(VALU_DEP_4)
	v_or_b32_e32 v9, v10, v9
	v_add_co_ci_u32_e64 v2, vcc_lo, 0, v2, s4
	v_cndmask_b32_e64 v6, 0x7fc00000, v11, s5
	s_delay_alu instid0(VALU_DEP_1) | instskip(NEXT) | instid1(VALU_DEP_4)
	v_or3_b32 v6, 0, v5, v6
	v_or3_b32 v5, v9, 0, 0
	global_store_b64 v[7:8], v[5:6], off
	s_and_not1_b32 exec_lo, exec_lo, s18
	s_cbranch_execnz .LBB82_3
.LBB82_4:
	s_or_b32 exec_lo, exec_lo, s17
	s_mov_b32 s2, 0
.LBB82_5:
	s_delay_alu instid0(SALU_CYCLE_1)
	s_and_not1_b32 vcc_lo, exec_lo, s2
	s_cbranch_vccnz .LBB82_25
; %bb.6:
	v_cmp_lt_i64_e64 s2, s[10:11], 1
	s_delay_alu instid0(VALU_DEP_1)
	s_and_b32 vcc_lo, exec_lo, s2
	s_cbranch_vccnz .LBB82_25
; %bb.7:
	s_load_b32 s0, s[0:1], 0xc5c
	v_dual_mov_b32 v2, 0 :: v_dual_lshlrev_b32 v1, 1, v0
	v_cmp_gt_u64_e64 s1, 0x10000, s[10:11]
	s_mov_b64 s[6:7], 0
	s_delay_alu instid0(VALU_DEP_2) | instskip(NEXT) | instid1(VALU_DEP_1)
	v_add_co_u32 v3, s2, s12, v1
	v_add_co_ci_u32_e64 v4, null, s13, 0, s2
	v_add_co_u32 v5, s2, s14, v1
	s_delay_alu instid0(VALU_DEP_1)
	v_add_co_ci_u32_e64 v6, null, s15, 0, s2
	s_waitcnt lgkmcnt(0)
	s_and_b32 s0, s0, 0xffff
	s_and_b32 s1, s1, exec_lo
	v_mad_u64_u32 v[9:10], null, s0, 6, v[1:2]
	s_cselect_b32 s5, s11, 0
	s_cselect_b32 s4, s10, 0x10000
	s_lshl_b32 s17, s0, 2
	s_mul_i32 s2, s0, 3
	v_add_co_u32 v1, s3, s17, v1
	s_delay_alu instid0(VALU_DEP_2) | instskip(NEXT) | instid1(VALU_DEP_3)
	v_add_co_u32 v7, vcc_lo, s12, v9
	v_add_co_ci_u32_e32 v8, vcc_lo, s13, v10, vcc_lo
	v_add_co_u32 v11, s2, s2, v0
	v_add_co_u32 v9, vcc_lo, s14, v9
	v_add_co_ci_u32_e64 v2, null, 0, 0, s3
	v_add_co_ci_u32_e64 v12, null, 0, 0, s2
	v_add_co_u32 v15, s2, v0, s0
	v_add_co_ci_u32_e32 v10, vcc_lo, s15, v10, vcc_lo
	v_add_co_u32 v13, vcc_lo, s12, v1
	v_add_co_ci_u32_e32 v14, vcc_lo, s13, v2, vcc_lo
	v_add_co_u32 v16, vcc_lo, s14, v1
	v_lshlrev_b32_e32 v1, 1, v15
	s_lshl_b32 s1, s0, 1
	v_add_co_ci_u32_e32 v17, vcc_lo, s15, v2, vcc_lo
	v_add_co_u32 v19, s1, s1, v0
	s_delay_alu instid0(VALU_DEP_1) | instskip(SKIP_1) | instid1(VALU_DEP_1)
	v_add_co_ci_u32_e64 v20, null, 0, 0, s1
	v_add_co_u32 v21, s1, s12, v1
	v_add_co_ci_u32_e64 v22, null, s13, 0, s1
	v_add_co_u32 v23, s1, s14, v1
	v_add_co_ci_u32_e64 v18, null, 0, 0, s2
	v_add_co_ci_u32_e64 v24, null, s15, 0, s1
	s_mov_b32 s12, 0
	s_lshl_b32 s13, s0, 3
	s_branch .LBB82_9
.LBB82_8:                               ;   in Loop: Header=BB82_9 Depth=1
	s_or_b32 exec_lo, exec_lo, s1
	v_add_co_u32 v3, vcc_lo, v3, s13
	v_add_co_ci_u32_e32 v4, vcc_lo, 0, v4, vcc_lo
	v_add_co_u32 v5, vcc_lo, v5, s13
	v_add_co_ci_u32_e32 v6, vcc_lo, 0, v6, vcc_lo
	;; [unrolled: 2-line block ×5, first 2 shown]
	s_add_u32 s6, s6, s17
	v_add_co_u32 v16, vcc_lo, v16, s13
	s_addc_u32 s7, s7, 0
	v_add_co_ci_u32_e32 v17, vcc_lo, 0, v17, vcc_lo
	v_cmp_ge_i64_e64 s0, s[6:7], s[10:11]
	v_cmp_lt_u64_e64 s1, 0xffff, s[6:7]
	v_add_co_u32 v21, vcc_lo, v21, s13
	v_add_co_ci_u32_e32 v22, vcc_lo, 0, v22, vcc_lo
	v_add_co_u32 v23, vcc_lo, v23, s13
	v_add_co_ci_u32_e32 v24, vcc_lo, 0, v24, vcc_lo
	s_or_b32 s0, s0, s1
	s_delay_alu instid0(SALU_CYCLE_1)
	s_and_b32 vcc_lo, exec_lo, s0
	s_cbranch_vccnz .LBB82_25
.LBB82_9:                               ; =>This Inner Loop Header: Depth=1
	v_add_co_u32 v1, s0, v0, s6
	s_delay_alu instid0(VALU_DEP_1) | instskip(SKIP_2) | instid1(VALU_DEP_2)
	v_add_co_ci_u32_e64 v2, null, 0, s7, s0
	s_waitcnt vmcnt(0)
	v_mov_b32_e32 v28, 0
	v_cmp_gt_u64_e32 vcc_lo, s[4:5], v[1:2]
	v_mov_b32_e32 v1, 0
	v_mov_b32_e32 v2, 0
	s_and_saveexec_b32 s1, vcc_lo
	s_cbranch_execz .LBB82_11
; %bb.10:                               ;   in Loop: Header=BB82_9 Depth=1
	v_add_co_u32 v1, s0, v3, s8
	s_delay_alu instid0(VALU_DEP_1) | instskip(SKIP_2) | instid1(VALU_DEP_1)
	v_add_co_ci_u32_e64 v2, s0, s9, v4, s0
	global_load_u16 v25, v[1:2], off
	v_add_co_u32 v1, s0, v5, s8
	v_add_co_ci_u32_e64 v2, s0, s9, v6, s0
	global_load_u16 v28, v[1:2], off
	s_waitcnt vmcnt(1)
	v_dual_mov_b32 v2, s12 :: v_dual_and_b32 v1, 0xffff, v25
.LBB82_11:                              ;   in Loop: Header=BB82_9 Depth=1
	s_or_b32 exec_lo, exec_lo, s1
	v_add_co_u32 v25, s0, v15, s6
	s_delay_alu instid0(VALU_DEP_1) | instskip(SKIP_1) | instid1(VALU_DEP_2)
	v_add_co_ci_u32_e64 v26, s0, s7, v18, s0
	v_mov_b32_e32 v27, 0
	v_cmp_gt_u64_e64 s2, s[4:5], v[25:26]
	v_mov_b32_e32 v25, 0
	s_delay_alu instid0(VALU_DEP_2)
	s_and_saveexec_b32 s1, s2
	s_cbranch_execz .LBB82_13
; %bb.12:                               ;   in Loop: Header=BB82_9 Depth=1
	v_add_co_u32 v26, s0, v21, s8
	s_delay_alu instid0(VALU_DEP_1) | instskip(SKIP_2) | instid1(VALU_DEP_1)
	v_add_co_ci_u32_e64 v27, s0, s9, v22, s0
	global_load_u16 v29, v[26:27], off
	v_add_co_u32 v26, s0, v23, s8
	v_add_co_ci_u32_e64 v27, s0, s9, v24, s0
	global_load_u16 v27, v[26:27], off
	s_waitcnt vmcnt(1)
	v_lshl_or_b32 v1, v29, 16, v1
.LBB82_13:                              ;   in Loop: Header=BB82_9 Depth=1
	s_or_b32 exec_lo, exec_lo, s1
	v_add_co_u32 v29, s0, v19, s6
	s_delay_alu instid0(VALU_DEP_1) | instskip(NEXT) | instid1(VALU_DEP_1)
	v_add_co_ci_u32_e64 v30, s0, s7, v20, s0
	v_cmp_gt_u64_e64 s1, s[4:5], v[29:30]
	s_delay_alu instid0(VALU_DEP_1)
	s_and_saveexec_b32 s3, s1
	s_cbranch_execz .LBB82_15
; %bb.14:                               ;   in Loop: Header=BB82_9 Depth=1
	v_add_co_u32 v25, s0, v13, s8
	s_delay_alu instid0(VALU_DEP_1) | instskip(SKIP_2) | instid1(VALU_DEP_1)
	v_add_co_ci_u32_e64 v26, s0, s9, v14, s0
	global_load_u16 v29, v[25:26], off
	v_add_co_u32 v25, s0, v16, s8
	v_add_co_ci_u32_e64 v26, s0, s9, v17, s0
	global_load_u16 v25, v[25:26], off
	s_waitcnt vmcnt(1)
	v_or_b32_e32 v2, v29, v2
.LBB82_15:                              ;   in Loop: Header=BB82_9 Depth=1
	s_or_b32 exec_lo, exec_lo, s3
	v_add_co_u32 v29, s0, v11, s6
	s_delay_alu instid0(VALU_DEP_1) | instskip(SKIP_1) | instid1(VALU_DEP_2)
	v_add_co_ci_u32_e64 v30, s0, s7, v12, s0
	v_mov_b32_e32 v26, 0
	v_cmp_gt_u64_e64 s0, s[4:5], v[29:30]
	s_delay_alu instid0(VALU_DEP_1)
	s_and_saveexec_b32 s14, s0
	s_cbranch_execnz .LBB82_20
; %bb.16:                               ;   in Loop: Header=BB82_9 Depth=1
	s_or_b32 exec_lo, exec_lo, s14
	s_and_saveexec_b32 s3, vcc_lo
	s_cbranch_execnz .LBB82_21
.LBB82_17:                              ;   in Loop: Header=BB82_9 Depth=1
	s_or_b32 exec_lo, exec_lo, s3
	s_and_saveexec_b32 s3, s2
	s_cbranch_execnz .LBB82_22
.LBB82_18:                              ;   in Loop: Header=BB82_9 Depth=1
	s_or_b32 exec_lo, exec_lo, s3
	s_and_saveexec_b32 s2, s1
	s_cbranch_execnz .LBB82_23
.LBB82_19:                              ;   in Loop: Header=BB82_9 Depth=1
	s_or_b32 exec_lo, exec_lo, s2
	s_and_saveexec_b32 s1, s0
	s_cbranch_execz .LBB82_8
	s_branch .LBB82_24
.LBB82_20:                              ;   in Loop: Header=BB82_9 Depth=1
	v_add_co_u32 v29, s3, v7, s8
	s_delay_alu instid0(VALU_DEP_1) | instskip(SKIP_3) | instid1(VALU_DEP_1)
	v_add_co_ci_u32_e64 v30, s3, s9, v8, s3
	v_mov_b32_e32 v31, 0
	global_load_d16_hi_b16 v31, v[29:30], off
	v_add_co_u32 v29, s3, v9, s8
	v_add_co_ci_u32_e64 v30, s3, s9, v10, s3
	global_load_u16 v26, v[29:30], off
	s_waitcnt vmcnt(1)
	v_or_b32_e32 v2, v31, v2
	s_or_b32 exec_lo, exec_lo, s14
	s_and_saveexec_b32 s3, vcc_lo
	s_cbranch_execz .LBB82_17
.LBB82_21:                              ;   in Loop: Header=BB82_9 Depth=1
	s_waitcnt vmcnt(0)
	v_lshlrev_b32_e32 v28, 16, v28
	s_delay_alu instid0(VALU_DEP_1) | instskip(NEXT) | instid1(VALU_DEP_1)
	v_dual_mul_f32 v28, s16, v28 :: v_dual_lshlrev_b32 v29, 16, v1
	v_div_scale_f32 v30, null, v28, v28, v29
	v_div_scale_f32 v33, vcc_lo, v29, v28, v29
	s_delay_alu instid0(VALU_DEP_2) | instskip(SKIP_2) | instid1(VALU_DEP_1)
	v_rcp_f32_e32 v31, v30
	s_waitcnt_depctr 0xfff
	v_fma_f32 v32, -v30, v31, 1.0
	v_fmac_f32_e32 v31, v32, v31
	s_delay_alu instid0(VALU_DEP_1) | instskip(NEXT) | instid1(VALU_DEP_1)
	v_mul_f32_e32 v32, v33, v31
	v_fma_f32 v34, -v30, v32, v33
	s_delay_alu instid0(VALU_DEP_1) | instskip(NEXT) | instid1(VALU_DEP_1)
	v_fmac_f32_e32 v32, v34, v31
	v_fma_f32 v30, -v30, v32, v33
	s_delay_alu instid0(VALU_DEP_1) | instskip(NEXT) | instid1(VALU_DEP_1)
	v_div_fmas_f32 v30, v30, v31, v32
	v_div_fixup_f32 v30, v30, v28, v29
	s_delay_alu instid0(VALU_DEP_1) | instskip(NEXT) | instid1(VALU_DEP_1)
	v_bfe_u32 v28, v30, 16, 1
	v_add3_u32 v28, v30, v28, 0x7fff
	s_delay_alu instid0(VALU_DEP_1) | instskip(SKIP_3) | instid1(VALU_DEP_4)
	v_lshrrev_b32_e32 v31, 16, v28
	v_add_co_u32 v28, vcc_lo, v3, s8
	v_add_co_ci_u32_e32 v29, vcc_lo, s9, v4, vcc_lo
	v_cmp_o_f32_e32 vcc_lo, v30, v30
	v_cndmask_b32_e32 v30, 0x7fc0, v31, vcc_lo
	global_store_b16 v[28:29], v30, off
	s_or_b32 exec_lo, exec_lo, s3
	s_and_saveexec_b32 s3, s2
	s_cbranch_execz .LBB82_18
.LBB82_22:                              ;   in Loop: Header=BB82_9 Depth=1
	s_waitcnt vmcnt(0)
	v_lshlrev_b32_e32 v27, 16, v27
	s_delay_alu instid0(VALU_DEP_1) | instskip(NEXT) | instid1(VALU_DEP_1)
	v_dual_mul_f32 v27, s16, v27 :: v_dual_and_b32 v28, 0xffff0000, v1
	v_div_scale_f32 v29, null, v27, v27, v28
	v_div_scale_f32 v32, vcc_lo, v28, v27, v28
	s_delay_alu instid0(VALU_DEP_2) | instskip(SKIP_2) | instid1(VALU_DEP_1)
	v_rcp_f32_e32 v30, v29
	s_waitcnt_depctr 0xfff
	v_fma_f32 v31, -v29, v30, 1.0
	v_fmac_f32_e32 v30, v31, v30
	s_delay_alu instid0(VALU_DEP_1) | instskip(NEXT) | instid1(VALU_DEP_1)
	v_mul_f32_e32 v31, v32, v30
	v_fma_f32 v33, -v29, v31, v32
	s_delay_alu instid0(VALU_DEP_1) | instskip(NEXT) | instid1(VALU_DEP_1)
	v_fmac_f32_e32 v31, v33, v30
	v_fma_f32 v29, -v29, v31, v32
	s_delay_alu instid0(VALU_DEP_1) | instskip(NEXT) | instid1(VALU_DEP_1)
	v_div_fmas_f32 v29, v29, v30, v31
	v_div_fixup_f32 v27, v29, v27, v28
	s_delay_alu instid0(VALU_DEP_1) | instskip(SKIP_1) | instid1(VALU_DEP_2)
	v_bfe_u32 v28, v27, 16, 1
	v_cmp_o_f32_e32 vcc_lo, v27, v27
	v_add3_u32 v28, v27, v28, 0x7fff
	s_delay_alu instid0(VALU_DEP_1) | instskip(NEXT) | instid1(VALU_DEP_1)
	v_lshrrev_b32_e32 v28, 16, v28
	v_cndmask_b32_e32 v29, 0x7fc0, v28, vcc_lo
	v_add_co_u32 v27, vcc_lo, v21, s8
	v_add_co_ci_u32_e32 v28, vcc_lo, s9, v22, vcc_lo
	global_store_b16 v[27:28], v29, off
	s_or_b32 exec_lo, exec_lo, s3
	s_and_saveexec_b32 s2, s1
	s_cbranch_execz .LBB82_19
.LBB82_23:                              ;   in Loop: Header=BB82_9 Depth=1
	v_alignbit_b32 v1, v2, v1, 16
	s_waitcnt vmcnt(0)
	v_lshlrev_b32_e32 v25, 16, v25
	s_delay_alu instid0(VALU_DEP_2) | instskip(NEXT) | instid1(VALU_DEP_2)
	v_and_b32_e32 v1, 0xffff0000, v1
	v_mul_f32_e32 v25, s16, v25
	s_delay_alu instid0(VALU_DEP_1) | instskip(SKIP_1) | instid1(VALU_DEP_2)
	v_div_scale_f32 v27, null, v25, v25, v1
	v_div_scale_f32 v30, vcc_lo, v1, v25, v1
	v_rcp_f32_e32 v28, v27
	s_waitcnt_depctr 0xfff
	v_fma_f32 v29, -v27, v28, 1.0
	s_delay_alu instid0(VALU_DEP_1) | instskip(NEXT) | instid1(VALU_DEP_1)
	v_fmac_f32_e32 v28, v29, v28
	v_mul_f32_e32 v29, v30, v28
	s_delay_alu instid0(VALU_DEP_1) | instskip(NEXT) | instid1(VALU_DEP_1)
	v_fma_f32 v31, -v27, v29, v30
	v_fmac_f32_e32 v29, v31, v28
	s_delay_alu instid0(VALU_DEP_1) | instskip(NEXT) | instid1(VALU_DEP_1)
	v_fma_f32 v27, -v27, v29, v30
	v_div_fmas_f32 v27, v27, v28, v29
	s_delay_alu instid0(VALU_DEP_1) | instskip(NEXT) | instid1(VALU_DEP_1)
	v_div_fixup_f32 v1, v27, v25, v1
	v_bfe_u32 v25, v1, 16, 1
	v_cmp_o_f32_e32 vcc_lo, v1, v1
	s_delay_alu instid0(VALU_DEP_2) | instskip(NEXT) | instid1(VALU_DEP_1)
	v_add3_u32 v25, v1, v25, 0x7fff
	v_lshrrev_b32_e32 v25, 16, v25
	s_delay_alu instid0(VALU_DEP_1)
	v_cndmask_b32_e32 v1, 0x7fc0, v25, vcc_lo
	v_add_co_u32 v27, vcc_lo, v13, s8
	v_add_co_ci_u32_e32 v28, vcc_lo, s9, v14, vcc_lo
	global_store_b16 v[27:28], v1, off
	s_or_b32 exec_lo, exec_lo, s2
	s_and_saveexec_b32 s1, s0
	s_cbranch_execz .LBB82_8
.LBB82_24:                              ;   in Loop: Header=BB82_9 Depth=1
	s_waitcnt vmcnt(0)
	v_lshlrev_b32_e32 v1, 16, v26
	s_delay_alu instid0(VALU_DEP_1) | instskip(NEXT) | instid1(VALU_DEP_1)
	v_dual_mul_f32 v1, s16, v1 :: v_dual_and_b32 v2, 0xffff0000, v2
	v_div_scale_f32 v25, null, v1, v1, v2
	v_div_scale_f32 v28, vcc_lo, v2, v1, v2
	s_delay_alu instid0(VALU_DEP_2) | instskip(SKIP_2) | instid1(VALU_DEP_1)
	v_rcp_f32_e32 v26, v25
	s_waitcnt_depctr 0xfff
	v_fma_f32 v27, -v25, v26, 1.0
	v_fmac_f32_e32 v26, v27, v26
	s_delay_alu instid0(VALU_DEP_1) | instskip(NEXT) | instid1(VALU_DEP_1)
	v_mul_f32_e32 v27, v28, v26
	v_fma_f32 v29, -v25, v27, v28
	s_delay_alu instid0(VALU_DEP_1) | instskip(NEXT) | instid1(VALU_DEP_1)
	v_fmac_f32_e32 v27, v29, v26
	v_fma_f32 v25, -v25, v27, v28
	s_delay_alu instid0(VALU_DEP_1) | instskip(NEXT) | instid1(VALU_DEP_1)
	v_div_fmas_f32 v25, v25, v26, v27
	v_div_fixup_f32 v1, v25, v1, v2
	s_delay_alu instid0(VALU_DEP_1) | instskip(SKIP_1) | instid1(VALU_DEP_2)
	v_bfe_u32 v2, v1, 16, 1
	v_cmp_o_f32_e32 vcc_lo, v1, v1
	v_add3_u32 v2, v1, v2, 0x7fff
	s_delay_alu instid0(VALU_DEP_1) | instskip(NEXT) | instid1(VALU_DEP_1)
	v_lshrrev_b32_e32 v2, 16, v2
	v_cndmask_b32_e32 v25, 0x7fc0, v2, vcc_lo
	v_add_co_u32 v1, vcc_lo, v7, s8
	v_add_co_ci_u32_e32 v2, vcc_lo, s9, v8, vcc_lo
	global_store_b16 v[1:2], v25, off
	s_branch .LBB82_8
.LBB82_25:
	s_nop 0
	s_sendmsg sendmsg(MSG_DEALLOC_VGPRS)
	s_endpgm
	.section	.rodata,"a",@progbits
	.p2align	6, 0x0
	.amdhsa_kernel _ZN2at6native12_GLOBAL__N_125multi_tensor_apply_kernelINS1_18TensorListMetadataILi2EEENS1_24BinaryOpListAlphaFunctorIN3c108BFloat16ELi2ELi2ELi0EEEJSt7dividesIfEfEEEvT_T0_DpT1_
		.amdhsa_group_segment_fixed_size 0
		.amdhsa_private_segment_fixed_size 0
		.amdhsa_kernarg_size 3408
		.amdhsa_user_sgpr_count 15
		.amdhsa_user_sgpr_dispatch_ptr 0
		.amdhsa_user_sgpr_queue_ptr 0
		.amdhsa_user_sgpr_kernarg_segment_ptr 1
		.amdhsa_user_sgpr_dispatch_id 0
		.amdhsa_user_sgpr_private_segment_size 0
		.amdhsa_wavefront_size32 1
		.amdhsa_uses_dynamic_stack 0
		.amdhsa_enable_private_segment 0
		.amdhsa_system_sgpr_workgroup_id_x 1
		.amdhsa_system_sgpr_workgroup_id_y 0
		.amdhsa_system_sgpr_workgroup_id_z 0
		.amdhsa_system_sgpr_workgroup_info 0
		.amdhsa_system_vgpr_workitem_id 0
		.amdhsa_next_free_vgpr 35
		.amdhsa_next_free_sgpr 21
		.amdhsa_reserve_vcc 1
		.amdhsa_float_round_mode_32 0
		.amdhsa_float_round_mode_16_64 0
		.amdhsa_float_denorm_mode_32 3
		.amdhsa_float_denorm_mode_16_64 3
		.amdhsa_dx10_clamp 1
		.amdhsa_ieee_mode 1
		.amdhsa_fp16_overflow 0
		.amdhsa_workgroup_processor_mode 1
		.amdhsa_memory_ordered 1
		.amdhsa_forward_progress 0
		.amdhsa_shared_vgpr_count 0
		.amdhsa_exception_fp_ieee_invalid_op 0
		.amdhsa_exception_fp_denorm_src 0
		.amdhsa_exception_fp_ieee_div_zero 0
		.amdhsa_exception_fp_ieee_overflow 0
		.amdhsa_exception_fp_ieee_underflow 0
		.amdhsa_exception_fp_ieee_inexact 0
		.amdhsa_exception_int_div_zero 0
	.end_amdhsa_kernel
	.section	.text._ZN2at6native12_GLOBAL__N_125multi_tensor_apply_kernelINS1_18TensorListMetadataILi2EEENS1_24BinaryOpListAlphaFunctorIN3c108BFloat16ELi2ELi2ELi0EEEJSt7dividesIfEfEEEvT_T0_DpT1_,"axG",@progbits,_ZN2at6native12_GLOBAL__N_125multi_tensor_apply_kernelINS1_18TensorListMetadataILi2EEENS1_24BinaryOpListAlphaFunctorIN3c108BFloat16ELi2ELi2ELi0EEEJSt7dividesIfEfEEEvT_T0_DpT1_,comdat
.Lfunc_end82:
	.size	_ZN2at6native12_GLOBAL__N_125multi_tensor_apply_kernelINS1_18TensorListMetadataILi2EEENS1_24BinaryOpListAlphaFunctorIN3c108BFloat16ELi2ELi2ELi0EEEJSt7dividesIfEfEEEvT_T0_DpT1_, .Lfunc_end82-_ZN2at6native12_GLOBAL__N_125multi_tensor_apply_kernelINS1_18TensorListMetadataILi2EEENS1_24BinaryOpListAlphaFunctorIN3c108BFloat16ELi2ELi2ELi0EEEJSt7dividesIfEfEEEvT_T0_DpT1_
                                        ; -- End function
	.section	.AMDGPU.csdata,"",@progbits
; Kernel info:
; codeLenInByte = 2820
; NumSgprs: 23
; NumVgprs: 35
; ScratchSize: 0
; MemoryBound: 0
; FloatMode: 240
; IeeeMode: 1
; LDSByteSize: 0 bytes/workgroup (compile time only)
; SGPRBlocks: 2
; VGPRBlocks: 4
; NumSGPRsForWavesPerEU: 23
; NumVGPRsForWavesPerEU: 35
; Occupancy: 16
; WaveLimiterHint : 0
; COMPUTE_PGM_RSRC2:SCRATCH_EN: 0
; COMPUTE_PGM_RSRC2:USER_SGPR: 15
; COMPUTE_PGM_RSRC2:TRAP_HANDLER: 0
; COMPUTE_PGM_RSRC2:TGID_X_EN: 1
; COMPUTE_PGM_RSRC2:TGID_Y_EN: 0
; COMPUTE_PGM_RSRC2:TGID_Z_EN: 0
; COMPUTE_PGM_RSRC2:TIDIG_COMP_CNT: 0
	.section	.text._ZN2at6native12_GLOBAL__N_125multi_tensor_apply_kernelINS1_18TensorListMetadataILi2EEENS1_24BinaryOpListAlphaFunctorIN3c104HalfELi2ELi2ELi0EEEJSt7dividesIfEfEEEvT_T0_DpT1_,"axG",@progbits,_ZN2at6native12_GLOBAL__N_125multi_tensor_apply_kernelINS1_18TensorListMetadataILi2EEENS1_24BinaryOpListAlphaFunctorIN3c104HalfELi2ELi2ELi0EEEJSt7dividesIfEfEEEvT_T0_DpT1_,comdat
	.globl	_ZN2at6native12_GLOBAL__N_125multi_tensor_apply_kernelINS1_18TensorListMetadataILi2EEENS1_24BinaryOpListAlphaFunctorIN3c104HalfELi2ELi2ELi0EEEJSt7dividesIfEfEEEvT_T0_DpT1_ ; -- Begin function _ZN2at6native12_GLOBAL__N_125multi_tensor_apply_kernelINS1_18TensorListMetadataILi2EEENS1_24BinaryOpListAlphaFunctorIN3c104HalfELi2ELi2ELi0EEEJSt7dividesIfEfEEEvT_T0_DpT1_
	.p2align	8
	.type	_ZN2at6native12_GLOBAL__N_125multi_tensor_apply_kernelINS1_18TensorListMetadataILi2EEENS1_24BinaryOpListAlphaFunctorIN3c104HalfELi2ELi2ELi0EEEJSt7dividesIfEfEEEvT_T0_DpT1_,@function
_ZN2at6native12_GLOBAL__N_125multi_tensor_apply_kernelINS1_18TensorListMetadataILi2EEENS1_24BinaryOpListAlphaFunctorIN3c104HalfELi2ELi2ELi0EEEJSt7dividesIfEfEEEvT_T0_DpT1_: ; @_ZN2at6native12_GLOBAL__N_125multi_tensor_apply_kernelINS1_18TensorListMetadataILi2EEENS1_24BinaryOpListAlphaFunctorIN3c104HalfELi2ELi2ELi0EEEJSt7dividesIfEfEEEvT_T0_DpT1_
; %bb.0:
	v_mov_b32_e32 v1, s15
	s_add_u32 s2, s0, s15
	s_mul_hi_u32 s3, s15, 3
	s_mul_i32 s15, s15, 3
	s_addc_u32 s4, s1, 0
	global_load_u8 v1, v1, s[0:1] offset:1536
	s_add_u32 s2, s2, s15
	s_addc_u32 s3, s4, s3
	s_mov_b32 s7, 0
	s_load_b32 s2, s[2:3], 0x740
	s_mov_b32 s19, s7
	s_mov_b32 s11, s7
	s_waitcnt vmcnt(0)
	v_readfirstlane_b32 s3, v1
	s_delay_alu instid0(VALU_DEP_1)
	s_lshl_b32 s3, s3, 3
	s_clause 0x3
	s_load_b64 s[12:13], s[0:1], s3 offset:0x0
	s_load_b64 s[14:15], s[0:1], s3 offset:0x200
	;; [unrolled: 1-line block ×3, first 2 shown]
	s_load_b32 s16, s[0:1], 0xc4c
	s_waitcnt lgkmcnt(0)
	s_ashr_i32 s3, s2, 31
	s_delay_alu instid0(SALU_CYCLE_1) | instskip(SKIP_4) | instid1(SALU_CYCLE_1)
	s_lshl_b64 s[8:9], s[2:3], 17
	s_lshl_b64 s[2:3], s[2:3], 16
	s_and_b32 s6, s12, 7
	s_and_b32 s10, s14, 7
	;; [unrolled: 1-line block ×3, first 2 shown]
	s_or_b64 s[6:7], s[6:7], s[18:19]
	s_delay_alu instid0(SALU_CYCLE_1)
	s_or_b64 s[6:7], s[10:11], s[6:7]
	s_sub_u32 s10, s4, s2
	s_subb_u32 s11, s5, s3
	s_cmp_eq_u64 s[6:7], 0
	s_mov_b32 s2, -1
	s_cbranch_scc0 .LBB83_5
; %bb.1:
	v_dual_mov_b32 v2, 0 :: v_dual_lshlrev_b32 v1, 2, v0
	s_mov_b32 s7, exec_lo
	s_delay_alu instid0(VALU_DEP_1)
	v_cmpx_gt_i64_e64 s[10:11], v[1:2]
	s_cbranch_execz .LBB83_4
; %bb.2:
	s_load_b32 s2, s[0:1], 0xc5c
	v_lshlrev_b32_e32 v1, 3, v0
	s_mov_b32 s17, s16
	s_mov_b32 s18, 0
	s_delay_alu instid0(VALU_DEP_1) | instskip(NEXT) | instid1(VALU_DEP_1)
	v_add_co_u32 v3, s3, s8, v1
	v_add_co_ci_u32_e64 v4, null, s9, 0, s3
	s_delay_alu instid0(VALU_DEP_2) | instskip(NEXT) | instid1(VALU_DEP_2)
	v_add_co_u32 v3, vcc_lo, v3, 4
	v_add_co_ci_u32_e32 v4, vcc_lo, 0, v4, vcc_lo
	s_waitcnt lgkmcnt(0)
	s_and_b32 s2, s2, 0xffff
	s_delay_alu instid0(SALU_CYCLE_1)
	v_add_lshl_u32 v1, v0, s2, 2
	s_lshl_b32 s19, s2, 2
	s_lshl_b32 s20, s2, 3
.LBB83_3:                               ; =>This Inner Loop Header: Depth=1
	v_add_co_u32 v5, vcc_lo, s14, v3
	v_add_co_ci_u32_e32 v6, vcc_lo, s15, v4, vcc_lo
	v_add_co_u32 v7, vcc_lo, s12, v3
	v_add_co_ci_u32_e32 v8, vcc_lo, s13, v4, vcc_lo
	v_cmp_le_i64_e64 s2, s[10:11], v[1:2]
	global_load_b64 v[5:6], v[5:6], off offset:-4
	global_load_b64 v[9:10], v[7:8], off offset:-4
	v_cmp_lt_u64_e64 s3, 0xffff, v[1:2]
	v_add_co_u32 v1, vcc_lo, v1, s19
	v_add_co_ci_u32_e32 v2, vcc_lo, 0, v2, vcc_lo
	s_delay_alu instid0(VALU_DEP_3) | instskip(NEXT) | instid1(SALU_CYCLE_1)
	s_or_b32 s2, s2, s3
	s_and_b32 s2, exec_lo, s2
	s_delay_alu instid0(SALU_CYCLE_1)
	s_or_b32 s18, s2, s18
	s_waitcnt vmcnt(1)
	v_lshrrev_b32_e32 v12, 16, v5
	v_cvt_f32_f16_e32 v5, v5
	s_waitcnt vmcnt(0)
	v_cvt_f32_f16_e32 v11, v9
	v_lshrrev_b32_e32 v14, 16, v6
	v_cvt_f32_f16_e32 v6, v6
	v_lshrrev_b32_e32 v9, 16, v9
	v_mul_f32_e32 v5, s16, v5
	v_cvt_f32_f16_e32 v12, v12
	v_cvt_f32_f16_e32 v13, v10
	v_mul_f32_e32 v6, s16, v6
	v_cvt_f32_f16_e32 v9, v9
	v_div_scale_f32 v15, null, v5, v5, v11
	v_lshrrev_b32_e32 v10, 16, v10
	v_cvt_f32_f16_e32 v14, v14
	v_div_scale_f32 v17, null, v6, v6, v13
	s_delay_alu instid0(VALU_DEP_4) | instskip(NEXT) | instid1(VALU_DEP_3)
	v_rcp_f32_e32 v21, v15
	v_cvt_f32_f16_e32 v10, v10
	v_div_scale_f32 v16, s4, v11, v5, v11
	s_delay_alu instid0(VALU_DEP_3)
	v_rcp_f32_e32 v24, v17
	v_div_scale_f32 v18, s5, v13, v6, v13
	s_waitcnt_depctr 0xfff
	v_fma_f32 v27, -v15, v21, 1.0
	v_mul_f32_e32 v12, s17, v12
	v_fma_f32 v28, -v17, v24, 1.0
	s_delay_alu instid0(VALU_DEP_3) | instskip(NEXT) | instid1(VALU_DEP_3)
	v_fmac_f32_e32 v21, v27, v21
	v_div_scale_f32 v19, null, v12, v12, v9
	v_div_scale_f32 v20, vcc_lo, v9, v12, v9
	s_delay_alu instid0(VALU_DEP_3) | instskip(NEXT) | instid1(VALU_DEP_3)
	v_mul_f32_e32 v27, v16, v21
	v_rcp_f32_e32 v25, v19
	s_delay_alu instid0(VALU_DEP_1) | instskip(NEXT) | instid1(VALU_DEP_1)
	v_fma_f32 v31, -v15, v27, v16
	v_dual_fmac_f32 v24, v28, v24 :: v_dual_fmac_f32 v27, v31, v21
	s_waitcnt_depctr 0xfff
	v_fma_f32 v29, -v19, v25, 1.0
	v_mul_f32_e32 v14, s17, v14
	v_fma_f32 v15, -v15, v27, v16
	s_delay_alu instid0(VALU_DEP_3) | instskip(NEXT) | instid1(VALU_DEP_3)
	v_fmac_f32_e32 v25, v29, v25
	v_div_scale_f32 v22, null, v14, v14, v10
	v_div_scale_f32 v23, s6, v10, v14, v10
	s_delay_alu instid0(VALU_DEP_3) | instskip(NEXT) | instid1(VALU_DEP_3)
	v_dual_mul_f32 v28, v18, v24 :: v_dual_mul_f32 v29, v20, v25
	v_rcp_f32_e32 v26, v22
	s_delay_alu instid0(VALU_DEP_1) | instskip(NEXT) | instid1(VALU_DEP_2)
	v_fma_f32 v32, -v17, v28, v18
	v_fma_f32 v33, -v19, v29, v20
	s_delay_alu instid0(VALU_DEP_1) | instskip(SKIP_4) | instid1(VALU_DEP_3)
	v_dual_fmac_f32 v28, v32, v24 :: v_dual_fmac_f32 v29, v33, v25
	s_waitcnt_depctr 0xfff
	v_fma_f32 v30, -v22, v26, 1.0
	v_fma_f32 v16, -v17, v28, v18
	v_fma_f32 v17, -v19, v29, v20
	v_fmac_f32_e32 v26, v30, v26
	s_delay_alu instid0(VALU_DEP_2) | instskip(NEXT) | instid1(VALU_DEP_2)
	v_div_fmas_f32 v17, v17, v25, v29
	v_mul_f32_e32 v30, v23, v26
	s_mov_b32 vcc_lo, s4
	v_div_fmas_f32 v15, v15, v21, v27
	s_mov_b32 vcc_lo, s6
	s_delay_alu instid0(VALU_DEP_2) | instskip(SKIP_1) | instid1(VALU_DEP_3)
	v_fma_f32 v34, -v22, v30, v23
	v_div_fixup_f32 v9, v17, v12, v9
	v_div_fixup_f32 v5, v15, v5, v11
	s_delay_alu instid0(VALU_DEP_3) | instskip(NEXT) | instid1(VALU_DEP_3)
	v_fmac_f32_e32 v30, v34, v26
	v_cvt_f16_f32_e32 v9, v9
	s_delay_alu instid0(VALU_DEP_3) | instskip(NEXT) | instid1(VALU_DEP_3)
	v_cvt_f16_f32_e32 v5, v5
	v_fma_f32 v18, -v22, v30, v23
	s_delay_alu instid0(VALU_DEP_2) | instskip(NEXT) | instid1(VALU_DEP_2)
	v_pack_b32_f16 v5, v5, v9
	v_div_fmas_f32 v18, v18, v26, v30
	s_mov_b32 vcc_lo, s5
	v_div_fmas_f32 v16, v16, v24, v28
	v_add_co_u32 v3, vcc_lo, v3, s20
	s_delay_alu instid0(VALU_DEP_3) | instskip(SKIP_1) | instid1(VALU_DEP_4)
	v_div_fixup_f32 v10, v18, v14, v10
	v_add_co_ci_u32_e32 v4, vcc_lo, 0, v4, vcc_lo
	v_div_fixup_f32 v6, v16, v6, v13
	s_delay_alu instid0(VALU_DEP_3) | instskip(NEXT) | instid1(VALU_DEP_2)
	v_cvt_f16_f32_e32 v10, v10
	v_cvt_f16_f32_e32 v6, v6
	s_delay_alu instid0(VALU_DEP_1)
	v_pack_b32_f16 v6, v6, v10
	global_store_b64 v[7:8], v[5:6], off offset:-4
	s_and_not1_b32 exec_lo, exec_lo, s18
	s_cbranch_execnz .LBB83_3
.LBB83_4:
	s_or_b32 exec_lo, exec_lo, s7
	s_mov_b32 s2, 0
.LBB83_5:
	s_delay_alu instid0(SALU_CYCLE_1)
	s_and_not1_b32 vcc_lo, exec_lo, s2
	s_cbranch_vccnz .LBB83_25
; %bb.6:
	v_cmp_lt_i64_e64 s2, s[10:11], 1
	s_delay_alu instid0(VALU_DEP_1)
	s_and_b32 vcc_lo, exec_lo, s2
	s_cbranch_vccnz .LBB83_25
; %bb.7:
	s_load_b32 s0, s[0:1], 0xc5c
	v_dual_mov_b32 v10, 0 :: v_dual_lshlrev_b32 v9, 1, v0
	v_cmp_gt_u64_e64 s1, 0x10000, s[10:11]
	s_mov_b64 s[6:7], 0
	s_delay_alu instid0(VALU_DEP_2) | instskip(NEXT) | instid1(VALU_DEP_1)
	v_add_co_u32 v1, s2, s12, v9
	v_add_co_ci_u32_e64 v2, null, s13, 0, s2
	v_add_co_u32 v3, s2, s14, v9
	s_delay_alu instid0(VALU_DEP_1)
	v_add_co_ci_u32_e64 v4, null, s15, 0, s2
	s_waitcnt lgkmcnt(0)
	s_and_b32 s0, s0, 0xffff
	s_and_b32 s1, s1, exec_lo
	v_mad_u64_u32 v[7:8], null, s0, 6, v[9:10]
	s_cselect_b32 s5, s11, 0
	s_cselect_b32 s4, s10, 0x10000
	s_mul_i32 s2, s0, 3
	s_lshl_b32 s17, s0, 2
	s_lshl_b32 s1, s0, 1
	v_add_co_u32 v14, s3, s17, v9
	v_add_co_u32 v9, s2, s2, v0
	s_delay_alu instid0(VALU_DEP_1) | instskip(SKIP_3) | instid1(VALU_DEP_3)
	v_add_co_ci_u32_e64 v10, null, 0, 0, s2
	v_add_co_u32 v13, s2, v0, s0
	v_add_co_u32 v5, vcc_lo, s12, v7
	v_add_co_ci_u32_e32 v6, vcc_lo, s13, v8, vcc_lo
	v_lshlrev_b32_e32 v21, 1, v13
	v_add_co_u32 v7, vcc_lo, s14, v7
	v_add_co_ci_u32_e64 v15, null, 0, 0, s3
	v_add_co_ci_u32_e32 v8, vcc_lo, s15, v8, vcc_lo
	v_add_co_u32 v17, s1, s1, v0
	v_add_co_u32 v11, vcc_lo, s12, v14
	v_add_co_ci_u32_e64 v18, null, 0, 0, s1
	v_add_co_u32 v19, s1, s12, v21
	v_add_co_ci_u32_e32 v12, vcc_lo, s13, v15, vcc_lo
	v_add_co_u32 v14, vcc_lo, s14, v14
	v_add_co_ci_u32_e64 v20, null, s13, 0, s1
	v_add_co_u32 v21, s1, s14, v21
	v_add_co_ci_u32_e32 v15, vcc_lo, s15, v15, vcc_lo
	v_add_co_ci_u32_e64 v16, null, 0, 0, s2
	v_add_co_ci_u32_e64 v22, null, s15, 0, s1
	s_lshl_b32 s12, s0, 3
	s_branch .LBB83_9
.LBB83_8:                               ;   in Loop: Header=BB83_9 Depth=1
	s_or_b32 exec_lo, exec_lo, s1
	v_add_co_u32 v1, vcc_lo, v1, s12
	v_add_co_ci_u32_e32 v2, vcc_lo, 0, v2, vcc_lo
	v_add_co_u32 v3, vcc_lo, v3, s12
	v_add_co_ci_u32_e32 v4, vcc_lo, 0, v4, vcc_lo
	;; [unrolled: 2-line block ×5, first 2 shown]
	s_add_u32 s6, s6, s17
	v_add_co_u32 v14, vcc_lo, v14, s12
	s_addc_u32 s7, s7, 0
	v_add_co_ci_u32_e32 v15, vcc_lo, 0, v15, vcc_lo
	v_cmp_ge_i64_e64 s0, s[6:7], s[10:11]
	v_cmp_lt_u64_e64 s1, 0xffff, s[6:7]
	v_add_co_u32 v19, vcc_lo, v19, s12
	v_add_co_ci_u32_e32 v20, vcc_lo, 0, v20, vcc_lo
	v_add_co_u32 v21, vcc_lo, v21, s12
	v_add_co_ci_u32_e32 v22, vcc_lo, 0, v22, vcc_lo
	s_or_b32 s0, s0, s1
	s_delay_alu instid0(SALU_CYCLE_1)
	s_and_b32 vcc_lo, exec_lo, s0
	s_cbranch_vccnz .LBB83_25
.LBB83_9:                               ; =>This Inner Loop Header: Depth=1
	s_waitcnt vmcnt(1)
	v_add_co_u32 v23, s0, v0, s6
	s_delay_alu instid0(VALU_DEP_1) | instskip(SKIP_3) | instid1(VALU_DEP_3)
	v_add_co_ci_u32_e64 v24, null, 0, s7, s0
	v_mov_b32_e32 v25, 0
	s_waitcnt vmcnt(0)
	v_mov_b32_e32 v29, 0
	v_cmp_gt_u64_e32 vcc_lo, s[4:5], v[23:24]
	s_and_saveexec_b32 s1, vcc_lo
	s_cbranch_execz .LBB83_11
; %bb.10:                               ;   in Loop: Header=BB83_9 Depth=1
	v_add_co_u32 v23, s0, v1, s8
	s_delay_alu instid0(VALU_DEP_1) | instskip(SKIP_1) | instid1(VALU_DEP_1)
	v_add_co_ci_u32_e64 v24, s0, s9, v2, s0
	v_add_co_u32 v26, s0, v3, s8
	v_add_co_ci_u32_e64 v27, s0, s9, v4, s0
	global_load_u16 v25, v[23:24], off
	global_load_u16 v29, v[26:27], off
.LBB83_11:                              ;   in Loop: Header=BB83_9 Depth=1
	s_or_b32 exec_lo, exec_lo, s1
	v_add_co_u32 v26, s0, v13, s6
	s_delay_alu instid0(VALU_DEP_1) | instskip(SKIP_1) | instid1(VALU_DEP_2)
	v_add_co_ci_u32_e64 v27, s0, s7, v16, s0
	v_dual_mov_b32 v23, 0 :: v_dual_mov_b32 v30, 0
	v_cmp_gt_u64_e64 s2, s[4:5], v[26:27]
	v_mov_b32_e32 v26, 0
	s_delay_alu instid0(VALU_DEP_2)
	s_and_saveexec_b32 s1, s2
	s_cbranch_execz .LBB83_13
; %bb.12:                               ;   in Loop: Header=BB83_9 Depth=1
	v_add_co_u32 v26, s0, v19, s8
	s_delay_alu instid0(VALU_DEP_1) | instskip(SKIP_1) | instid1(VALU_DEP_1)
	v_add_co_ci_u32_e64 v27, s0, s9, v20, s0
	v_add_co_u32 v30, s0, v21, s8
	v_add_co_ci_u32_e64 v31, s0, s9, v22, s0
	global_load_u16 v26, v[26:27], off
	global_load_u16 v30, v[30:31], off
.LBB83_13:                              ;   in Loop: Header=BB83_9 Depth=1
	s_or_b32 exec_lo, exec_lo, s1
	v_add_co_u32 v27, s0, v17, s6
	s_delay_alu instid0(VALU_DEP_1) | instskip(NEXT) | instid1(VALU_DEP_1)
	v_add_co_ci_u32_e64 v28, s0, s7, v18, s0
	v_cmp_gt_u64_e64 s1, s[4:5], v[27:28]
	v_mov_b32_e32 v28, 0
	s_delay_alu instid0(VALU_DEP_2)
	s_and_saveexec_b32 s3, s1
	s_cbranch_execz .LBB83_15
; %bb.14:                               ;   in Loop: Header=BB83_9 Depth=1
	v_add_co_u32 v23, s0, v11, s8
	s_delay_alu instid0(VALU_DEP_1) | instskip(SKIP_1) | instid1(VALU_DEP_1)
	v_add_co_ci_u32_e64 v24, s0, s9, v12, s0
	v_add_co_u32 v27, s0, v14, s8
	v_add_co_ci_u32_e64 v28, s0, s9, v15, s0
	global_load_u16 v23, v[23:24], off
	global_load_u16 v28, v[27:28], off
.LBB83_15:                              ;   in Loop: Header=BB83_9 Depth=1
	s_or_b32 exec_lo, exec_lo, s3
	v_add_co_u32 v31, s0, v9, s6
	s_delay_alu instid0(VALU_DEP_1) | instskip(SKIP_1) | instid1(VALU_DEP_2)
	v_add_co_ci_u32_e64 v32, s0, s7, v10, s0
	v_dual_mov_b32 v24, 0 :: v_dual_mov_b32 v27, 0
	v_cmp_gt_u64_e64 s0, s[4:5], v[31:32]
	s_delay_alu instid0(VALU_DEP_1)
	s_and_saveexec_b32 s13, s0
	s_cbranch_execnz .LBB83_20
; %bb.16:                               ;   in Loop: Header=BB83_9 Depth=1
	s_or_b32 exec_lo, exec_lo, s13
	s_and_saveexec_b32 s3, vcc_lo
	s_cbranch_execnz .LBB83_21
.LBB83_17:                              ;   in Loop: Header=BB83_9 Depth=1
	s_or_b32 exec_lo, exec_lo, s3
	s_and_saveexec_b32 s3, s2
	s_cbranch_execnz .LBB83_22
.LBB83_18:                              ;   in Loop: Header=BB83_9 Depth=1
	s_or_b32 exec_lo, exec_lo, s3
	s_and_saveexec_b32 s2, s1
	s_cbranch_execnz .LBB83_23
.LBB83_19:                              ;   in Loop: Header=BB83_9 Depth=1
	s_or_b32 exec_lo, exec_lo, s2
	s_and_saveexec_b32 s1, s0
	s_cbranch_execz .LBB83_8
	s_branch .LBB83_24
.LBB83_20:                              ;   in Loop: Header=BB83_9 Depth=1
	v_add_co_u32 v31, s3, v5, s8
	s_delay_alu instid0(VALU_DEP_1) | instskip(SKIP_1) | instid1(VALU_DEP_1)
	v_add_co_ci_u32_e64 v32, s3, s9, v6, s3
	v_add_co_u32 v33, s3, v7, s8
	v_add_co_ci_u32_e64 v34, s3, s9, v8, s3
	global_load_u16 v24, v[31:32], off
	global_load_u16 v27, v[33:34], off
	s_or_b32 exec_lo, exec_lo, s13
	s_and_saveexec_b32 s3, vcc_lo
	s_cbranch_execz .LBB83_17
.LBB83_21:                              ;   in Loop: Header=BB83_9 Depth=1
	s_waitcnt vmcnt(0)
	v_cvt_f32_f16_e32 v29, v29
	v_cvt_f32_f16_e32 v25, v25
	s_delay_alu instid0(VALU_DEP_2) | instskip(NEXT) | instid1(VALU_DEP_1)
	v_mul_f32_e32 v29, s16, v29
	v_div_scale_f32 v31, null, v29, v29, v25
	s_delay_alu instid0(VALU_DEP_1) | instskip(SKIP_2) | instid1(VALU_DEP_1)
	v_rcp_f32_e32 v32, v31
	s_waitcnt_depctr 0xfff
	v_fma_f32 v33, -v31, v32, 1.0
	v_fmac_f32_e32 v32, v33, v32
	v_div_scale_f32 v34, vcc_lo, v25, v29, v25
	s_delay_alu instid0(VALU_DEP_1) | instskip(NEXT) | instid1(VALU_DEP_1)
	v_mul_f32_e32 v33, v34, v32
	v_fma_f32 v35, -v31, v33, v34
	s_delay_alu instid0(VALU_DEP_1) | instskip(NEXT) | instid1(VALU_DEP_1)
	v_fmac_f32_e32 v33, v35, v32
	v_fma_f32 v31, -v31, v33, v34
	s_delay_alu instid0(VALU_DEP_1) | instskip(NEXT) | instid1(VALU_DEP_1)
	v_div_fmas_f32 v31, v31, v32, v33
	v_div_fixup_f32 v25, v31, v29, v25
	v_add_co_u32 v31, vcc_lo, v1, s8
	v_add_co_ci_u32_e32 v32, vcc_lo, s9, v2, vcc_lo
	s_delay_alu instid0(VALU_DEP_3)
	v_cvt_f16_f32_e32 v25, v25
	global_store_b16 v[31:32], v25, off
	s_or_b32 exec_lo, exec_lo, s3
	s_and_saveexec_b32 s3, s2
	s_cbranch_execz .LBB83_18
.LBB83_22:                              ;   in Loop: Header=BB83_9 Depth=1
	s_waitcnt vmcnt(0)
	v_cvt_f32_f16_e32 v25, v30
	v_cvt_f32_f16_e32 v26, v26
	s_delay_alu instid0(VALU_DEP_2) | instskip(NEXT) | instid1(VALU_DEP_1)
	v_mul_f32_e32 v25, s16, v25
	v_div_scale_f32 v29, null, v25, v25, v26
	s_delay_alu instid0(VALU_DEP_1) | instskip(SKIP_2) | instid1(VALU_DEP_1)
	v_rcp_f32_e32 v30, v29
	s_waitcnt_depctr 0xfff
	v_fma_f32 v31, -v29, v30, 1.0
	v_fmac_f32_e32 v30, v31, v30
	v_div_scale_f32 v32, vcc_lo, v26, v25, v26
	s_delay_alu instid0(VALU_DEP_1) | instskip(NEXT) | instid1(VALU_DEP_1)
	v_mul_f32_e32 v31, v32, v30
	v_fma_f32 v33, -v29, v31, v32
	s_delay_alu instid0(VALU_DEP_1) | instskip(NEXT) | instid1(VALU_DEP_1)
	v_fmac_f32_e32 v31, v33, v30
	v_fma_f32 v29, -v29, v31, v32
	s_delay_alu instid0(VALU_DEP_1) | instskip(NEXT) | instid1(VALU_DEP_1)
	v_div_fmas_f32 v29, v29, v30, v31
	v_div_fixup_f32 v25, v29, v25, v26
	s_delay_alu instid0(VALU_DEP_1)
	v_cvt_f16_f32_e32 v29, v25
	v_add_co_u32 v25, vcc_lo, v19, s8
	v_add_co_ci_u32_e32 v26, vcc_lo, s9, v20, vcc_lo
	global_store_b16 v[25:26], v29, off
	s_or_b32 exec_lo, exec_lo, s3
	s_and_saveexec_b32 s2, s1
	s_cbranch_execz .LBB83_19
.LBB83_23:                              ;   in Loop: Header=BB83_9 Depth=1
	s_waitcnt vmcnt(0)
	v_cvt_f32_f16_e32 v25, v28
	v_cvt_f32_f16_e32 v23, v23
	s_delay_alu instid0(VALU_DEP_2) | instskip(NEXT) | instid1(VALU_DEP_1)
	v_mul_f32_e32 v25, s16, v25
	v_div_scale_f32 v26, null, v25, v25, v23
	s_delay_alu instid0(VALU_DEP_1) | instskip(SKIP_2) | instid1(VALU_DEP_1)
	v_rcp_f32_e32 v28, v26
	s_waitcnt_depctr 0xfff
	v_fma_f32 v29, -v26, v28, 1.0
	v_fmac_f32_e32 v28, v29, v28
	v_div_scale_f32 v30, vcc_lo, v23, v25, v23
	s_delay_alu instid0(VALU_DEP_1) | instskip(NEXT) | instid1(VALU_DEP_1)
	v_mul_f32_e32 v29, v30, v28
	v_fma_f32 v31, -v26, v29, v30
	s_delay_alu instid0(VALU_DEP_1) | instskip(NEXT) | instid1(VALU_DEP_1)
	v_fmac_f32_e32 v29, v31, v28
	v_fma_f32 v26, -v26, v29, v30
	s_delay_alu instid0(VALU_DEP_1) | instskip(NEXT) | instid1(VALU_DEP_1)
	v_div_fmas_f32 v26, v26, v28, v29
	v_div_fixup_f32 v23, v26, v25, v23
	v_add_co_u32 v25, vcc_lo, v11, s8
	v_add_co_ci_u32_e32 v26, vcc_lo, s9, v12, vcc_lo
	s_delay_alu instid0(VALU_DEP_3)
	v_cvt_f16_f32_e32 v23, v23
	global_store_b16 v[25:26], v23, off
	s_or_b32 exec_lo, exec_lo, s2
	s_and_saveexec_b32 s1, s0
	s_cbranch_execz .LBB83_8
.LBB83_24:                              ;   in Loop: Header=BB83_9 Depth=1
	s_waitcnt vmcnt(0)
	v_cvt_f32_f16_e32 v23, v27
	v_cvt_f32_f16_e32 v24, v24
	s_delay_alu instid0(VALU_DEP_2) | instskip(NEXT) | instid1(VALU_DEP_1)
	v_mul_f32_e32 v23, s16, v23
	v_div_scale_f32 v25, null, v23, v23, v24
	s_delay_alu instid0(VALU_DEP_1) | instskip(SKIP_2) | instid1(VALU_DEP_1)
	v_rcp_f32_e32 v26, v25
	s_waitcnt_depctr 0xfff
	v_fma_f32 v27, -v25, v26, 1.0
	v_fmac_f32_e32 v26, v27, v26
	v_div_scale_f32 v28, vcc_lo, v24, v23, v24
	s_delay_alu instid0(VALU_DEP_1) | instskip(NEXT) | instid1(VALU_DEP_1)
	v_mul_f32_e32 v27, v28, v26
	v_fma_f32 v29, -v25, v27, v28
	s_delay_alu instid0(VALU_DEP_1) | instskip(NEXT) | instid1(VALU_DEP_1)
	v_fmac_f32_e32 v27, v29, v26
	v_fma_f32 v25, -v25, v27, v28
	s_delay_alu instid0(VALU_DEP_1) | instskip(NEXT) | instid1(VALU_DEP_1)
	v_div_fmas_f32 v25, v25, v26, v27
	v_div_fixup_f32 v23, v25, v23, v24
	s_delay_alu instid0(VALU_DEP_1)
	v_cvt_f16_f32_e32 v25, v23
	v_add_co_u32 v23, vcc_lo, v5, s8
	v_add_co_ci_u32_e32 v24, vcc_lo, s9, v6, vcc_lo
	global_store_b16 v[23:24], v25, off
	s_branch .LBB83_8
.LBB83_25:
	s_nop 0
	s_sendmsg sendmsg(MSG_DEALLOC_VGPRS)
	s_endpgm
	.section	.rodata,"a",@progbits
	.p2align	6, 0x0
	.amdhsa_kernel _ZN2at6native12_GLOBAL__N_125multi_tensor_apply_kernelINS1_18TensorListMetadataILi2EEENS1_24BinaryOpListAlphaFunctorIN3c104HalfELi2ELi2ELi0EEEJSt7dividesIfEfEEEvT_T0_DpT1_
		.amdhsa_group_segment_fixed_size 0
		.amdhsa_private_segment_fixed_size 0
		.amdhsa_kernarg_size 3408
		.amdhsa_user_sgpr_count 15
		.amdhsa_user_sgpr_dispatch_ptr 0
		.amdhsa_user_sgpr_queue_ptr 0
		.amdhsa_user_sgpr_kernarg_segment_ptr 1
		.amdhsa_user_sgpr_dispatch_id 0
		.amdhsa_user_sgpr_private_segment_size 0
		.amdhsa_wavefront_size32 1
		.amdhsa_uses_dynamic_stack 0
		.amdhsa_enable_private_segment 0
		.amdhsa_system_sgpr_workgroup_id_x 1
		.amdhsa_system_sgpr_workgroup_id_y 0
		.amdhsa_system_sgpr_workgroup_id_z 0
		.amdhsa_system_sgpr_workgroup_info 0
		.amdhsa_system_vgpr_workitem_id 0
		.amdhsa_next_free_vgpr 36
		.amdhsa_next_free_sgpr 21
		.amdhsa_reserve_vcc 1
		.amdhsa_float_round_mode_32 0
		.amdhsa_float_round_mode_16_64 0
		.amdhsa_float_denorm_mode_32 3
		.amdhsa_float_denorm_mode_16_64 3
		.amdhsa_dx10_clamp 1
		.amdhsa_ieee_mode 1
		.amdhsa_fp16_overflow 0
		.amdhsa_workgroup_processor_mode 1
		.amdhsa_memory_ordered 1
		.amdhsa_forward_progress 0
		.amdhsa_shared_vgpr_count 0
		.amdhsa_exception_fp_ieee_invalid_op 0
		.amdhsa_exception_fp_denorm_src 0
		.amdhsa_exception_fp_ieee_div_zero 0
		.amdhsa_exception_fp_ieee_overflow 0
		.amdhsa_exception_fp_ieee_underflow 0
		.amdhsa_exception_fp_ieee_inexact 0
		.amdhsa_exception_int_div_zero 0
	.end_amdhsa_kernel
	.section	.text._ZN2at6native12_GLOBAL__N_125multi_tensor_apply_kernelINS1_18TensorListMetadataILi2EEENS1_24BinaryOpListAlphaFunctorIN3c104HalfELi2ELi2ELi0EEEJSt7dividesIfEfEEEvT_T0_DpT1_,"axG",@progbits,_ZN2at6native12_GLOBAL__N_125multi_tensor_apply_kernelINS1_18TensorListMetadataILi2EEENS1_24BinaryOpListAlphaFunctorIN3c104HalfELi2ELi2ELi0EEEJSt7dividesIfEfEEEvT_T0_DpT1_,comdat
.Lfunc_end83:
	.size	_ZN2at6native12_GLOBAL__N_125multi_tensor_apply_kernelINS1_18TensorListMetadataILi2EEENS1_24BinaryOpListAlphaFunctorIN3c104HalfELi2ELi2ELi0EEEJSt7dividesIfEfEEEvT_T0_DpT1_, .Lfunc_end83-_ZN2at6native12_GLOBAL__N_125multi_tensor_apply_kernelINS1_18TensorListMetadataILi2EEENS1_24BinaryOpListAlphaFunctorIN3c104HalfELi2ELi2ELi0EEEJSt7dividesIfEfEEEvT_T0_DpT1_
                                        ; -- End function
	.section	.AMDGPU.csdata,"",@progbits
; Kernel info:
; codeLenInByte = 2444
; NumSgprs: 23
; NumVgprs: 36
; ScratchSize: 0
; MemoryBound: 0
; FloatMode: 240
; IeeeMode: 1
; LDSByteSize: 0 bytes/workgroup (compile time only)
; SGPRBlocks: 2
; VGPRBlocks: 4
; NumSGPRsForWavesPerEU: 23
; NumVGPRsForWavesPerEU: 36
; Occupancy: 16
; WaveLimiterHint : 0
; COMPUTE_PGM_RSRC2:SCRATCH_EN: 0
; COMPUTE_PGM_RSRC2:USER_SGPR: 15
; COMPUTE_PGM_RSRC2:TRAP_HANDLER: 0
; COMPUTE_PGM_RSRC2:TGID_X_EN: 1
; COMPUTE_PGM_RSRC2:TGID_Y_EN: 0
; COMPUTE_PGM_RSRC2:TGID_Z_EN: 0
; COMPUTE_PGM_RSRC2:TIDIG_COMP_CNT: 0
	.section	.text._ZN2at6native12_GLOBAL__N_125multi_tensor_apply_kernelINS1_18TensorListMetadataILi3EEENS1_24BinaryOpListAlphaFunctorIhLi3ELi2ELi2EEEJSt7dividesIhEhEEEvT_T0_DpT1_,"axG",@progbits,_ZN2at6native12_GLOBAL__N_125multi_tensor_apply_kernelINS1_18TensorListMetadataILi3EEENS1_24BinaryOpListAlphaFunctorIhLi3ELi2ELi2EEEJSt7dividesIhEhEEEvT_T0_DpT1_,comdat
	.globl	_ZN2at6native12_GLOBAL__N_125multi_tensor_apply_kernelINS1_18TensorListMetadataILi3EEENS1_24BinaryOpListAlphaFunctorIhLi3ELi2ELi2EEEJSt7dividesIhEhEEEvT_T0_DpT1_ ; -- Begin function _ZN2at6native12_GLOBAL__N_125multi_tensor_apply_kernelINS1_18TensorListMetadataILi3EEENS1_24BinaryOpListAlphaFunctorIhLi3ELi2ELi2EEEJSt7dividesIhEhEEEvT_T0_DpT1_
	.p2align	8
	.type	_ZN2at6native12_GLOBAL__N_125multi_tensor_apply_kernelINS1_18TensorListMetadataILi3EEENS1_24BinaryOpListAlphaFunctorIhLi3ELi2ELi2EEEJSt7dividesIhEhEEEvT_T0_DpT1_,@function
_ZN2at6native12_GLOBAL__N_125multi_tensor_apply_kernelINS1_18TensorListMetadataILi3EEENS1_24BinaryOpListAlphaFunctorIhLi3ELi2ELi2EEEJSt7dividesIhEhEEEvT_T0_DpT1_: ; @_ZN2at6native12_GLOBAL__N_125multi_tensor_apply_kernelINS1_18TensorListMetadataILi3EEENS1_24BinaryOpListAlphaFunctorIhLi3ELi2ELi2EEEJSt7dividesIhEhEEEvT_T0_DpT1_
; %bb.0:
	v_mov_b32_e32 v1, s15
	s_add_u32 s2, s0, s15
	s_mul_hi_u32 s3, s15, 3
	s_mul_i32 s15, s15, 3
	s_addc_u32 s4, s1, 0
	global_load_u8 v1, v1, s[0:1] offset:1536
	s_add_u32 s2, s2, s15
	s_addc_u32 s3, s4, s3
	s_load_b32 s2, s[2:3], 0x740
	s_waitcnt vmcnt(0)
	v_readfirstlane_b32 s3, v1
	s_delay_alu instid0(VALU_DEP_1)
	s_lshl_b32 s3, s3, 3
	s_clause 0x3
	s_load_b64 s[8:9], s[0:1], s3 offset:0x0
	s_load_b64 s[10:11], s[0:1], s3 offset:0x180
	s_load_b64 s[12:13], s[0:1], s3 offset:0x300
	s_load_b64 s[20:21], s[0:1], s3 offset:0x480
	s_waitcnt lgkmcnt(0)
	s_ashr_i32 s3, s2, 31
	s_delay_alu instid0(SALU_CYCLE_1)
	s_lshl_b64 s[14:15], s[2:3], 16
	s_load_b32 s3, s[0:1], 0xc48
	s_add_u32 s6, s8, s14
	s_addc_u32 s7, s9, s15
	s_add_u32 s16, s10, s14
	s_addc_u32 s17, s11, s15
	;; [unrolled: 2-line block ×3, first 2 shown]
	s_or_b32 s2, s18, s16
	s_delay_alu instid0(SALU_CYCLE_1) | instskip(NEXT) | instid1(SALU_CYCLE_1)
	s_and_b32 s2, s2, 3
	s_cmp_lg_u32 s2, 0
	s_cselect_b32 s2, -1, 0
	s_sub_u32 s4, s20, s14
	s_subb_u32 s5, s21, s15
	s_or_b64 s[20:21], s[20:21], s[6:7]
	s_mov_b32 s21, 0
	s_and_b32 s20, s20, 3
	s_delay_alu instid0(SALU_CYCLE_1) | instskip(SKIP_1) | instid1(SALU_CYCLE_1)
	s_cmp_lg_u64 s[20:21], 0
	s_cselect_b32 s20, -1, 0
	s_or_b32 s2, s2, s20
	s_delay_alu instid0(SALU_CYCLE_1)
	s_and_not1_b32 vcc_lo, exec_lo, s2
	s_mov_b32 s2, -1
	s_cbranch_vccz .LBB84_5
; %bb.1:
	v_dual_mov_b32 v2, 0 :: v_dual_lshlrev_b32 v1, 2, v0
	s_mov_b32 s20, exec_lo
	s_delay_alu instid0(VALU_DEP_1)
	v_cmpx_gt_i64_e64 s[4:5], v[1:2]
	s_cbranch_execz .LBB84_4
; %bb.2:
	s_load_b32 s2, s[0:1], 0xc5c
	s_waitcnt lgkmcnt(0)
	s_lshr_b32 s23, s3, 16
	s_and_b32 s2, s2, 0xffff
	s_delay_alu instid0(SALU_CYCLE_1)
	s_lshl_b32 s22, s2, 2
.LBB84_3:                               ; =>This Inner Loop Header: Depth=1
	v_add_co_u32 v3, vcc_lo, s16, v1
	v_add_co_ci_u32_e32 v4, vcc_lo, s17, v2, vcc_lo
	v_add_co_u32 v5, vcc_lo, s6, v1
	v_add_co_ci_u32_e32 v6, vcc_lo, s7, v2, vcc_lo
	global_load_b32 v7, v[3:4], off
	global_load_b32 v5, v[5:6], off
	v_add_co_u32 v3, vcc_lo, s18, v1
	v_add_co_ci_u32_e32 v4, vcc_lo, s19, v2, vcc_lo
	v_add_co_u32 v1, vcc_lo, s22, v1
	v_add_co_ci_u32_e32 v2, vcc_lo, 0, v2, vcc_lo
	s_delay_alu instid0(VALU_DEP_1)
	v_cmp_lt_u64_e64 s2, 0xffff, v[1:2]
	s_waitcnt vmcnt(1)
	v_mul_lo_u16 v6, v7, s23
	v_lshrrev_b32_e32 v9, 8, v7
	v_lshrrev_b32_e32 v11, 16, v7
	;; [unrolled: 1-line block ×3, first 2 shown]
	s_waitcnt vmcnt(0)
	v_cvt_f32_ubyte0_e32 v8, v5
	v_cvt_f32_ubyte0_e32 v6, v6
	v_mul_lo_u16 v9, v9, s23
	v_mul_lo_u16 v11, v11, s23
	v_mul_lo_u16 v7, v7, s23
	v_cvt_f32_ubyte1_e32 v10, v5
	v_rcp_iflag_f32_e32 v13, v6
	v_cvt_f32_ubyte0_e32 v9, v9
	v_cvt_f32_ubyte0_e32 v11, v11
	;; [unrolled: 1-line block ×3, first 2 shown]
	v_cvt_f32_ubyte2_e32 v12, v5
	v_cvt_f32_ubyte3_e32 v5, v5
	v_rcp_iflag_f32_e32 v14, v9
	v_rcp_iflag_f32_e32 v15, v11
	;; [unrolled: 1-line block ×3, first 2 shown]
	s_delay_alu instid0(TRANS32_DEP_3) | instskip(NEXT) | instid1(VALU_DEP_1)
	v_dual_mul_f32 v13, v8, v13 :: v_dual_mul_f32 v14, v10, v14
	v_trunc_f32_e32 v13, v13
	s_waitcnt_depctr 0xfff
	v_dual_mul_f32 v15, v12, v15 :: v_dual_mul_f32 v16, v5, v16
	v_trunc_f32_e32 v14, v14
	v_fma_f32 v8, -v13, v6, v8
	v_cvt_u32_f32_e32 v13, v13
	s_delay_alu instid0(VALU_DEP_4) | instskip(SKIP_1) | instid1(VALU_DEP_4)
	v_trunc_f32_e32 v15, v15
	v_trunc_f32_e32 v16, v16
	v_cmp_ge_f32_e64 vcc_lo, |v8|, v6
	v_fma_f32 v8, -v14, v9, v10
	v_cvt_u32_f32_e32 v10, v14
	v_fma_f32 v12, -v15, v11, v12
	v_fma_f32 v5, -v16, v7, v5
	v_add_co_ci_u32_e32 v6, vcc_lo, 0, v13, vcc_lo
	v_cmp_ge_f32_e64 vcc_lo, |v8|, v9
	v_cvt_u32_f32_e32 v13, v15
	v_cvt_u32_f32_e32 v14, v16
	v_add_co_ci_u32_e32 v8, vcc_lo, 0, v10, vcc_lo
	v_cmp_ge_f32_e64 vcc_lo, |v12|, v11
	s_delay_alu instid0(VALU_DEP_4) | instskip(SKIP_1) | instid1(VALU_DEP_4)
	v_add_co_ci_u32_e32 v9, vcc_lo, 0, v13, vcc_lo
	v_cmp_ge_f32_e64 vcc_lo, |v5|, v7
	v_and_b32_e32 v7, 0xff, v8
	s_delay_alu instid0(VALU_DEP_3) | instskip(SKIP_2) | instid1(VALU_DEP_4)
	v_and_b32_e32 v8, 0xff, v9
	v_add_co_ci_u32_e32 v5, vcc_lo, 0, v14, vcc_lo
	v_cmp_le_i64_e32 vcc_lo, s[4:5], v[1:2]
	v_perm_b32 v6, v7, v6, 0x6050400
	s_delay_alu instid0(VALU_DEP_4) | instskip(NEXT) | instid1(VALU_DEP_4)
	v_lshlrev_b32_e32 v7, 16, v8
	v_lshlrev_b32_e32 v5, 24, v5
	s_or_b32 s2, vcc_lo, s2
	s_delay_alu instid0(VALU_DEP_1) | instskip(SKIP_1) | instid1(SALU_CYCLE_1)
	v_or3_b32 v5, v6, v7, v5
	s_and_b32 s2, exec_lo, s2
	s_or_b32 s21, s2, s21
	global_store_b32 v[3:4], v5, off
	s_and_not1_b32 exec_lo, exec_lo, s21
	s_cbranch_execnz .LBB84_3
.LBB84_4:
	s_or_b32 exec_lo, exec_lo, s20
	s_mov_b32 s2, 0
.LBB84_5:
	s_delay_alu instid0(SALU_CYCLE_1)
	s_and_not1_b32 vcc_lo, exec_lo, s2
	s_cbranch_vccnz .LBB84_25
; %bb.6:
	v_cmp_lt_i64_e64 s2, s[4:5], 1
	s_delay_alu instid0(VALU_DEP_1)
	s_and_b32 vcc_lo, exec_lo, s2
	s_cbranch_vccnz .LBB84_25
; %bb.7:
	s_load_b32 s0, s[0:1], 0xc5c
	v_add_co_u32 v21, s1, s14, v0
	s_delay_alu instid0(VALU_DEP_1) | instskip(SKIP_1) | instid1(VALU_DEP_3)
	v_add_co_ci_u32_e64 v22, null, s15, 0, s1
	v_cmp_gt_u64_e64 s1, 0x10000, s[4:5]
	v_add_co_u32 v1, vcc_lo, s8, v21
	s_delay_alu instid0(VALU_DEP_3)
	v_add_co_ci_u32_e32 v2, vcc_lo, s9, v22, vcc_lo
	v_add_co_u32 v3, vcc_lo, s10, v21
	v_add_co_ci_u32_e32 v4, vcc_lo, s11, v22, vcc_lo
	v_add_co_u32 v5, vcc_lo, s12, v21
	v_add_co_ci_u32_e32 v6, vcc_lo, s13, v22, vcc_lo
	s_waitcnt lgkmcnt(0)
	s_and_b32 s0, s0, 0xffff
	s_and_b32 s1, s1, exec_lo
	s_mul_i32 s2, s0, 3
	s_cselect_b32 s7, s5, 0
	s_cselect_b32 s6, s4, 0x10000
	s_lshl_b32 s1, s0, 1
	s_lshl_b32 s16, s0, 2
	s_add_u32 s17, s14, s2
	s_addc_u32 s18, s15, 0
	v_add_co_u32 v11, s17, s17, v0
	s_delay_alu instid0(VALU_DEP_1) | instskip(SKIP_1) | instid1(VALU_DEP_2)
	v_add_co_ci_u32_e64 v12, null, s18, 0, s17
	s_add_u32 s14, s14, s1
	v_add_co_u32 v7, vcc_lo, s8, v11
	s_delay_alu instid0(VALU_DEP_2)
	v_add_co_ci_u32_e32 v8, vcc_lo, s9, v12, vcc_lo
	v_add_co_u32 v9, vcc_lo, s10, v11
	s_addc_u32 s15, s15, 0
	v_add_co_u32 v19, s14, s14, v0
	v_add_co_ci_u32_e32 v10, vcc_lo, s11, v12, vcc_lo
	v_add_co_u32 v11, vcc_lo, s12, v11
	v_add_co_ci_u32_e64 v20, null, s15, 0, s14
	v_add_co_ci_u32_e32 v12, vcc_lo, s13, v12, vcc_lo
	v_add_co_u32 v15, vcc_lo, s8, v19
	s_delay_alu instid0(VALU_DEP_3)
	v_add_co_ci_u32_e32 v16, vcc_lo, s9, v20, vcc_lo
	v_add_co_u32 v17, vcc_lo, s10, v19
	v_add_co_ci_u32_e32 v18, vcc_lo, s11, v20, vcc_lo
	v_add_co_u32 v19, vcc_lo, s12, v19
	;; [unrolled: 2-line block ×3, first 2 shown]
	v_add_co_ci_u32_e32 v28, vcc_lo, 0, v22, vcc_lo
	v_add_co_u32 v13, s2, s2, v0
	s_delay_alu instid0(VALU_DEP_3) | instskip(NEXT) | instid1(VALU_DEP_3)
	v_add_co_u32 v23, vcc_lo, s8, v27
	v_add_co_ci_u32_e32 v24, vcc_lo, s9, v28, vcc_lo
	v_add_co_u32 v25, vcc_lo, s10, v27
	v_add_co_ci_u32_e32 v26, vcc_lo, s11, v28, vcc_lo
	v_add_co_u32 v21, s1, s1, v0
	v_add_co_u32 v27, vcc_lo, s12, v27
	v_add_co_u32 v29, s0, v0, s0
	v_add_co_ci_u32_e64 v14, null, 0, 0, s2
	v_add_co_ci_u32_e64 v22, null, 0, 0, s1
	v_add_co_ci_u32_e32 v28, vcc_lo, s13, v28, vcc_lo
	v_add_co_ci_u32_e64 v30, null, 0, 0, s0
	s_mov_b64 s[8:9], 0
	s_lshr_b32 s10, s3, 16
	s_branch .LBB84_9
.LBB84_8:                               ;   in Loop: Header=BB84_9 Depth=1
	s_or_b32 exec_lo, exec_lo, s0
	s_add_u32 s8, s8, s16
	s_addc_u32 s9, s9, 0
	s_delay_alu instid0(SALU_CYCLE_1) | instskip(SKIP_1) | instid1(VALU_DEP_1)
	v_cmp_ge_i64_e64 s0, s[8:9], s[4:5]
	v_cmp_lt_u64_e64 s1, 0xffff, s[8:9]
	s_or_b32 s0, s0, s1
	s_delay_alu instid0(SALU_CYCLE_1)
	s_and_b32 vcc_lo, exec_lo, s0
	s_cbranch_vccnz .LBB84_25
.LBB84_9:                               ; =>This Inner Loop Header: Depth=1
	s_waitcnt vmcnt(0)
	v_add_co_u32 v33, s0, v0, s8
	s_delay_alu instid0(VALU_DEP_1) | instskip(SKIP_1) | instid1(VALU_DEP_2)
	v_add_co_ci_u32_e64 v34, null, 0, s9, s0
	v_dual_mov_b32 v32, 0 :: v_dual_mov_b32 v31, 0
	v_cmp_gt_u64_e32 vcc_lo, s[6:7], v[33:34]
	v_mov_b32_e32 v34, 0
	s_and_saveexec_b32 s1, vcc_lo
	s_cbranch_execz .LBB84_11
; %bb.10:                               ;   in Loop: Header=BB84_9 Depth=1
	v_add_co_u32 v33, s0, v1, s8
	s_delay_alu instid0(VALU_DEP_1) | instskip(SKIP_1) | instid1(VALU_DEP_1)
	v_add_co_ci_u32_e64 v34, s0, s9, v2, s0
	v_add_co_u32 v35, s0, v3, s8
	v_add_co_ci_u32_e64 v36, s0, s9, v4, s0
	global_load_u8 v31, v[33:34], off
	global_load_u8 v34, v[35:36], off
.LBB84_11:                              ;   in Loop: Header=BB84_9 Depth=1
	s_or_b32 exec_lo, exec_lo, s1
	v_add_co_u32 v35, s0, v29, s8
	s_delay_alu instid0(VALU_DEP_1) | instskip(NEXT) | instid1(VALU_DEP_1)
	v_add_co_ci_u32_e64 v36, s0, s9, v30, s0
	v_cmp_gt_u64_e64 s0, s[6:7], v[35:36]
	s_delay_alu instid0(VALU_DEP_1)
	s_and_saveexec_b32 s2, s0
	s_cbranch_execz .LBB84_13
; %bb.12:                               ;   in Loop: Header=BB84_9 Depth=1
	v_add_co_u32 v32, s1, v23, s8
	s_delay_alu instid0(VALU_DEP_1) | instskip(SKIP_2) | instid1(VALU_DEP_1)
	v_add_co_ci_u32_e64 v33, s1, s9, v24, s1
	global_load_u8 v35, v[32:33], off
	v_add_co_u32 v32, s1, v25, s8
	v_add_co_ci_u32_e64 v33, s1, s9, v26, s1
	global_load_u8 v32, v[32:33], off
	s_waitcnt vmcnt(1)
	v_lshl_or_b32 v31, v35, 8, v31
.LBB84_13:                              ;   in Loop: Header=BB84_9 Depth=1
	s_or_b32 exec_lo, exec_lo, s2
	v_add_co_u32 v35, s1, v21, s8
	s_delay_alu instid0(VALU_DEP_1) | instskip(SKIP_1) | instid1(VALU_DEP_2)
	v_add_co_ci_u32_e64 v36, s1, s9, v22, s1
	v_mov_b32_e32 v33, 0
	v_cmp_gt_u64_e64 s1, s[6:7], v[35:36]
	v_mov_b32_e32 v35, 0
	s_delay_alu instid0(VALU_DEP_2)
	s_and_saveexec_b32 s3, s1
	s_cbranch_execz .LBB84_15
; %bb.14:                               ;   in Loop: Header=BB84_9 Depth=1
	v_add_co_u32 v35, s2, v15, s8
	s_delay_alu instid0(VALU_DEP_1) | instskip(SKIP_2) | instid1(VALU_DEP_1)
	v_add_co_ci_u32_e64 v36, s2, s9, v16, s2
	global_load_u8 v37, v[35:36], off
	v_add_co_u32 v35, s2, v17, s8
	v_add_co_ci_u32_e64 v36, s2, s9, v18, s2
	global_load_u8 v35, v[35:36], off
	s_waitcnt vmcnt(1)
	v_lshl_or_b32 v31, v37, 16, v31
.LBB84_15:                              ;   in Loop: Header=BB84_9 Depth=1
	s_or_b32 exec_lo, exec_lo, s3
	v_add_co_u32 v36, s2, v13, s8
	s_delay_alu instid0(VALU_DEP_1) | instskip(NEXT) | instid1(VALU_DEP_1)
	v_add_co_ci_u32_e64 v37, s2, s9, v14, s2
	v_cmp_gt_u64_e64 s2, s[6:7], v[36:37]
	s_delay_alu instid0(VALU_DEP_1)
	s_and_saveexec_b32 s11, s2
	s_cbranch_execnz .LBB84_20
; %bb.16:                               ;   in Loop: Header=BB84_9 Depth=1
	s_or_b32 exec_lo, exec_lo, s11
	s_and_saveexec_b32 s3, vcc_lo
	s_cbranch_execnz .LBB84_21
.LBB84_17:                              ;   in Loop: Header=BB84_9 Depth=1
	s_or_b32 exec_lo, exec_lo, s3
	s_and_saveexec_b32 s3, s0
	s_cbranch_execnz .LBB84_22
.LBB84_18:                              ;   in Loop: Header=BB84_9 Depth=1
	s_or_b32 exec_lo, exec_lo, s3
	s_and_saveexec_b32 s0, s1
	s_cbranch_execnz .LBB84_23
.LBB84_19:                              ;   in Loop: Header=BB84_9 Depth=1
	s_or_b32 exec_lo, exec_lo, s0
	s_and_saveexec_b32 s0, s2
	s_cbranch_execz .LBB84_8
	s_branch .LBB84_24
.LBB84_20:                              ;   in Loop: Header=BB84_9 Depth=1
	v_add_co_u32 v36, s3, v7, s8
	s_delay_alu instid0(VALU_DEP_1) | instskip(SKIP_2) | instid1(VALU_DEP_1)
	v_add_co_ci_u32_e64 v37, s3, s9, v8, s3
	global_load_u8 v38, v[36:37], off
	v_add_co_u32 v36, s3, v9, s8
	v_add_co_ci_u32_e64 v37, s3, s9, v10, s3
	global_load_u8 v33, v[36:37], off
	s_waitcnt vmcnt(1)
	v_lshl_or_b32 v31, v38, 24, v31
	s_or_b32 exec_lo, exec_lo, s11
	s_and_saveexec_b32 s3, vcc_lo
	s_cbranch_execz .LBB84_17
.LBB84_21:                              ;   in Loop: Header=BB84_9 Depth=1
	s_waitcnt vmcnt(0)
	v_mul_lo_u16 v34, v34, s10
	v_cvt_f32_ubyte0_e32 v37, v31
	s_delay_alu instid0(VALU_DEP_2) | instskip(NEXT) | instid1(VALU_DEP_1)
	v_cvt_f32_ubyte0_e32 v34, v34
	v_rcp_iflag_f32_e32 v36, v34
	s_waitcnt_depctr 0xfff
	v_mul_f32_e32 v36, v37, v36
	s_delay_alu instid0(VALU_DEP_1) | instskip(NEXT) | instid1(VALU_DEP_1)
	v_trunc_f32_e32 v36, v36
	v_fma_f32 v38, -v36, v34, v37
	v_cvt_u32_f32_e32 v39, v36
	v_add_co_u32 v36, vcc_lo, v5, s8
	v_add_co_ci_u32_e32 v37, vcc_lo, s9, v6, vcc_lo
	s_delay_alu instid0(VALU_DEP_4) | instskip(NEXT) | instid1(VALU_DEP_4)
	v_cmp_ge_f32_e64 vcc_lo, |v38|, v34
	v_add_co_ci_u32_e32 v34, vcc_lo, 0, v39, vcc_lo
	global_store_b8 v[36:37], v34, off
	s_or_b32 exec_lo, exec_lo, s3
	s_and_saveexec_b32 s3, s0
	s_cbranch_execz .LBB84_18
.LBB84_22:                              ;   in Loop: Header=BB84_9 Depth=1
	s_waitcnt vmcnt(0)
	v_mul_lo_u16 v32, v32, s10
	v_cvt_f32_ubyte1_e32 v36, v31
	s_delay_alu instid0(VALU_DEP_2) | instskip(NEXT) | instid1(VALU_DEP_1)
	v_cvt_f32_ubyte0_e32 v32, v32
	v_rcp_iflag_f32_e32 v34, v32
	s_waitcnt_depctr 0xfff
	v_mul_f32_e32 v34, v36, v34
	s_delay_alu instid0(VALU_DEP_1) | instskip(NEXT) | instid1(VALU_DEP_1)
	v_trunc_f32_e32 v34, v34
	v_fma_f32 v36, -v34, v32, v36
	v_cvt_u32_f32_e32 v34, v34
	s_delay_alu instid0(VALU_DEP_2) | instskip(NEXT) | instid1(VALU_DEP_2)
	v_cmp_ge_f32_e64 vcc_lo, |v36|, v32
	v_add_co_ci_u32_e32 v32, vcc_lo, 0, v34, vcc_lo
	v_add_co_u32 v36, vcc_lo, v27, s8
	v_add_co_ci_u32_e32 v37, vcc_lo, s9, v28, vcc_lo
	global_store_b8 v[36:37], v32, off
	s_or_b32 exec_lo, exec_lo, s3
	s_and_saveexec_b32 s0, s1
	s_cbranch_execz .LBB84_19
.LBB84_23:                              ;   in Loop: Header=BB84_9 Depth=1
	s_waitcnt vmcnt(0)
	v_mul_lo_u16 v32, v35, s10
	v_cvt_f32_ubyte2_e32 v35, v31
	s_delay_alu instid0(VALU_DEP_2) | instskip(NEXT) | instid1(VALU_DEP_1)
	v_cvt_f32_ubyte0_e32 v32, v32
	v_rcp_iflag_f32_e32 v34, v32
	s_waitcnt_depctr 0xfff
	v_mul_f32_e32 v34, v35, v34
	s_delay_alu instid0(VALU_DEP_1) | instskip(NEXT) | instid1(VALU_DEP_1)
	v_trunc_f32_e32 v34, v34
	v_fma_f32 v35, -v34, v32, v35
	v_cvt_u32_f32_e32 v34, v34
	s_delay_alu instid0(VALU_DEP_2) | instskip(NEXT) | instid1(VALU_DEP_2)
	v_cmp_ge_f32_e64 vcc_lo, |v35|, v32
	v_add_co_ci_u32_e32 v32, vcc_lo, 0, v34, vcc_lo
	v_add_co_u32 v34, vcc_lo, v19, s8
	v_add_co_ci_u32_e32 v35, vcc_lo, s9, v20, vcc_lo
	global_store_b8 v[34:35], v32, off
	s_or_b32 exec_lo, exec_lo, s0
	s_and_saveexec_b32 s0, s2
	s_cbranch_execz .LBB84_8
.LBB84_24:                              ;   in Loop: Header=BB84_9 Depth=1
	s_waitcnt vmcnt(0)
	v_mul_lo_u16 v32, v33, s10
	v_cvt_f32_ubyte3_e32 v31, v31
	s_delay_alu instid0(VALU_DEP_2) | instskip(NEXT) | instid1(VALU_DEP_1)
	v_cvt_f32_ubyte0_e32 v32, v32
	v_rcp_iflag_f32_e32 v33, v32
	s_waitcnt_depctr 0xfff
	v_mul_f32_e32 v33, v31, v33
	s_delay_alu instid0(VALU_DEP_1) | instskip(NEXT) | instid1(VALU_DEP_1)
	v_trunc_f32_e32 v33, v33
	v_fma_f32 v31, -v33, v32, v31
	v_cvt_u32_f32_e32 v33, v33
	s_delay_alu instid0(VALU_DEP_2) | instskip(NEXT) | instid1(VALU_DEP_2)
	v_cmp_ge_f32_e64 vcc_lo, |v31|, v32
	v_add_co_ci_u32_e32 v33, vcc_lo, 0, v33, vcc_lo
	v_add_co_u32 v31, vcc_lo, v11, s8
	v_add_co_ci_u32_e32 v32, vcc_lo, s9, v12, vcc_lo
	global_store_b8 v[31:32], v33, off
	s_branch .LBB84_8
.LBB84_25:
	s_nop 0
	s_sendmsg sendmsg(MSG_DEALLOC_VGPRS)
	s_endpgm
	.section	.rodata,"a",@progbits
	.p2align	6, 0x0
	.amdhsa_kernel _ZN2at6native12_GLOBAL__N_125multi_tensor_apply_kernelINS1_18TensorListMetadataILi3EEENS1_24BinaryOpListAlphaFunctorIhLi3ELi2ELi2EEEJSt7dividesIhEhEEEvT_T0_DpT1_
		.amdhsa_group_segment_fixed_size 0
		.amdhsa_private_segment_fixed_size 0
		.amdhsa_kernarg_size 3408
		.amdhsa_user_sgpr_count 15
		.amdhsa_user_sgpr_dispatch_ptr 0
		.amdhsa_user_sgpr_queue_ptr 0
		.amdhsa_user_sgpr_kernarg_segment_ptr 1
		.amdhsa_user_sgpr_dispatch_id 0
		.amdhsa_user_sgpr_private_segment_size 0
		.amdhsa_wavefront_size32 1
		.amdhsa_uses_dynamic_stack 0
		.amdhsa_enable_private_segment 0
		.amdhsa_system_sgpr_workgroup_id_x 1
		.amdhsa_system_sgpr_workgroup_id_y 0
		.amdhsa_system_sgpr_workgroup_id_z 0
		.amdhsa_system_sgpr_workgroup_info 0
		.amdhsa_system_vgpr_workitem_id 0
		.amdhsa_next_free_vgpr 40
		.amdhsa_next_free_sgpr 24
		.amdhsa_reserve_vcc 1
		.amdhsa_float_round_mode_32 0
		.amdhsa_float_round_mode_16_64 0
		.amdhsa_float_denorm_mode_32 3
		.amdhsa_float_denorm_mode_16_64 3
		.amdhsa_dx10_clamp 1
		.amdhsa_ieee_mode 1
		.amdhsa_fp16_overflow 0
		.amdhsa_workgroup_processor_mode 1
		.amdhsa_memory_ordered 1
		.amdhsa_forward_progress 0
		.amdhsa_shared_vgpr_count 0
		.amdhsa_exception_fp_ieee_invalid_op 0
		.amdhsa_exception_fp_denorm_src 0
		.amdhsa_exception_fp_ieee_div_zero 0
		.amdhsa_exception_fp_ieee_overflow 0
		.amdhsa_exception_fp_ieee_underflow 0
		.amdhsa_exception_fp_ieee_inexact 0
		.amdhsa_exception_int_div_zero 0
	.end_amdhsa_kernel
	.section	.text._ZN2at6native12_GLOBAL__N_125multi_tensor_apply_kernelINS1_18TensorListMetadataILi3EEENS1_24BinaryOpListAlphaFunctorIhLi3ELi2ELi2EEEJSt7dividesIhEhEEEvT_T0_DpT1_,"axG",@progbits,_ZN2at6native12_GLOBAL__N_125multi_tensor_apply_kernelINS1_18TensorListMetadataILi3EEENS1_24BinaryOpListAlphaFunctorIhLi3ELi2ELi2EEEJSt7dividesIhEhEEEvT_T0_DpT1_,comdat
.Lfunc_end84:
	.size	_ZN2at6native12_GLOBAL__N_125multi_tensor_apply_kernelINS1_18TensorListMetadataILi3EEENS1_24BinaryOpListAlphaFunctorIhLi3ELi2ELi2EEEJSt7dividesIhEhEEEvT_T0_DpT1_, .Lfunc_end84-_ZN2at6native12_GLOBAL__N_125multi_tensor_apply_kernelINS1_18TensorListMetadataILi3EEENS1_24BinaryOpListAlphaFunctorIhLi3ELi2ELi2EEEJSt7dividesIhEhEEEvT_T0_DpT1_
                                        ; -- End function
	.section	.AMDGPU.csdata,"",@progbits
; Kernel info:
; codeLenInByte = 2060
; NumSgprs: 26
; NumVgprs: 40
; ScratchSize: 0
; MemoryBound: 0
; FloatMode: 240
; IeeeMode: 1
; LDSByteSize: 0 bytes/workgroup (compile time only)
; SGPRBlocks: 3
; VGPRBlocks: 4
; NumSGPRsForWavesPerEU: 26
; NumVGPRsForWavesPerEU: 40
; Occupancy: 16
; WaveLimiterHint : 0
; COMPUTE_PGM_RSRC2:SCRATCH_EN: 0
; COMPUTE_PGM_RSRC2:USER_SGPR: 15
; COMPUTE_PGM_RSRC2:TRAP_HANDLER: 0
; COMPUTE_PGM_RSRC2:TGID_X_EN: 1
; COMPUTE_PGM_RSRC2:TGID_Y_EN: 0
; COMPUTE_PGM_RSRC2:TGID_Z_EN: 0
; COMPUTE_PGM_RSRC2:TIDIG_COMP_CNT: 0
	.section	.text._ZN2at6native12_GLOBAL__N_125multi_tensor_apply_kernelINS1_18TensorListMetadataILi3EEENS1_24BinaryOpListAlphaFunctorIaLi3ELi2ELi2EEEJSt7dividesIaEaEEEvT_T0_DpT1_,"axG",@progbits,_ZN2at6native12_GLOBAL__N_125multi_tensor_apply_kernelINS1_18TensorListMetadataILi3EEENS1_24BinaryOpListAlphaFunctorIaLi3ELi2ELi2EEEJSt7dividesIaEaEEEvT_T0_DpT1_,comdat
	.globl	_ZN2at6native12_GLOBAL__N_125multi_tensor_apply_kernelINS1_18TensorListMetadataILi3EEENS1_24BinaryOpListAlphaFunctorIaLi3ELi2ELi2EEEJSt7dividesIaEaEEEvT_T0_DpT1_ ; -- Begin function _ZN2at6native12_GLOBAL__N_125multi_tensor_apply_kernelINS1_18TensorListMetadataILi3EEENS1_24BinaryOpListAlphaFunctorIaLi3ELi2ELi2EEEJSt7dividesIaEaEEEvT_T0_DpT1_
	.p2align	8
	.type	_ZN2at6native12_GLOBAL__N_125multi_tensor_apply_kernelINS1_18TensorListMetadataILi3EEENS1_24BinaryOpListAlphaFunctorIaLi3ELi2ELi2EEEJSt7dividesIaEaEEEvT_T0_DpT1_,@function
_ZN2at6native12_GLOBAL__N_125multi_tensor_apply_kernelINS1_18TensorListMetadataILi3EEENS1_24BinaryOpListAlphaFunctorIaLi3ELi2ELi2EEEJSt7dividesIaEaEEEvT_T0_DpT1_: ; @_ZN2at6native12_GLOBAL__N_125multi_tensor_apply_kernelINS1_18TensorListMetadataILi3EEENS1_24BinaryOpListAlphaFunctorIaLi3ELi2ELi2EEEJSt7dividesIaEaEEEvT_T0_DpT1_
; %bb.0:
	v_mov_b32_e32 v1, s15
	s_add_u32 s2, s0, s15
	s_mul_hi_u32 s3, s15, 3
	s_mul_i32 s15, s15, 3
	s_addc_u32 s4, s1, 0
	global_load_u8 v1, v1, s[0:1] offset:1536
	s_add_u32 s2, s2, s15
	s_addc_u32 s3, s4, s3
	s_load_b32 s2, s[2:3], 0x740
	s_waitcnt vmcnt(0)
	v_readfirstlane_b32 s3, v1
	s_delay_alu instid0(VALU_DEP_1)
	s_lshl_b32 s3, s3, 3
	s_clause 0x3
	s_load_b64 s[6:7], s[0:1], s3 offset:0x0
	s_load_b64 s[10:11], s[0:1], s3 offset:0x180
	;; [unrolled: 1-line block ×4, first 2 shown]
	s_waitcnt lgkmcnt(0)
	s_ashr_i32 s3, s2, 31
	s_delay_alu instid0(SALU_CYCLE_1)
	s_lshl_b64 s[14:15], s[2:3], 16
	s_load_b32 s3, s[0:1], 0xc48
	s_add_u32 s8, s6, s14
	s_addc_u32 s9, s7, s15
	s_add_u32 s16, s10, s14
	s_addc_u32 s17, s11, s15
	;; [unrolled: 2-line block ×3, first 2 shown]
	s_or_b32 s2, s18, s16
	s_delay_alu instid0(SALU_CYCLE_1) | instskip(NEXT) | instid1(SALU_CYCLE_1)
	s_and_b32 s2, s2, 3
	s_cmp_lg_u32 s2, 0
	s_cselect_b32 s2, -1, 0
	s_sub_u32 s4, s20, s14
	s_subb_u32 s5, s21, s15
	s_or_b64 s[20:21], s[20:21], s[8:9]
	s_mov_b32 s21, 0
	s_and_b32 s20, s20, 3
	s_delay_alu instid0(SALU_CYCLE_1) | instskip(SKIP_1) | instid1(SALU_CYCLE_1)
	s_cmp_lg_u64 s[20:21], 0
	s_cselect_b32 s20, -1, 0
	s_or_b32 s2, s2, s20
	s_delay_alu instid0(SALU_CYCLE_1)
	s_and_not1_b32 vcc_lo, exec_lo, s2
	s_mov_b32 s2, -1
	s_cbranch_vccz .LBB85_5
; %bb.1:
	v_dual_mov_b32 v2, 0 :: v_dual_lshlrev_b32 v1, 2, v0
	s_mov_b32 s20, exec_lo
	s_delay_alu instid0(VALU_DEP_1)
	v_cmpx_gt_i64_e64 s[4:5], v[1:2]
	s_cbranch_execz .LBB85_4
; %bb.2:
	s_load_b32 s2, s[0:1], 0xc5c
	s_waitcnt lgkmcnt(0)
	s_lshr_b32 s23, s3, 16
	s_and_b32 s2, s2, 0xffff
	s_delay_alu instid0(SALU_CYCLE_1)
	s_lshl_b32 s22, s2, 2
.LBB85_3:                               ; =>This Inner Loop Header: Depth=1
	v_add_co_u32 v3, vcc_lo, s16, v1
	v_add_co_ci_u32_e32 v4, vcc_lo, s17, v2, vcc_lo
	v_add_co_u32 v5, vcc_lo, s8, v1
	v_add_co_ci_u32_e32 v6, vcc_lo, s9, v2, vcc_lo
	global_load_b32 v7, v[3:4], off
	global_load_b32 v5, v[5:6], off
	v_add_co_u32 v3, vcc_lo, s18, v1
	v_add_co_ci_u32_e32 v4, vcc_lo, s19, v2, vcc_lo
	v_add_co_u32 v1, vcc_lo, s22, v1
	v_add_co_ci_u32_e32 v2, vcc_lo, 0, v2, vcc_lo
	s_delay_alu instid0(VALU_DEP_1)
	v_cmp_lt_u64_e64 s2, 0xffff, v[1:2]
	s_waitcnt vmcnt(1)
	v_mul_lo_u16 v6, v7, s23
	v_lshrrev_b32_e32 v9, 8, v7
	s_waitcnt vmcnt(0)
	v_bfe_i32 v8, v5, 0, 8
	v_lshrrev_b32_e32 v11, 16, v7
	v_bfe_i32 v10, v5, 8, 8
	v_bfe_i32 v6, v6, 0, 8
	v_mul_lo_u16 v9, v9, s23
	v_lshrrev_b32_e32 v7, 24, v7
	v_cvt_f32_i32_e32 v13, v8
	v_mul_lo_u16 v11, v11, s23
	v_xor_b32_e32 v8, v8, v6
	v_cvt_f32_i32_e32 v6, v6
	v_bfe_i32 v9, v9, 0, 8
	v_bfe_i32 v12, v5, 16, 8
	v_cvt_f32_i32_e32 v14, v10
	v_mul_lo_u16 v7, v7, s23
	v_bfe_i32 v11, v11, 0, 8
	v_rcp_iflag_f32_e32 v17, v6
	v_xor_b32_e32 v10, v10, v9
	v_cvt_f32_i32_e32 v9, v9
	v_ashrrev_i32_e32 v5, 24, v5
	v_cvt_f32_i32_e32 v15, v12
	v_bfe_i32 v7, v7, 0, 8
	v_xor_b32_e32 v12, v12, v11
	v_cvt_f32_i32_e32 v11, v11
	v_rcp_iflag_f32_e32 v18, v9
	v_cvt_f32_i32_e32 v16, v5
	v_xor_b32_e32 v5, v5, v7
	v_cvt_f32_i32_e32 v7, v7
	v_rcp_iflag_f32_e32 v19, v11
	v_mul_f32_e32 v17, v13, v17
	v_ashrrev_i32_e32 v8, 30, v8
	v_ashrrev_i32_e32 v10, 30, v10
	v_rcp_iflag_f32_e32 v20, v7
	v_ashrrev_i32_e32 v12, 30, v12
	v_mul_f32_e32 v18, v14, v18
	v_trunc_f32_e32 v17, v17
	v_or_b32_e32 v8, 1, v8
	v_or_b32_e32 v10, 1, v10
	v_mul_f32_e32 v19, v15, v19
	v_trunc_f32_e32 v18, v18
	v_fma_f32 v13, -v17, v6, v13
	v_or_b32_e32 v12, 1, v12
	v_mul_f32_e32 v20, v16, v20
	v_trunc_f32_e32 v19, v19
	v_fma_f32 v14, -v18, v9, v14
	v_cmp_ge_f32_e64 vcc_lo, |v13|, |v6|
	v_cvt_i32_f32_e32 v17, v17
	v_trunc_f32_e32 v20, v20
	v_fma_f32 v13, -v19, v11, v15
	v_ashrrev_i32_e32 v5, 30, v5
	v_cndmask_b32_e32 v6, 0, v8, vcc_lo
	v_cmp_ge_f32_e64 vcc_lo, |v14|, |v9|
	v_cvt_i32_f32_e32 v8, v18
	s_delay_alu instid0(VALU_DEP_4) | instskip(SKIP_4) | instid1(VALU_DEP_4)
	v_or_b32_e32 v5, 1, v5
	v_cndmask_b32_e32 v9, 0, v10, vcc_lo
	v_cmp_ge_f32_e64 vcc_lo, |v13|, |v11|
	v_cvt_i32_f32_e32 v10, v19
	v_add_nc_u32_e32 v6, v17, v6
	v_dual_cndmask_b32 v11, 0, v12 :: v_dual_add_nc_u32 v8, v8, v9
	v_fma_f32 v9, -v20, v7, v16
	s_delay_alu instid0(VALU_DEP_2) | instskip(NEXT) | instid1(VALU_DEP_3)
	v_lshlrev_b16 v8, 8, v8
	v_add_nc_u32_e32 v10, v10, v11
	s_delay_alu instid0(VALU_DEP_3) | instskip(SKIP_2) | instid1(VALU_DEP_4)
	v_cmp_ge_f32_e64 vcc_lo, |v9|, |v7|
	v_and_b32_e32 v6, 0xff, v6
	v_cvt_i32_f32_e32 v11, v20
	v_and_b32_e32 v7, 0xff, v10
	v_cndmask_b32_e32 v5, 0, v5, vcc_lo
	s_delay_alu instid0(VALU_DEP_4) | instskip(SKIP_1) | instid1(VALU_DEP_4)
	v_or_b32_e32 v6, v8, v6
	v_cmp_le_i64_e32 vcc_lo, s[4:5], v[1:2]
	v_lshlrev_b32_e32 v7, 16, v7
	s_delay_alu instid0(VALU_DEP_4) | instskip(NEXT) | instid1(VALU_DEP_4)
	v_add_lshl_u32 v5, v11, v5, 24
	v_and_b32_e32 v6, 0xffff, v6
	s_or_b32 s2, vcc_lo, s2
	s_delay_alu instid0(SALU_CYCLE_1) | instskip(NEXT) | instid1(VALU_DEP_1)
	s_and_b32 s2, exec_lo, s2
	v_or3_b32 v5, v7, v6, v5
	s_or_b32 s21, s2, s21
	global_store_b32 v[3:4], v5, off
	s_and_not1_b32 exec_lo, exec_lo, s21
	s_cbranch_execnz .LBB85_3
.LBB85_4:
	s_or_b32 exec_lo, exec_lo, s20
	s_mov_b32 s2, 0
.LBB85_5:
	s_delay_alu instid0(SALU_CYCLE_1)
	s_and_not1_b32 vcc_lo, exec_lo, s2
	s_cbranch_vccnz .LBB85_25
; %bb.6:
	v_cmp_lt_i64_e64 s2, s[4:5], 1
	s_delay_alu instid0(VALU_DEP_1)
	s_and_b32 vcc_lo, exec_lo, s2
	s_cbranch_vccnz .LBB85_25
; %bb.7:
	s_load_b32 s0, s[0:1], 0xc5c
	v_add_co_u32 v21, s1, s14, v0
	s_delay_alu instid0(VALU_DEP_1) | instskip(SKIP_1) | instid1(VALU_DEP_3)
	v_add_co_ci_u32_e64 v22, null, s15, 0, s1
	v_cmp_gt_u64_e64 s1, 0x10000, s[4:5]
	v_add_co_u32 v1, vcc_lo, s6, v21
	s_delay_alu instid0(VALU_DEP_3)
	v_add_co_ci_u32_e32 v2, vcc_lo, s7, v22, vcc_lo
	v_add_co_u32 v3, vcc_lo, s10, v21
	v_add_co_ci_u32_e32 v4, vcc_lo, s11, v22, vcc_lo
	v_add_co_u32 v5, vcc_lo, s12, v21
	v_add_co_ci_u32_e32 v6, vcc_lo, s13, v22, vcc_lo
	s_waitcnt lgkmcnt(0)
	s_and_b32 s0, s0, 0xffff
	s_and_b32 s1, s1, exec_lo
	s_mul_i32 s2, s0, 3
	s_cselect_b32 s9, s5, 0
	s_cselect_b32 s8, s4, 0x10000
	s_lshl_b32 s1, s0, 1
	s_lshl_b32 s16, s0, 2
	s_add_u32 s17, s14, s2
	s_addc_u32 s18, s15, 0
	v_add_co_u32 v11, s17, s17, v0
	s_delay_alu instid0(VALU_DEP_1) | instskip(SKIP_1) | instid1(VALU_DEP_2)
	v_add_co_ci_u32_e64 v12, null, s18, 0, s17
	s_add_u32 s14, s14, s1
	v_add_co_u32 v7, vcc_lo, s6, v11
	s_delay_alu instid0(VALU_DEP_2)
	v_add_co_ci_u32_e32 v8, vcc_lo, s7, v12, vcc_lo
	v_add_co_u32 v9, vcc_lo, s10, v11
	s_addc_u32 s15, s15, 0
	v_add_co_u32 v19, s14, s14, v0
	v_add_co_ci_u32_e32 v10, vcc_lo, s11, v12, vcc_lo
	v_add_co_u32 v11, vcc_lo, s12, v11
	v_add_co_ci_u32_e64 v20, null, s15, 0, s14
	v_add_co_ci_u32_e32 v12, vcc_lo, s13, v12, vcc_lo
	v_add_co_u32 v15, vcc_lo, s6, v19
	s_delay_alu instid0(VALU_DEP_3)
	v_add_co_ci_u32_e32 v16, vcc_lo, s7, v20, vcc_lo
	v_add_co_u32 v17, vcc_lo, s10, v19
	v_add_co_ci_u32_e32 v18, vcc_lo, s11, v20, vcc_lo
	v_add_co_u32 v19, vcc_lo, s12, v19
	;; [unrolled: 2-line block ×3, first 2 shown]
	v_add_co_ci_u32_e32 v28, vcc_lo, 0, v22, vcc_lo
	v_add_co_u32 v13, s2, s2, v0
	s_delay_alu instid0(VALU_DEP_3) | instskip(NEXT) | instid1(VALU_DEP_3)
	v_add_co_u32 v23, vcc_lo, s6, v27
	v_add_co_ci_u32_e32 v24, vcc_lo, s7, v28, vcc_lo
	v_add_co_u32 v25, vcc_lo, s10, v27
	v_add_co_ci_u32_e32 v26, vcc_lo, s11, v28, vcc_lo
	v_add_co_u32 v21, s1, s1, v0
	v_add_co_u32 v27, vcc_lo, s12, v27
	v_add_co_u32 v29, s0, v0, s0
	v_add_co_ci_u32_e64 v14, null, 0, 0, s2
	v_add_co_ci_u32_e64 v22, null, 0, 0, s1
	v_add_co_ci_u32_e32 v28, vcc_lo, s13, v28, vcc_lo
	v_add_co_ci_u32_e64 v30, null, 0, 0, s0
	s_mov_b64 s[6:7], 0
	s_lshr_b32 s10, s3, 16
	s_branch .LBB85_9
.LBB85_8:                               ;   in Loop: Header=BB85_9 Depth=1
	s_or_b32 exec_lo, exec_lo, s0
	s_add_u32 s6, s6, s16
	s_addc_u32 s7, s7, 0
	s_delay_alu instid0(SALU_CYCLE_1) | instskip(SKIP_1) | instid1(VALU_DEP_1)
	v_cmp_ge_i64_e64 s0, s[6:7], s[4:5]
	v_cmp_lt_u64_e64 s1, 0xffff, s[6:7]
	s_or_b32 s0, s0, s1
	s_delay_alu instid0(SALU_CYCLE_1)
	s_and_b32 vcc_lo, exec_lo, s0
	s_cbranch_vccnz .LBB85_25
.LBB85_9:                               ; =>This Inner Loop Header: Depth=1
	s_waitcnt vmcnt(1)
	v_add_co_u32 v31, s0, v0, s6
	s_waitcnt vmcnt(0)
	v_add_co_ci_u32_e64 v32, null, 0, s7, s0
	v_mov_b32_e32 v33, 0
	v_mov_b32_e32 v35, 0
	s_delay_alu instid0(VALU_DEP_3) | instskip(SKIP_1) | instid1(VALU_DEP_2)
	v_cmp_gt_u64_e64 s2, s[8:9], v[31:32]
	v_mov_b32_e32 v31, 0
	s_and_saveexec_b32 s0, s2
	s_cbranch_execz .LBB85_11
; %bb.10:                               ;   in Loop: Header=BB85_9 Depth=1
	v_add_co_u32 v31, vcc_lo, v1, s6
	v_add_co_ci_u32_e32 v32, vcc_lo, s7, v2, vcc_lo
	v_add_co_u32 v34, vcc_lo, v3, s6
	v_add_co_ci_u32_e32 v35, vcc_lo, s7, v4, vcc_lo
	global_load_u8 v31, v[31:32], off
	global_load_u8 v35, v[34:35], off
.LBB85_11:                              ;   in Loop: Header=BB85_9 Depth=1
	s_or_b32 exec_lo, exec_lo, s0
	v_add_co_u32 v36, vcc_lo, v29, s6
	v_add_co_ci_u32_e32 v37, vcc_lo, s7, v30, vcc_lo
	s_delay_alu instid0(VALU_DEP_1) | instskip(NEXT) | instid1(VALU_DEP_1)
	v_cmp_gt_u64_e64 s1, s[8:9], v[36:37]
	s_and_saveexec_b32 s0, s1
	s_cbranch_execz .LBB85_13
; %bb.12:                               ;   in Loop: Header=BB85_9 Depth=1
	v_add_co_u32 v32, vcc_lo, v23, s6
	v_add_co_ci_u32_e32 v33, vcc_lo, s7, v24, vcc_lo
	global_load_u8 v34, v[32:33], off
	v_add_co_u32 v32, vcc_lo, v25, s6
	v_add_co_ci_u32_e32 v33, vcc_lo, s7, v26, vcc_lo
	global_load_u8 v33, v[32:33], off
	s_waitcnt vmcnt(1)
	v_lshl_or_b32 v31, v34, 8, v31
.LBB85_13:                              ;   in Loop: Header=BB85_9 Depth=1
	s_or_b32 exec_lo, exec_lo, s0
	v_add_co_u32 v36, vcc_lo, v21, s6
	v_add_co_ci_u32_e32 v37, vcc_lo, s7, v22, vcc_lo
	v_mov_b32_e32 v32, 0
	v_mov_b32_e32 v34, 0
	s_delay_alu instid0(VALU_DEP_3) | instskip(NEXT) | instid1(VALU_DEP_1)
	v_cmp_gt_u64_e64 s0, s[8:9], v[36:37]
	s_and_saveexec_b32 s3, s0
	s_cbranch_execz .LBB85_15
; %bb.14:                               ;   in Loop: Header=BB85_9 Depth=1
	v_add_co_u32 v36, vcc_lo, v15, s6
	v_add_co_ci_u32_e32 v37, vcc_lo, s7, v16, vcc_lo
	global_load_u8 v38, v[36:37], off
	v_add_co_u32 v36, vcc_lo, v17, s6
	v_add_co_ci_u32_e32 v37, vcc_lo, s7, v18, vcc_lo
	global_load_u8 v34, v[36:37], off
	s_waitcnt vmcnt(1)
	v_lshl_or_b32 v31, v38, 16, v31
.LBB85_15:                              ;   in Loop: Header=BB85_9 Depth=1
	s_or_b32 exec_lo, exec_lo, s3
	v_add_co_u32 v36, vcc_lo, v13, s6
	v_add_co_ci_u32_e32 v37, vcc_lo, s7, v14, vcc_lo
	s_delay_alu instid0(VALU_DEP_1)
	v_cmp_gt_u64_e32 vcc_lo, s[8:9], v[36:37]
	s_and_saveexec_b32 s11, vcc_lo
	s_cbranch_execnz .LBB85_20
; %bb.16:                               ;   in Loop: Header=BB85_9 Depth=1
	s_or_b32 exec_lo, exec_lo, s11
	s_and_saveexec_b32 s3, s2
	s_cbranch_execnz .LBB85_21
.LBB85_17:                              ;   in Loop: Header=BB85_9 Depth=1
	s_or_b32 exec_lo, exec_lo, s3
	s_and_saveexec_b32 s2, s1
	s_cbranch_execnz .LBB85_22
.LBB85_18:                              ;   in Loop: Header=BB85_9 Depth=1
	s_or_b32 exec_lo, exec_lo, s2
	s_and_saveexec_b32 s1, s0
	s_cbranch_execnz .LBB85_23
.LBB85_19:                              ;   in Loop: Header=BB85_9 Depth=1
	s_or_b32 exec_lo, exec_lo, s1
	s_and_saveexec_b32 s0, vcc_lo
	s_cbranch_execz .LBB85_8
	s_branch .LBB85_24
.LBB85_20:                              ;   in Loop: Header=BB85_9 Depth=1
	v_add_co_u32 v36, s3, v7, s6
	s_delay_alu instid0(VALU_DEP_1) | instskip(SKIP_2) | instid1(VALU_DEP_1)
	v_add_co_ci_u32_e64 v37, s3, s7, v8, s3
	global_load_u8 v38, v[36:37], off
	v_add_co_u32 v36, s3, v9, s6
	v_add_co_ci_u32_e64 v37, s3, s7, v10, s3
	global_load_u8 v32, v[36:37], off
	s_waitcnt vmcnt(1)
	v_lshl_or_b32 v31, v38, 24, v31
	s_or_b32 exec_lo, exec_lo, s11
	s_and_saveexec_b32 s3, s2
	s_cbranch_execz .LBB85_17
.LBB85_21:                              ;   in Loop: Header=BB85_9 Depth=1
	s_waitcnt vmcnt(0)
	v_mul_lo_u16 v35, v35, s10
	v_bfe_i32 v37, v31, 0, 8
	s_delay_alu instid0(VALU_DEP_2) | instskip(NEXT) | instid1(VALU_DEP_2)
	v_bfe_i32 v35, v35, 0, 8
	v_cvt_f32_i32_e32 v39, v37
	s_delay_alu instid0(VALU_DEP_2) | instskip(SKIP_1) | instid1(VALU_DEP_2)
	v_cvt_f32_i32_e32 v36, v35
	v_xor_b32_e32 v35, v37, v35
	v_rcp_iflag_f32_e32 v38, v36
	s_delay_alu instid0(VALU_DEP_1) | instskip(NEXT) | instid1(VALU_DEP_1)
	v_ashrrev_i32_e32 v35, 30, v35
	v_or_b32_e32 v35, 1, v35
	s_waitcnt_depctr 0xfff
	v_mul_f32_e32 v38, v39, v38
	s_delay_alu instid0(VALU_DEP_1) | instskip(NEXT) | instid1(VALU_DEP_1)
	v_trunc_f32_e32 v37, v38
	v_fma_f32 v38, -v37, v36, v39
	v_cvt_i32_f32_e32 v37, v37
	s_delay_alu instid0(VALU_DEP_2) | instskip(NEXT) | instid1(VALU_DEP_1)
	v_cmp_ge_f32_e64 s2, |v38|, |v36|
	v_cndmask_b32_e64 v35, 0, v35, s2
	s_delay_alu instid0(VALU_DEP_1) | instskip(SKIP_1) | instid1(VALU_DEP_1)
	v_add_nc_u32_e32 v37, v37, v35
	v_add_co_u32 v35, s2, v5, s6
	v_add_co_ci_u32_e64 v36, s2, s7, v6, s2
	global_store_b8 v[35:36], v37, off
	s_or_b32 exec_lo, exec_lo, s3
	s_and_saveexec_b32 s2, s1
	s_cbranch_execz .LBB85_18
.LBB85_22:                              ;   in Loop: Header=BB85_9 Depth=1
	s_waitcnt vmcnt(0)
	v_mul_lo_u16 v33, v33, s10
	v_bfe_i32 v36, v31, 8, 8
	s_delay_alu instid0(VALU_DEP_2) | instskip(NEXT) | instid1(VALU_DEP_2)
	v_bfe_i32 v33, v33, 0, 8
	v_cvt_f32_i32_e32 v38, v36
	s_delay_alu instid0(VALU_DEP_2) | instskip(SKIP_1) | instid1(VALU_DEP_2)
	v_cvt_f32_i32_e32 v35, v33
	v_xor_b32_e32 v33, v36, v33
	v_rcp_iflag_f32_e32 v37, v35
	s_delay_alu instid0(VALU_DEP_1) | instskip(NEXT) | instid1(VALU_DEP_1)
	v_ashrrev_i32_e32 v33, 30, v33
	v_or_b32_e32 v33, 1, v33
	s_waitcnt_depctr 0xfff
	v_mul_f32_e32 v37, v38, v37
	s_delay_alu instid0(VALU_DEP_1) | instskip(NEXT) | instid1(VALU_DEP_1)
	v_trunc_f32_e32 v36, v37
	v_fma_f32 v37, -v36, v35, v38
	v_cvt_i32_f32_e32 v36, v36
	s_delay_alu instid0(VALU_DEP_2) | instskip(NEXT) | instid1(VALU_DEP_1)
	v_cmp_ge_f32_e64 s1, |v37|, |v35|
	v_cndmask_b32_e64 v33, 0, v33, s1
	v_add_co_u32 v35, s1, v27, s6
	s_delay_alu instid0(VALU_DEP_2)
	v_add_nc_u32_e32 v33, v36, v33
	v_add_co_ci_u32_e64 v36, s1, s7, v28, s1
	global_store_b8 v[35:36], v33, off
	s_or_b32 exec_lo, exec_lo, s2
	s_and_saveexec_b32 s1, s0
	s_cbranch_execz .LBB85_19
.LBB85_23:                              ;   in Loop: Header=BB85_9 Depth=1
	s_waitcnt vmcnt(0)
	v_mul_lo_u16 v33, v34, s10
	v_bfe_i32 v35, v31, 16, 8
	s_delay_alu instid0(VALU_DEP_2) | instskip(NEXT) | instid1(VALU_DEP_2)
	v_bfe_i32 v33, v33, 0, 8
	v_cvt_f32_i32_e32 v37, v35
	s_delay_alu instid0(VALU_DEP_2) | instskip(SKIP_1) | instid1(VALU_DEP_2)
	v_cvt_f32_i32_e32 v34, v33
	v_xor_b32_e32 v33, v35, v33
	v_rcp_iflag_f32_e32 v36, v34
	s_delay_alu instid0(VALU_DEP_1) | instskip(NEXT) | instid1(VALU_DEP_1)
	v_ashrrev_i32_e32 v33, 30, v33
	v_or_b32_e32 v33, 1, v33
	s_waitcnt_depctr 0xfff
	v_mul_f32_e32 v36, v37, v36
	s_delay_alu instid0(VALU_DEP_1) | instskip(NEXT) | instid1(VALU_DEP_1)
	v_trunc_f32_e32 v35, v36
	v_fma_f32 v36, -v35, v34, v37
	v_cvt_i32_f32_e32 v35, v35
	s_delay_alu instid0(VALU_DEP_2) | instskip(NEXT) | instid1(VALU_DEP_1)
	v_cmp_ge_f32_e64 s0, |v36|, |v34|
	v_cndmask_b32_e64 v33, 0, v33, s0
	s_delay_alu instid0(VALU_DEP_1) | instskip(SKIP_1) | instid1(VALU_DEP_1)
	v_add_nc_u32_e32 v35, v35, v33
	v_add_co_u32 v33, s0, v19, s6
	v_add_co_ci_u32_e64 v34, s0, s7, v20, s0
	global_store_b8 v[33:34], v35, off
	s_or_b32 exec_lo, exec_lo, s1
	s_and_saveexec_b32 s0, vcc_lo
	s_cbranch_execz .LBB85_8
.LBB85_24:                              ;   in Loop: Header=BB85_9 Depth=1
	s_waitcnt vmcnt(0)
	v_mul_lo_u16 v32, v32, s10
	v_ashrrev_i32_e32 v31, 24, v31
	s_delay_alu instid0(VALU_DEP_2) | instskip(NEXT) | instid1(VALU_DEP_2)
	v_bfe_i32 v32, v32, 0, 8
	v_cvt_f32_i32_e32 v35, v31
	s_delay_alu instid0(VALU_DEP_2) | instskip(SKIP_1) | instid1(VALU_DEP_2)
	v_cvt_f32_i32_e32 v33, v32
	v_xor_b32_e32 v31, v31, v32
	v_rcp_iflag_f32_e32 v34, v33
	s_delay_alu instid0(VALU_DEP_1) | instskip(NEXT) | instid1(VALU_DEP_1)
	v_ashrrev_i32_e32 v31, 30, v31
	v_or_b32_e32 v31, 1, v31
	s_waitcnt_depctr 0xfff
	v_mul_f32_e32 v34, v35, v34
	s_delay_alu instid0(VALU_DEP_1) | instskip(NEXT) | instid1(VALU_DEP_1)
	v_trunc_f32_e32 v32, v34
	v_fma_f32 v34, -v32, v33, v35
	v_cvt_i32_f32_e32 v32, v32
	s_delay_alu instid0(VALU_DEP_2) | instskip(SKIP_1) | instid1(VALU_DEP_1)
	v_cmp_ge_f32_e64 vcc_lo, |v34|, |v33|
	v_cndmask_b32_e32 v31, 0, v31, vcc_lo
	v_add_nc_u32_e32 v33, v32, v31
	v_add_co_u32 v31, vcc_lo, v11, s6
	v_add_co_ci_u32_e32 v32, vcc_lo, s7, v12, vcc_lo
	global_store_b8 v[31:32], v33, off
	s_branch .LBB85_8
.LBB85_25:
	s_nop 0
	s_sendmsg sendmsg(MSG_DEALLOC_VGPRS)
	s_endpgm
	.section	.rodata,"a",@progbits
	.p2align	6, 0x0
	.amdhsa_kernel _ZN2at6native12_GLOBAL__N_125multi_tensor_apply_kernelINS1_18TensorListMetadataILi3EEENS1_24BinaryOpListAlphaFunctorIaLi3ELi2ELi2EEEJSt7dividesIaEaEEEvT_T0_DpT1_
		.amdhsa_group_segment_fixed_size 0
		.amdhsa_private_segment_fixed_size 0
		.amdhsa_kernarg_size 3408
		.amdhsa_user_sgpr_count 15
		.amdhsa_user_sgpr_dispatch_ptr 0
		.amdhsa_user_sgpr_queue_ptr 0
		.amdhsa_user_sgpr_kernarg_segment_ptr 1
		.amdhsa_user_sgpr_dispatch_id 0
		.amdhsa_user_sgpr_private_segment_size 0
		.amdhsa_wavefront_size32 1
		.amdhsa_uses_dynamic_stack 0
		.amdhsa_enable_private_segment 0
		.amdhsa_system_sgpr_workgroup_id_x 1
		.amdhsa_system_sgpr_workgroup_id_y 0
		.amdhsa_system_sgpr_workgroup_id_z 0
		.amdhsa_system_sgpr_workgroup_info 0
		.amdhsa_system_vgpr_workitem_id 0
		.amdhsa_next_free_vgpr 40
		.amdhsa_next_free_sgpr 24
		.amdhsa_reserve_vcc 1
		.amdhsa_float_round_mode_32 0
		.amdhsa_float_round_mode_16_64 0
		.amdhsa_float_denorm_mode_32 3
		.amdhsa_float_denorm_mode_16_64 3
		.amdhsa_dx10_clamp 1
		.amdhsa_ieee_mode 1
		.amdhsa_fp16_overflow 0
		.amdhsa_workgroup_processor_mode 1
		.amdhsa_memory_ordered 1
		.amdhsa_forward_progress 0
		.amdhsa_shared_vgpr_count 0
		.amdhsa_exception_fp_ieee_invalid_op 0
		.amdhsa_exception_fp_denorm_src 0
		.amdhsa_exception_fp_ieee_div_zero 0
		.amdhsa_exception_fp_ieee_overflow 0
		.amdhsa_exception_fp_ieee_underflow 0
		.amdhsa_exception_fp_ieee_inexact 0
		.amdhsa_exception_int_div_zero 0
	.end_amdhsa_kernel
	.section	.text._ZN2at6native12_GLOBAL__N_125multi_tensor_apply_kernelINS1_18TensorListMetadataILi3EEENS1_24BinaryOpListAlphaFunctorIaLi3ELi2ELi2EEEJSt7dividesIaEaEEEvT_T0_DpT1_,"axG",@progbits,_ZN2at6native12_GLOBAL__N_125multi_tensor_apply_kernelINS1_18TensorListMetadataILi3EEENS1_24BinaryOpListAlphaFunctorIaLi3ELi2ELi2EEEJSt7dividesIaEaEEEvT_T0_DpT1_,comdat
.Lfunc_end85:
	.size	_ZN2at6native12_GLOBAL__N_125multi_tensor_apply_kernelINS1_18TensorListMetadataILi3EEENS1_24BinaryOpListAlphaFunctorIaLi3ELi2ELi2EEEJSt7dividesIaEaEEEvT_T0_DpT1_, .Lfunc_end85-_ZN2at6native12_GLOBAL__N_125multi_tensor_apply_kernelINS1_18TensorListMetadataILi3EEENS1_24BinaryOpListAlphaFunctorIaLi3ELi2ELi2EEEJSt7dividesIaEaEEEvT_T0_DpT1_
                                        ; -- End function
	.section	.AMDGPU.csdata,"",@progbits
; Kernel info:
; codeLenInByte = 2324
; NumSgprs: 26
; NumVgprs: 40
; ScratchSize: 0
; MemoryBound: 0
; FloatMode: 240
; IeeeMode: 1
; LDSByteSize: 0 bytes/workgroup (compile time only)
; SGPRBlocks: 3
; VGPRBlocks: 4
; NumSGPRsForWavesPerEU: 26
; NumVGPRsForWavesPerEU: 40
; Occupancy: 16
; WaveLimiterHint : 0
; COMPUTE_PGM_RSRC2:SCRATCH_EN: 0
; COMPUTE_PGM_RSRC2:USER_SGPR: 15
; COMPUTE_PGM_RSRC2:TRAP_HANDLER: 0
; COMPUTE_PGM_RSRC2:TGID_X_EN: 1
; COMPUTE_PGM_RSRC2:TGID_Y_EN: 0
; COMPUTE_PGM_RSRC2:TGID_Z_EN: 0
; COMPUTE_PGM_RSRC2:TIDIG_COMP_CNT: 0
	.section	.text._ZN2at6native12_GLOBAL__N_125multi_tensor_apply_kernelINS1_18TensorListMetadataILi3EEENS1_24BinaryOpListAlphaFunctorIiLi3ELi2ELi2EEEJSt7dividesIiEiEEEvT_T0_DpT1_,"axG",@progbits,_ZN2at6native12_GLOBAL__N_125multi_tensor_apply_kernelINS1_18TensorListMetadataILi3EEENS1_24BinaryOpListAlphaFunctorIiLi3ELi2ELi2EEEJSt7dividesIiEiEEEvT_T0_DpT1_,comdat
	.globl	_ZN2at6native12_GLOBAL__N_125multi_tensor_apply_kernelINS1_18TensorListMetadataILi3EEENS1_24BinaryOpListAlphaFunctorIiLi3ELi2ELi2EEEJSt7dividesIiEiEEEvT_T0_DpT1_ ; -- Begin function _ZN2at6native12_GLOBAL__N_125multi_tensor_apply_kernelINS1_18TensorListMetadataILi3EEENS1_24BinaryOpListAlphaFunctorIiLi3ELi2ELi2EEEJSt7dividesIiEiEEEvT_T0_DpT1_
	.p2align	8
	.type	_ZN2at6native12_GLOBAL__N_125multi_tensor_apply_kernelINS1_18TensorListMetadataILi3EEENS1_24BinaryOpListAlphaFunctorIiLi3ELi2ELi2EEEJSt7dividesIiEiEEEvT_T0_DpT1_,@function
_ZN2at6native12_GLOBAL__N_125multi_tensor_apply_kernelINS1_18TensorListMetadataILi3EEENS1_24BinaryOpListAlphaFunctorIiLi3ELi2ELi2EEEJSt7dividesIiEiEEEvT_T0_DpT1_: ; @_ZN2at6native12_GLOBAL__N_125multi_tensor_apply_kernelINS1_18TensorListMetadataILi3EEENS1_24BinaryOpListAlphaFunctorIiLi3ELi2ELi2EEEJSt7dividesIiEiEEEvT_T0_DpT1_
; %bb.0:
	v_mov_b32_e32 v1, s15
	s_add_u32 s2, s0, s15
	s_mul_hi_u32 s3, s15, 3
	s_mul_i32 s15, s15, 3
	s_addc_u32 s4, s1, 0
	global_load_u8 v1, v1, s[0:1] offset:1536
	s_load_b32 s16, s[0:1], 0xc4c
	s_add_u32 s2, s2, s15
	s_addc_u32 s3, s4, s3
	s_mov_b32 s25, 0
	s_load_b32 s2, s[2:3], 0x740
	s_mov_b32 s27, s25
	s_waitcnt vmcnt(0)
	v_readfirstlane_b32 s3, v1
	s_delay_alu instid0(VALU_DEP_1)
	s_lshl_b32 s3, s3, 3
	s_clause 0x3
	s_load_b64 s[10:11], s[0:1], s3 offset:0x0
	s_load_b64 s[12:13], s[0:1], s3 offset:0x180
	;; [unrolled: 1-line block ×4, first 2 shown]
	s_waitcnt lgkmcnt(0)
	s_ashr_i32 s3, s2, 31
	s_delay_alu instid0(SALU_CYCLE_1) | instskip(NEXT) | instid1(SALU_CYCLE_1)
	s_lshl_b64 s[6:7], s[2:3], 18
	s_add_u32 s5, s10, s6
	s_addc_u32 s17, s11, s7
	s_and_b32 s24, s5, 15
	s_add_u32 s18, s12, s6
	s_addc_u32 s19, s13, s7
	s_add_u32 s20, s14, s6
	s_addc_u32 s21, s15, s7
	s_or_b32 s4, s20, s18
	s_delay_alu instid0(SALU_CYCLE_1) | instskip(NEXT) | instid1(SALU_CYCLE_1)
	s_and_b32 s4, s4, 15
	s_cmp_lg_u32 s4, 0
	s_cselect_b32 s4, -1, 0
	s_lshl_b64 s[2:3], s[2:3], 16
	s_delay_alu instid0(SALU_CYCLE_1) | instskip(SKIP_2) | instid1(SALU_CYCLE_1)
	s_sub_u32 s8, s22, s2
	s_subb_u32 s9, s23, s3
	s_and_b32 s26, s22, 3
	s_or_b64 s[2:3], s[24:25], s[26:27]
	s_delay_alu instid0(SALU_CYCLE_1) | instskip(SKIP_1) | instid1(SALU_CYCLE_1)
	s_cmp_lg_u64 s[2:3], 0
	s_cselect_b32 s2, -1, 0
	s_or_b32 s2, s4, s2
	s_delay_alu instid0(SALU_CYCLE_1)
	s_and_not1_b32 vcc_lo, exec_lo, s2
	s_mov_b32 s2, -1
	s_cbranch_vccz .LBB86_5
; %bb.1:
	v_dual_mov_b32 v2, 0 :: v_dual_lshlrev_b32 v1, 2, v0
	s_mov_b32 s22, exec_lo
	s_delay_alu instid0(VALU_DEP_1)
	v_cmpx_gt_i64_e64 s[8:9], v[1:2]
	s_cbranch_execz .LBB86_4
; %bb.2:
	s_load_b32 s2, s[0:1], 0xc5c
	v_lshlrev_b32_e32 v3, 4, v0
	s_mov_b32 s23, 0
	s_waitcnt lgkmcnt(0)
	s_and_b32 s2, s2, 0xffff
	s_delay_alu instid0(SALU_CYCLE_1)
	v_add_lshl_u32 v1, v0, s2, 2
	s_lshl_b32 s24, s2, 2
	s_lshl_b32 s25, s2, 4
.LBB86_3:                               ; =>This Inner Loop Header: Depth=1
	v_add_co_u32 v4, s2, s18, v3
	s_delay_alu instid0(VALU_DEP_1) | instskip(SKIP_1) | instid1(VALU_DEP_1)
	v_add_co_ci_u32_e64 v5, null, s19, 0, s2
	v_add_co_u32 v8, s2, s5, v3
	v_add_co_ci_u32_e64 v9, null, s17, 0, s2
	global_load_b128 v[4:7], v[4:5], off
	global_load_b128 v[8:11], v[8:9], off
	v_cmp_le_i64_e32 vcc_lo, s[8:9], v[1:2]
	v_cmp_lt_u64_e64 s2, 0xffff, v[1:2]
	v_add_co_u32 v12, s3, s20, v3
	s_delay_alu instid0(VALU_DEP_1) | instskip(SKIP_1) | instid1(VALU_DEP_4)
	v_add_co_ci_u32_e64 v13, null, s21, 0, s3
	v_add_co_u32 v1, s3, v1, s24
	s_or_b32 s26, vcc_lo, s2
	v_add_co_ci_u32_e64 v2, s3, 0, v2, s3
	s_add_u32 s5, s5, s25
	s_addc_u32 s17, s17, 0
	s_add_u32 s20, s20, s25
	s_addc_u32 s21, s21, 0
	;; [unrolled: 2-line block ×3, first 2 shown]
	s_waitcnt vmcnt(1)
	v_mul_lo_u32 v7, v7, s16
	s_waitcnt vmcnt(0)
	v_sub_nc_u32_e32 v17, 0, v11
	v_mul_lo_u32 v5, v5, s16
	v_mul_lo_u32 v6, v6, s16
	v_sub_nc_u32_e32 v15, 0, v9
	v_sub_nc_u32_e32 v16, 0, v10
	v_max_i32_e32 v17, v11, v17
	v_mul_lo_u32 v4, v4, s16
	v_sub_nc_u32_e32 v21, 0, v7
	v_xor_b32_e32 v11, v11, v7
	v_sub_nc_u32_e32 v19, 0, v5
	v_max_i32_e32 v15, v9, v15
	v_xor_b32_e32 v9, v9, v5
	v_max_i32_e32 v7, v7, v21
	v_sub_nc_u32_e32 v20, 0, v6
	v_max_i32_e32 v5, v5, v19
	v_max_i32_e32 v16, v10, v16
	v_xor_b32_e32 v10, v10, v6
	v_cvt_f32_u32_e32 v24, v7
	v_max_i32_e32 v6, v6, v20
	v_cvt_f32_u32_e32 v20, v5
	v_sub_nc_u32_e32 v25, 0, v7
	v_sub_nc_u32_e32 v14, 0, v8
	v_rcp_iflag_f32_e32 v24, v24
	v_sub_nc_u32_e32 v18, 0, v4
	v_rcp_iflag_f32_e32 v20, v20
	v_sub_nc_u32_e32 v21, 0, v5
	v_max_i32_e32 v14, v8, v14
	v_xor_b32_e32 v8, v8, v4
	v_max_i32_e32 v4, v4, v18
	v_cvt_f32_u32_e32 v22, v6
	v_sub_nc_u32_e32 v23, 0, v6
	v_ashrrev_i32_e32 v9, 31, v9
	v_mul_f32_e32 v24, 0x4f7ffffe, v24
	v_cvt_f32_u32_e32 v18, v4
	v_sub_nc_u32_e32 v19, 0, v4
	v_rcp_iflag_f32_e32 v22, v22
	v_ashrrev_i32_e32 v8, 31, v8
	v_cvt_u32_f32_e32 v24, v24
	v_rcp_iflag_f32_e32 v18, v18
	v_ashrrev_i32_e32 v10, 31, v10
	v_ashrrev_i32_e32 v11, 31, v11
	s_delay_alu instid0(VALU_DEP_3) | instskip(NEXT) | instid1(VALU_DEP_1)
	v_mul_lo_u32 v25, v25, v24
	v_mul_hi_u32 v25, v24, v25
	v_mul_f32_e32 v20, 0x4f7ffffe, v20
	s_delay_alu instid0(VALU_DEP_1) | instskip(NEXT) | instid1(VALU_DEP_1)
	v_cvt_u32_f32_e32 v20, v20
	v_mul_lo_u32 v21, v21, v20
	s_delay_alu instid0(VALU_DEP_1) | instskip(NEXT) | instid1(TRANS32_DEP_1)
	v_mul_hi_u32 v21, v20, v21
	v_mul_f32_e32 v18, 0x4f7ffffe, v18
	s_delay_alu instid0(VALU_DEP_1) | instskip(NEXT) | instid1(VALU_DEP_1)
	v_cvt_u32_f32_e32 v18, v18
	v_mul_lo_u32 v19, v19, v18
	s_delay_alu instid0(VALU_DEP_1) | instskip(NEXT) | instid1(VALU_DEP_1)
	v_mul_hi_u32 v19, v18, v19
	v_add_nc_u32_e32 v18, v18, v19
	v_add_nc_u32_e32 v19, v20, v21
	;; [unrolled: 1-line block ×3, first 2 shown]
	s_delay_alu instid0(VALU_DEP_3) | instskip(NEXT) | instid1(VALU_DEP_3)
	v_mul_hi_u32 v18, v14, v18
	v_mul_hi_u32 v19, v15, v19
	v_mul_f32_e32 v22, 0x4f7ffffe, v22
	s_delay_alu instid0(VALU_DEP_4) | instskip(NEXT) | instid1(VALU_DEP_3)
	v_mul_hi_u32 v21, v17, v21
	v_add_nc_u32_e32 v27, 1, v19
	s_delay_alu instid0(VALU_DEP_3) | instskip(SKIP_1) | instid1(VALU_DEP_4)
	v_cvt_u32_f32_e32 v22, v22
	v_mul_lo_u32 v24, v19, v5
	v_mul_lo_u32 v26, v21, v7
	s_delay_alu instid0(VALU_DEP_3) | instskip(NEXT) | instid1(VALU_DEP_3)
	v_mul_lo_u32 v23, v23, v22
	v_sub_nc_u32_e32 v15, v15, v24
	s_delay_alu instid0(VALU_DEP_3) | instskip(NEXT) | instid1(VALU_DEP_3)
	v_sub_nc_u32_e32 v17, v17, v26
	v_mul_hi_u32 v23, v22, v23
	s_delay_alu instid0(VALU_DEP_3) | instskip(NEXT) | instid1(VALU_DEP_3)
	v_cmp_ge_u32_e64 s2, v15, v5
	v_cmp_ge_u32_e64 s4, v17, v7
	s_delay_alu instid0(VALU_DEP_2) | instskip(NEXT) | instid1(VALU_DEP_4)
	v_cndmask_b32_e64 v19, v19, v27, s2
	v_add_nc_u32_e32 v20, v22, v23
	v_mul_lo_u32 v22, v18, v4
	v_add_nc_u32_e32 v23, 1, v18
	s_delay_alu instid0(VALU_DEP_3) | instskip(NEXT) | instid1(VALU_DEP_3)
	v_mul_hi_u32 v20, v16, v20
	v_sub_nc_u32_e32 v14, v14, v22
	s_delay_alu instid0(VALU_DEP_2) | instskip(NEXT) | instid1(VALU_DEP_2)
	v_mul_lo_u32 v25, v20, v6
	v_cmp_ge_u32_e32 vcc_lo, v14, v4
	v_sub_nc_u32_e32 v22, v14, v4
	v_dual_cndmask_b32 v18, v18, v23 :: v_dual_add_nc_u32 v29, 1, v21
	v_sub_nc_u32_e32 v23, v15, v5
	s_delay_alu instid0(VALU_DEP_3) | instskip(SKIP_1) | instid1(VALU_DEP_4)
	v_cndmask_b32_e32 v14, v14, v22, vcc_lo
	v_sub_nc_u32_e32 v16, v16, v25
	v_cndmask_b32_e64 v21, v21, v29, s4
	v_sub_nc_u32_e32 v25, v17, v7
	v_add_nc_u32_e32 v22, 1, v18
	v_cndmask_b32_e64 v15, v15, v23, s2
	v_add_nc_u32_e32 v23, 1, v19
	v_cmp_ge_u32_e32 vcc_lo, v14, v4
	v_cmp_ge_u32_e64 s3, v16, v6
	v_sub_nc_u32_e32 v24, v16, v6
	v_cndmask_b32_e64 v17, v17, v25, s4
	v_dual_cndmask_b32 v4, v18, v22 :: v_dual_add_nc_u32 v25, 1, v21
	v_cmp_ge_u32_e32 vcc_lo, v15, v5
	v_add_nc_u32_e32 v28, 1, v20
	v_cndmask_b32_e64 v16, v16, v24, s3
	s_and_b32 s2, exec_lo, s26
	v_xor_b32_e32 v4, v4, v8
	v_cndmask_b32_e32 v5, v19, v23, vcc_lo
	v_cndmask_b32_e64 v20, v20, v28, s3
	v_cmp_ge_u32_e32 vcc_lo, v16, v6
	s_or_b32 s23, s2, s23
	v_sub_nc_u32_e32 v4, v4, v8
	v_xor_b32_e32 v5, v5, v9
	v_add_nc_u32_e32 v24, 1, v20
	s_delay_alu instid0(VALU_DEP_2) | instskip(NEXT) | instid1(VALU_DEP_2)
	v_sub_nc_u32_e32 v5, v5, v9
	v_cndmask_b32_e32 v6, v20, v24, vcc_lo
	v_cmp_ge_u32_e32 vcc_lo, v17, v7
	s_delay_alu instid0(VALU_DEP_2) | instskip(SKIP_1) | instid1(VALU_DEP_2)
	v_xor_b32_e32 v6, v6, v10
	v_cndmask_b32_e32 v7, v21, v25, vcc_lo
	v_sub_nc_u32_e32 v6, v6, v10
	s_delay_alu instid0(VALU_DEP_2) | instskip(NEXT) | instid1(VALU_DEP_1)
	v_xor_b32_e32 v7, v7, v11
	v_sub_nc_u32_e32 v7, v7, v11
	global_store_b128 v[12:13], v[4:7], off
	s_and_not1_b32 exec_lo, exec_lo, s23
	s_cbranch_execnz .LBB86_3
.LBB86_4:
	s_or_b32 exec_lo, exec_lo, s22
	s_mov_b32 s2, 0
.LBB86_5:
	s_delay_alu instid0(SALU_CYCLE_1)
	s_and_not1_b32 vcc_lo, exec_lo, s2
	s_cbranch_vccnz .LBB86_25
; %bb.6:
	v_cmp_lt_i64_e64 s2, s[8:9], 1
	s_delay_alu instid0(VALU_DEP_1)
	s_and_b32 vcc_lo, exec_lo, s2
	s_cbranch_vccnz .LBB86_25
; %bb.7:
	s_load_b32 s0, s[0:1], 0xc5c
	v_dual_mov_b32 v14, 0 :: v_dual_lshlrev_b32 v13, 2, v0
	v_cmp_gt_u64_e64 s1, 0x10000, s[8:9]
	s_delay_alu instid0(VALU_DEP_2) | instskip(NEXT) | instid1(VALU_DEP_1)
	v_add_co_u32 v1, s2, s10, v13
	v_add_co_ci_u32_e64 v2, null, s11, 0, s2
	v_add_co_u32 v3, s2, s12, v13
	s_delay_alu instid0(VALU_DEP_1) | instskip(SKIP_1) | instid1(VALU_DEP_1)
	v_add_co_ci_u32_e64 v4, null, s13, 0, s2
	v_add_co_u32 v5, s2, s14, v13
	v_add_co_ci_u32_e64 v6, null, s15, 0, s2
	s_waitcnt lgkmcnt(0)
	s_and_b32 s0, s0, 0xffff
	s_and_b32 s1, s1, exec_lo
	v_mad_u64_u32 v[11:12], null, s0, 12, v[13:14]
	s_cselect_b32 s5, s9, 0
	s_cselect_b32 s4, s8, 0x10000
	s_mul_i32 s2, s0, 3
	s_lshl_b32 s3, s0, 3
	s_lshl_b32 s1, s0, 1
	v_add_co_u32 v20, s3, s3, v13
	v_add_co_u32 v13, s2, s2, v0
	v_add_co_u32 v7, vcc_lo, s10, v11
	v_add_co_ci_u32_e64 v14, null, 0, 0, s2
	v_add_co_u32 v19, s2, v0, s0
	v_add_co_ci_u32_e32 v8, vcc_lo, s11, v12, vcc_lo
	v_add_co_u32 v9, vcc_lo, s12, v11
	v_add_co_ci_u32_e32 v10, vcc_lo, s13, v12, vcc_lo
	v_add_co_u32 v11, vcc_lo, s14, v11
	v_add_co_ci_u32_e64 v21, null, 0, 0, s3
	v_lshlrev_b32_e32 v29, 2, v19
	v_add_co_ci_u32_e32 v12, vcc_lo, s15, v12, vcc_lo
	v_add_co_u32 v15, vcc_lo, s10, v20
	v_add_co_u32 v23, s1, s1, v0
	v_add_co_ci_u32_e32 v16, vcc_lo, s11, v21, vcc_lo
	v_add_co_ci_u32_e64 v24, null, 0, 0, s1
	v_add_co_u32 v25, s1, s10, v29
	v_add_co_u32 v17, vcc_lo, s12, v20
	v_add_co_ci_u32_e64 v26, null, s11, 0, s1
	v_add_co_u32 v27, s1, s12, v29
	v_add_co_ci_u32_e32 v18, vcc_lo, s13, v21, vcc_lo
	v_add_co_u32 v20, vcc_lo, s14, v20
	v_add_co_ci_u32_e64 v28, null, s13, 0, s1
	v_add_co_u32 v29, s1, s14, v29
	v_add_co_ci_u32_e32 v21, vcc_lo, s15, v21, vcc_lo
	v_add_co_ci_u32_e64 v22, null, 0, 0, s2
	v_add_co_ci_u32_e64 v30, null, s15, 0, s1
	s_lshl_b32 s12, s0, 2
	s_lshl_b32 s13, s0, 4
	s_mov_b64 s[10:11], 0
	s_branch .LBB86_9
.LBB86_8:                               ;   in Loop: Header=BB86_9 Depth=1
	s_or_b32 exec_lo, exec_lo, s0
	v_add_co_u32 v1, vcc_lo, v1, s13
	v_add_co_ci_u32_e32 v2, vcc_lo, 0, v2, vcc_lo
	v_add_co_u32 v3, vcc_lo, v3, s13
	v_add_co_ci_u32_e32 v4, vcc_lo, 0, v4, vcc_lo
	;; [unrolled: 2-line block ×9, first 2 shown]
	s_add_u32 s10, s10, s12
	v_add_co_u32 v25, vcc_lo, v25, s13
	s_addc_u32 s11, s11, 0
	v_add_co_ci_u32_e32 v26, vcc_lo, 0, v26, vcc_lo
	v_cmp_ge_i64_e64 s0, s[10:11], s[8:9]
	v_cmp_lt_u64_e64 s1, 0xffff, s[10:11]
	v_add_co_u32 v27, vcc_lo, v27, s13
	v_add_co_ci_u32_e32 v28, vcc_lo, 0, v28, vcc_lo
	v_add_co_u32 v29, vcc_lo, v29, s13
	v_add_co_ci_u32_e32 v30, vcc_lo, 0, v30, vcc_lo
	s_or_b32 s0, s0, s1
	s_delay_alu instid0(SALU_CYCLE_1)
	s_and_b32 vcc_lo, exec_lo, s0
	s_cbranch_vccnz .LBB86_25
.LBB86_9:                               ; =>This Inner Loop Header: Depth=1
	s_waitcnt vmcnt(1)
	v_add_co_u32 v31, s0, v0, s10
	s_delay_alu instid0(VALU_DEP_1) | instskip(SKIP_3) | instid1(VALU_DEP_3)
	v_add_co_ci_u32_e64 v32, null, 0, s11, s0
	v_mov_b32_e32 v36, 0
	s_waitcnt vmcnt(0)
	v_mov_b32_e32 v38, 0
	v_cmp_gt_u64_e64 s2, s[4:5], v[31:32]
	s_delay_alu instid0(VALU_DEP_1)
	s_and_saveexec_b32 s0, s2
	s_cbranch_execz .LBB86_11
; %bb.10:                               ;   in Loop: Header=BB86_9 Depth=1
	v_add_co_u32 v31, vcc_lo, v1, s6
	v_add_co_ci_u32_e32 v32, vcc_lo, s7, v2, vcc_lo
	v_add_co_u32 v33, vcc_lo, v3, s6
	v_add_co_ci_u32_e32 v34, vcc_lo, s7, v4, vcc_lo
	global_load_b32 v36, v[31:32], off
	global_load_b32 v38, v[33:34], off
.LBB86_11:                              ;   in Loop: Header=BB86_9 Depth=1
	s_or_b32 exec_lo, exec_lo, s0
	v_add_co_u32 v32, vcc_lo, v19, s10
	v_add_co_ci_u32_e32 v33, vcc_lo, s11, v22, vcc_lo
	v_dual_mov_b32 v31, 0 :: v_dual_mov_b32 v34, 0
	v_mov_b32_e32 v37, 0
	s_delay_alu instid0(VALU_DEP_3) | instskip(NEXT) | instid1(VALU_DEP_1)
	v_cmp_gt_u64_e64 s1, s[4:5], v[32:33]
	s_and_saveexec_b32 s0, s1
	s_cbranch_execz .LBB86_13
; %bb.12:                               ;   in Loop: Header=BB86_9 Depth=1
	v_add_co_u32 v32, vcc_lo, v25, s6
	v_add_co_ci_u32_e32 v33, vcc_lo, s7, v26, vcc_lo
	v_add_co_u32 v39, vcc_lo, v27, s6
	v_add_co_ci_u32_e32 v40, vcc_lo, s7, v28, vcc_lo
	global_load_b32 v34, v[32:33], off
	global_load_b32 v37, v[39:40], off
.LBB86_13:                              ;   in Loop: Header=BB86_9 Depth=1
	s_or_b32 exec_lo, exec_lo, s0
	v_add_co_u32 v32, vcc_lo, v23, s10
	v_add_co_ci_u32_e32 v33, vcc_lo, s11, v24, vcc_lo
	v_mov_b32_e32 v35, 0
	s_delay_alu instid0(VALU_DEP_2) | instskip(NEXT) | instid1(VALU_DEP_1)
	v_cmp_gt_u64_e64 s0, s[4:5], v[32:33]
	s_and_saveexec_b32 s3, s0
	s_cbranch_execz .LBB86_15
; %bb.14:                               ;   in Loop: Header=BB86_9 Depth=1
	v_add_co_u32 v31, vcc_lo, v15, s6
	v_add_co_ci_u32_e32 v32, vcc_lo, s7, v16, vcc_lo
	v_add_co_u32 v39, vcc_lo, v17, s6
	v_add_co_ci_u32_e32 v40, vcc_lo, s7, v18, vcc_lo
	global_load_b32 v31, v[31:32], off
	global_load_b32 v35, v[39:40], off
.LBB86_15:                              ;   in Loop: Header=BB86_9 Depth=1
	s_or_b32 exec_lo, exec_lo, s3
	v_add_co_u32 v32, vcc_lo, v13, s10
	v_add_co_ci_u32_e32 v33, vcc_lo, s11, v14, vcc_lo
	s_delay_alu instid0(VALU_DEP_1)
	v_cmp_gt_u64_e32 vcc_lo, s[4:5], v[32:33]
	v_dual_mov_b32 v32, 0 :: v_dual_mov_b32 v33, 0
	s_and_saveexec_b32 s14, vcc_lo
	s_cbranch_execnz .LBB86_20
; %bb.16:                               ;   in Loop: Header=BB86_9 Depth=1
	s_or_b32 exec_lo, exec_lo, s14
	s_and_saveexec_b32 s3, s2
	s_cbranch_execnz .LBB86_21
.LBB86_17:                              ;   in Loop: Header=BB86_9 Depth=1
	s_or_b32 exec_lo, exec_lo, s3
	s_and_saveexec_b32 s2, s1
	s_cbranch_execnz .LBB86_22
.LBB86_18:                              ;   in Loop: Header=BB86_9 Depth=1
	s_or_b32 exec_lo, exec_lo, s2
	s_and_saveexec_b32 s1, s0
	s_cbranch_execnz .LBB86_23
.LBB86_19:                              ;   in Loop: Header=BB86_9 Depth=1
	s_or_b32 exec_lo, exec_lo, s1
	s_and_saveexec_b32 s0, vcc_lo
	s_cbranch_execz .LBB86_8
	s_branch .LBB86_24
.LBB86_20:                              ;   in Loop: Header=BB86_9 Depth=1
	v_add_co_u32 v32, s3, v7, s6
	s_delay_alu instid0(VALU_DEP_1) | instskip(SKIP_1) | instid1(VALU_DEP_1)
	v_add_co_ci_u32_e64 v33, s3, s7, v8, s3
	v_add_co_u32 v39, s3, v9, s6
	v_add_co_ci_u32_e64 v40, s3, s7, v10, s3
	global_load_b32 v32, v[32:33], off
	global_load_b32 v33, v[39:40], off
	s_or_b32 exec_lo, exec_lo, s14
	s_and_saveexec_b32 s3, s2
	s_cbranch_execz .LBB86_17
.LBB86_21:                              ;   in Loop: Header=BB86_9 Depth=1
	s_waitcnt vmcnt(0)
	v_mul_lo_u32 v38, v38, s16
	v_sub_nc_u32_e32 v42, 0, v36
	s_delay_alu instid0(VALU_DEP_1) | instskip(NEXT) | instid1(VALU_DEP_3)
	v_max_i32_e32 v42, v36, v42
	v_sub_nc_u32_e32 v39, 0, v38
	v_xor_b32_e32 v36, v36, v38
	s_delay_alu instid0(VALU_DEP_2) | instskip(NEXT) | instid1(VALU_DEP_2)
	v_max_i32_e32 v39, v38, v39
	v_ashrrev_i32_e32 v36, 31, v36
	s_delay_alu instid0(VALU_DEP_2) | instskip(SKIP_1) | instid1(VALU_DEP_2)
	v_cvt_f32_u32_e32 v40, v39
	v_sub_nc_u32_e32 v41, 0, v39
	v_rcp_iflag_f32_e32 v40, v40
	s_waitcnt_depctr 0xfff
	v_mul_f32_e32 v40, 0x4f7ffffe, v40
	s_delay_alu instid0(VALU_DEP_1) | instskip(NEXT) | instid1(VALU_DEP_1)
	v_cvt_u32_f32_e32 v40, v40
	v_mul_lo_u32 v41, v41, v40
	s_delay_alu instid0(VALU_DEP_1) | instskip(NEXT) | instid1(VALU_DEP_1)
	v_mul_hi_u32 v41, v40, v41
	v_add_nc_u32_e32 v40, v40, v41
	s_delay_alu instid0(VALU_DEP_1) | instskip(NEXT) | instid1(VALU_DEP_1)
	v_mul_hi_u32 v40, v42, v40
	v_mul_lo_u32 v41, v40, v39
	s_delay_alu instid0(VALU_DEP_1) | instskip(SKIP_1) | instid1(VALU_DEP_2)
	v_sub_nc_u32_e32 v41, v42, v41
	v_add_nc_u32_e32 v42, 1, v40
	v_sub_nc_u32_e32 v43, v41, v39
	v_cmp_ge_u32_e64 s2, v41, v39
	s_delay_alu instid0(VALU_DEP_1) | instskip(NEXT) | instid1(VALU_DEP_3)
	v_cndmask_b32_e64 v40, v40, v42, s2
	v_cndmask_b32_e64 v38, v41, v43, s2
	s_delay_alu instid0(VALU_DEP_2) | instskip(NEXT) | instid1(VALU_DEP_2)
	v_add_nc_u32_e32 v41, 1, v40
	v_cmp_ge_u32_e64 s2, v38, v39
	s_delay_alu instid0(VALU_DEP_1) | instskip(NEXT) | instid1(VALU_DEP_1)
	v_cndmask_b32_e64 v38, v40, v41, s2
	v_xor_b32_e32 v40, v38, v36
	v_add_co_u32 v38, s2, v5, s6
	s_delay_alu instid0(VALU_DEP_1) | instskip(NEXT) | instid1(VALU_DEP_3)
	v_add_co_ci_u32_e64 v39, s2, s7, v6, s2
	v_sub_nc_u32_e32 v36, v40, v36
	global_store_b32 v[38:39], v36, off
	s_or_b32 exec_lo, exec_lo, s3
	s_and_saveexec_b32 s2, s1
	s_cbranch_execz .LBB86_18
.LBB86_22:                              ;   in Loop: Header=BB86_9 Depth=1
	s_waitcnt vmcnt(0)
	v_mul_lo_u32 v36, v37, s16
	v_sub_nc_u32_e32 v40, 0, v34
	s_delay_alu instid0(VALU_DEP_1) | instskip(NEXT) | instid1(VALU_DEP_3)
	v_max_i32_e32 v40, v34, v40
	v_sub_nc_u32_e32 v37, 0, v36
	v_xor_b32_e32 v34, v34, v36
	s_delay_alu instid0(VALU_DEP_2) | instskip(NEXT) | instid1(VALU_DEP_2)
	v_max_i32_e32 v37, v36, v37
	v_ashrrev_i32_e32 v34, 31, v34
	s_delay_alu instid0(VALU_DEP_2) | instskip(SKIP_1) | instid1(VALU_DEP_2)
	v_cvt_f32_u32_e32 v38, v37
	v_sub_nc_u32_e32 v39, 0, v37
	v_rcp_iflag_f32_e32 v38, v38
	s_waitcnt_depctr 0xfff
	v_mul_f32_e32 v38, 0x4f7ffffe, v38
	s_delay_alu instid0(VALU_DEP_1) | instskip(NEXT) | instid1(VALU_DEP_1)
	v_cvt_u32_f32_e32 v38, v38
	v_mul_lo_u32 v39, v39, v38
	s_delay_alu instid0(VALU_DEP_1) | instskip(NEXT) | instid1(VALU_DEP_1)
	v_mul_hi_u32 v39, v38, v39
	v_add_nc_u32_e32 v38, v38, v39
	s_delay_alu instid0(VALU_DEP_1) | instskip(NEXT) | instid1(VALU_DEP_1)
	v_mul_hi_u32 v38, v40, v38
	v_mul_lo_u32 v39, v38, v37
	s_delay_alu instid0(VALU_DEP_1) | instskip(SKIP_1) | instid1(VALU_DEP_2)
	v_sub_nc_u32_e32 v39, v40, v39
	v_add_nc_u32_e32 v40, 1, v38
	v_sub_nc_u32_e32 v41, v39, v37
	v_cmp_ge_u32_e64 s1, v39, v37
	s_delay_alu instid0(VALU_DEP_1) | instskip(NEXT) | instid1(VALU_DEP_3)
	v_cndmask_b32_e64 v38, v38, v40, s1
	v_cndmask_b32_e64 v36, v39, v41, s1
	s_delay_alu instid0(VALU_DEP_2) | instskip(NEXT) | instid1(VALU_DEP_2)
	v_add_nc_u32_e32 v39, 1, v38
	v_cmp_ge_u32_e64 s1, v36, v37
	s_delay_alu instid0(VALU_DEP_1) | instskip(NEXT) | instid1(VALU_DEP_1)
	v_cndmask_b32_e64 v36, v38, v39, s1
	v_xor_b32_e32 v36, v36, v34
	s_delay_alu instid0(VALU_DEP_1) | instskip(SKIP_1) | instid1(VALU_DEP_1)
	v_sub_nc_u32_e32 v34, v36, v34
	v_add_co_u32 v36, s1, v29, s6
	v_add_co_ci_u32_e64 v37, s1, s7, v30, s1
	global_store_b32 v[36:37], v34, off
	s_or_b32 exec_lo, exec_lo, s2
	s_and_saveexec_b32 s1, s0
	s_cbranch_execz .LBB86_19
.LBB86_23:                              ;   in Loop: Header=BB86_9 Depth=1
	s_waitcnt vmcnt(0)
	v_mul_lo_u32 v34, v35, s16
	v_sub_nc_u32_e32 v38, 0, v31
	s_delay_alu instid0(VALU_DEP_1) | instskip(NEXT) | instid1(VALU_DEP_3)
	v_max_i32_e32 v38, v31, v38
	v_sub_nc_u32_e32 v35, 0, v34
	v_xor_b32_e32 v31, v31, v34
	s_delay_alu instid0(VALU_DEP_2) | instskip(NEXT) | instid1(VALU_DEP_2)
	v_max_i32_e32 v35, v34, v35
	v_ashrrev_i32_e32 v31, 31, v31
	s_delay_alu instid0(VALU_DEP_2) | instskip(SKIP_1) | instid1(VALU_DEP_2)
	v_cvt_f32_u32_e32 v36, v35
	v_sub_nc_u32_e32 v37, 0, v35
	v_rcp_iflag_f32_e32 v36, v36
	s_waitcnt_depctr 0xfff
	v_mul_f32_e32 v36, 0x4f7ffffe, v36
	s_delay_alu instid0(VALU_DEP_1) | instskip(NEXT) | instid1(VALU_DEP_1)
	v_cvt_u32_f32_e32 v36, v36
	v_mul_lo_u32 v37, v37, v36
	s_delay_alu instid0(VALU_DEP_1) | instskip(NEXT) | instid1(VALU_DEP_1)
	v_mul_hi_u32 v37, v36, v37
	v_add_nc_u32_e32 v36, v36, v37
	s_delay_alu instid0(VALU_DEP_1) | instskip(NEXT) | instid1(VALU_DEP_1)
	v_mul_hi_u32 v36, v38, v36
	v_mul_lo_u32 v37, v36, v35
	s_delay_alu instid0(VALU_DEP_1) | instskip(SKIP_1) | instid1(VALU_DEP_2)
	v_sub_nc_u32_e32 v37, v38, v37
	v_add_nc_u32_e32 v38, 1, v36
	v_sub_nc_u32_e32 v39, v37, v35
	v_cmp_ge_u32_e64 s0, v37, v35
	s_delay_alu instid0(VALU_DEP_1) | instskip(NEXT) | instid1(VALU_DEP_3)
	v_cndmask_b32_e64 v36, v36, v38, s0
	v_cndmask_b32_e64 v34, v37, v39, s0
	s_delay_alu instid0(VALU_DEP_2) | instskip(NEXT) | instid1(VALU_DEP_2)
	v_add_nc_u32_e32 v37, 1, v36
	v_cmp_ge_u32_e64 s0, v34, v35
	s_delay_alu instid0(VALU_DEP_1) | instskip(NEXT) | instid1(VALU_DEP_1)
	v_cndmask_b32_e64 v34, v36, v37, s0
	v_xor_b32_e32 v34, v34, v31
	s_delay_alu instid0(VALU_DEP_1) | instskip(SKIP_1) | instid1(VALU_DEP_1)
	v_sub_nc_u32_e32 v31, v34, v31
	v_add_co_u32 v34, s0, v20, s6
	v_add_co_ci_u32_e64 v35, s0, s7, v21, s0
	global_store_b32 v[34:35], v31, off
	s_or_b32 exec_lo, exec_lo, s1
	s_and_saveexec_b32 s0, vcc_lo
	s_cbranch_execz .LBB86_8
.LBB86_24:                              ;   in Loop: Header=BB86_9 Depth=1
	s_waitcnt vmcnt(0)
	v_mul_lo_u32 v31, v33, s16
	v_sub_nc_u32_e32 v36, 0, v32
	s_delay_alu instid0(VALU_DEP_1) | instskip(NEXT) | instid1(VALU_DEP_3)
	v_max_i32_e32 v36, v32, v36
	v_sub_nc_u32_e32 v33, 0, v31
	s_delay_alu instid0(VALU_DEP_1) | instskip(SKIP_1) | instid1(VALU_DEP_2)
	v_max_i32_e32 v33, v31, v33
	v_xor_b32_e32 v31, v32, v31
	v_cvt_f32_u32_e32 v34, v33
	v_sub_nc_u32_e32 v35, 0, v33
	s_delay_alu instid0(VALU_DEP_3) | instskip(NEXT) | instid1(VALU_DEP_3)
	v_ashrrev_i32_e32 v31, 31, v31
	v_rcp_iflag_f32_e32 v34, v34
	s_waitcnt_depctr 0xfff
	v_mul_f32_e32 v34, 0x4f7ffffe, v34
	s_delay_alu instid0(VALU_DEP_1) | instskip(NEXT) | instid1(VALU_DEP_1)
	v_cvt_u32_f32_e32 v34, v34
	v_mul_lo_u32 v35, v35, v34
	s_delay_alu instid0(VALU_DEP_1) | instskip(NEXT) | instid1(VALU_DEP_1)
	v_mul_hi_u32 v35, v34, v35
	v_add_nc_u32_e32 v34, v34, v35
	s_delay_alu instid0(VALU_DEP_1) | instskip(NEXT) | instid1(VALU_DEP_1)
	v_mul_hi_u32 v34, v36, v34
	v_mul_lo_u32 v35, v34, v33
	s_delay_alu instid0(VALU_DEP_1) | instskip(SKIP_1) | instid1(VALU_DEP_2)
	v_sub_nc_u32_e32 v35, v36, v35
	v_add_nc_u32_e32 v36, 1, v34
	v_sub_nc_u32_e32 v37, v35, v33
	v_cmp_ge_u32_e32 vcc_lo, v35, v33
	s_delay_alu instid0(VALU_DEP_3) | instskip(NEXT) | instid1(VALU_DEP_1)
	v_cndmask_b32_e32 v34, v34, v36, vcc_lo
	v_dual_cndmask_b32 v32, v35, v37 :: v_dual_add_nc_u32 v35, 1, v34
	s_delay_alu instid0(VALU_DEP_1) | instskip(NEXT) | instid1(VALU_DEP_2)
	v_cmp_ge_u32_e32 vcc_lo, v32, v33
	v_cndmask_b32_e32 v32, v34, v35, vcc_lo
	s_delay_alu instid0(VALU_DEP_1) | instskip(NEXT) | instid1(VALU_DEP_1)
	v_xor_b32_e32 v32, v32, v31
	v_sub_nc_u32_e32 v33, v32, v31
	v_add_co_u32 v31, vcc_lo, v11, s6
	v_add_co_ci_u32_e32 v32, vcc_lo, s7, v12, vcc_lo
	global_store_b32 v[31:32], v33, off
	s_branch .LBB86_8
.LBB86_25:
	s_nop 0
	s_sendmsg sendmsg(MSG_DEALLOC_VGPRS)
	s_endpgm
	.section	.rodata,"a",@progbits
	.p2align	6, 0x0
	.amdhsa_kernel _ZN2at6native12_GLOBAL__N_125multi_tensor_apply_kernelINS1_18TensorListMetadataILi3EEENS1_24BinaryOpListAlphaFunctorIiLi3ELi2ELi2EEEJSt7dividesIiEiEEEvT_T0_DpT1_
		.amdhsa_group_segment_fixed_size 0
		.amdhsa_private_segment_fixed_size 0
		.amdhsa_kernarg_size 3408
		.amdhsa_user_sgpr_count 15
		.amdhsa_user_sgpr_dispatch_ptr 0
		.amdhsa_user_sgpr_queue_ptr 0
		.amdhsa_user_sgpr_kernarg_segment_ptr 1
		.amdhsa_user_sgpr_dispatch_id 0
		.amdhsa_user_sgpr_private_segment_size 0
		.amdhsa_wavefront_size32 1
		.amdhsa_uses_dynamic_stack 0
		.amdhsa_enable_private_segment 0
		.amdhsa_system_sgpr_workgroup_id_x 1
		.amdhsa_system_sgpr_workgroup_id_y 0
		.amdhsa_system_sgpr_workgroup_id_z 0
		.amdhsa_system_sgpr_workgroup_info 0
		.amdhsa_system_vgpr_workitem_id 0
		.amdhsa_next_free_vgpr 44
		.amdhsa_next_free_sgpr 28
		.amdhsa_reserve_vcc 1
		.amdhsa_float_round_mode_32 0
		.amdhsa_float_round_mode_16_64 0
		.amdhsa_float_denorm_mode_32 3
		.amdhsa_float_denorm_mode_16_64 3
		.amdhsa_dx10_clamp 1
		.amdhsa_ieee_mode 1
		.amdhsa_fp16_overflow 0
		.amdhsa_workgroup_processor_mode 1
		.amdhsa_memory_ordered 1
		.amdhsa_forward_progress 0
		.amdhsa_shared_vgpr_count 0
		.amdhsa_exception_fp_ieee_invalid_op 0
		.amdhsa_exception_fp_denorm_src 0
		.amdhsa_exception_fp_ieee_div_zero 0
		.amdhsa_exception_fp_ieee_overflow 0
		.amdhsa_exception_fp_ieee_underflow 0
		.amdhsa_exception_fp_ieee_inexact 0
		.amdhsa_exception_int_div_zero 0
	.end_amdhsa_kernel
	.section	.text._ZN2at6native12_GLOBAL__N_125multi_tensor_apply_kernelINS1_18TensorListMetadataILi3EEENS1_24BinaryOpListAlphaFunctorIiLi3ELi2ELi2EEEJSt7dividesIiEiEEEvT_T0_DpT1_,"axG",@progbits,_ZN2at6native12_GLOBAL__N_125multi_tensor_apply_kernelINS1_18TensorListMetadataILi3EEENS1_24BinaryOpListAlphaFunctorIiLi3ELi2ELi2EEEJSt7dividesIiEiEEEvT_T0_DpT1_,comdat
.Lfunc_end86:
	.size	_ZN2at6native12_GLOBAL__N_125multi_tensor_apply_kernelINS1_18TensorListMetadataILi3EEENS1_24BinaryOpListAlphaFunctorIiLi3ELi2ELi2EEEJSt7dividesIiEiEEEvT_T0_DpT1_, .Lfunc_end86-_ZN2at6native12_GLOBAL__N_125multi_tensor_apply_kernelINS1_18TensorListMetadataILi3EEENS1_24BinaryOpListAlphaFunctorIiLi3ELi2ELi2EEEJSt7dividesIiEiEEEvT_T0_DpT1_
                                        ; -- End function
	.section	.AMDGPU.csdata,"",@progbits
; Kernel info:
; codeLenInByte = 3064
; NumSgprs: 30
; NumVgprs: 44
; ScratchSize: 0
; MemoryBound: 0
; FloatMode: 240
; IeeeMode: 1
; LDSByteSize: 0 bytes/workgroup (compile time only)
; SGPRBlocks: 3
; VGPRBlocks: 5
; NumSGPRsForWavesPerEU: 30
; NumVGPRsForWavesPerEU: 44
; Occupancy: 16
; WaveLimiterHint : 0
; COMPUTE_PGM_RSRC2:SCRATCH_EN: 0
; COMPUTE_PGM_RSRC2:USER_SGPR: 15
; COMPUTE_PGM_RSRC2:TRAP_HANDLER: 0
; COMPUTE_PGM_RSRC2:TGID_X_EN: 1
; COMPUTE_PGM_RSRC2:TGID_Y_EN: 0
; COMPUTE_PGM_RSRC2:TGID_Z_EN: 0
; COMPUTE_PGM_RSRC2:TIDIG_COMP_CNT: 0
	.section	.text._ZN2at6native12_GLOBAL__N_125multi_tensor_apply_kernelINS1_18TensorListMetadataILi3EEENS1_24BinaryOpListAlphaFunctorIlLi3ELi2ELi2EEEJSt7dividesIlElEEEvT_T0_DpT1_,"axG",@progbits,_ZN2at6native12_GLOBAL__N_125multi_tensor_apply_kernelINS1_18TensorListMetadataILi3EEENS1_24BinaryOpListAlphaFunctorIlLi3ELi2ELi2EEEJSt7dividesIlElEEEvT_T0_DpT1_,comdat
	.globl	_ZN2at6native12_GLOBAL__N_125multi_tensor_apply_kernelINS1_18TensorListMetadataILi3EEENS1_24BinaryOpListAlphaFunctorIlLi3ELi2ELi2EEEJSt7dividesIlElEEEvT_T0_DpT1_ ; -- Begin function _ZN2at6native12_GLOBAL__N_125multi_tensor_apply_kernelINS1_18TensorListMetadataILi3EEENS1_24BinaryOpListAlphaFunctorIlLi3ELi2ELi2EEEJSt7dividesIlElEEEvT_T0_DpT1_
	.p2align	8
	.type	_ZN2at6native12_GLOBAL__N_125multi_tensor_apply_kernelINS1_18TensorListMetadataILi3EEENS1_24BinaryOpListAlphaFunctorIlLi3ELi2ELi2EEEJSt7dividesIlElEEEvT_T0_DpT1_,@function
_ZN2at6native12_GLOBAL__N_125multi_tensor_apply_kernelINS1_18TensorListMetadataILi3EEENS1_24BinaryOpListAlphaFunctorIlLi3ELi2ELi2EEEJSt7dividesIlElEEEvT_T0_DpT1_: ; @_ZN2at6native12_GLOBAL__N_125multi_tensor_apply_kernelINS1_18TensorListMetadataILi3EEENS1_24BinaryOpListAlphaFunctorIlLi3ELi2ELi2EEEJSt7dividesIlElEEEvT_T0_DpT1_
; %bb.0:
	v_mov_b32_e32 v1, s15
	s_add_u32 s2, s0, s15
	s_mul_hi_u32 s3, s15, 3
	s_mul_i32 s15, s15, 3
	s_addc_u32 s4, s1, 0
	global_load_u8 v1, v1, s[0:1] offset:1536
	s_add_u32 s2, s2, s15
	s_addc_u32 s3, s4, s3
	s_mov_b32 s23, 0
	s_load_b32 s8, s[2:3], 0x740
	s_mov_b32 s25, s23
	s_waitcnt lgkmcnt(0)
	s_ashr_i32 s9, s8, 31
	s_delay_alu instid0(SALU_CYCLE_1) | instskip(SKIP_2) | instid1(VALU_DEP_1)
	s_lshl_b64 s[6:7], s[8:9], 19
	s_waitcnt vmcnt(0)
	v_readfirstlane_b32 s2, v1
	s_lshl_b32 s2, s2, 3
	s_clause 0x3
	s_load_b64 s[4:5], s[0:1], s2 offset:0x0
	s_load_b64 s[14:15], s[0:1], s2 offset:0x180
	s_load_b64 s[16:17], s[0:1], s2 offset:0x300
	s_load_b64 s[10:11], s[0:1], s2 offset:0x480
	s_waitcnt lgkmcnt(0)
	s_add_u32 s3, s4, s6
	s_addc_u32 s12, s5, s7
	s_and_b32 s22, s3, 31
	s_add_u32 s13, s14, s6
	s_addc_u32 s18, s15, s7
	s_add_u32 s19, s16, s6
	s_addc_u32 s20, s17, s7
	s_or_b32 s2, s19, s13
	s_delay_alu instid0(SALU_CYCLE_1) | instskip(NEXT) | instid1(SALU_CYCLE_1)
	s_and_b32 s2, s2, 31
	s_cmp_lg_u32 s2, 0
	s_cselect_b32 s2, -1, 0
	s_lshl_b64 s[8:9], s[8:9], 16
	s_delay_alu instid0(SALU_CYCLE_1) | instskip(SKIP_4) | instid1(SALU_CYCLE_1)
	s_sub_u32 s8, s10, s8
	s_subb_u32 s9, s11, s9
	s_and_b32 s24, s10, 3
	s_load_b64 s[10:11], s[0:1], 0xc50
	s_or_b64 s[22:23], s[22:23], s[24:25]
	s_cmp_lg_u64 s[22:23], 0
	s_cselect_b32 s21, -1, 0
	s_delay_alu instid0(SALU_CYCLE_1) | instskip(NEXT) | instid1(SALU_CYCLE_1)
	s_or_b32 s2, s2, s21
	s_and_not1_b32 vcc_lo, exec_lo, s2
	s_mov_b32 s2, -1
	s_cbranch_vccz .LBB87_21
; %bb.1:
	v_mov_b32_e32 v17, 0
	v_lshlrev_b32_e32 v1, 2, v0
	s_mov_b32 s21, exec_lo
	s_delay_alu instid0(VALU_DEP_2) | instskip(NEXT) | instid1(VALU_DEP_1)
	v_mov_b32_e32 v2, v17
	v_cmpx_gt_i64_e64 s[8:9], v[1:2]
	s_cbranch_execz .LBB87_20
; %bb.2:
	s_load_b32 s2, s[0:1], 0xc64
	v_dual_mov_b32 v20, v17 :: v_dual_lshlrev_b32 v23, 5, v0
	s_mov_b32 s22, 0
	s_waitcnt lgkmcnt(0)
	s_and_b32 s2, s2, 0xffff
	s_delay_alu instid0(SALU_CYCLE_1)
	v_add_lshl_u32 v19, v0, s2, 2
	s_lshl_b32 s23, s2, 2
	s_lshl_b32 s24, s2, 5
	s_branch .LBB87_4
.LBB87_3:                               ;   in Loop: Header=BB87_4 Depth=1
	s_or_b32 exec_lo, exec_lo, s2
	v_cmp_le_i64_e32 vcc_lo, s[8:9], v[19:20]
	v_cmp_lt_u64_e64 s2, 0xffff, v[19:20]
	v_add_co_u32 v1, s25, s19, v23
	s_delay_alu instid0(VALU_DEP_1)
	v_add_co_ci_u32_e64 v2, null, s20, 0, s25
	s_clause 0x1
	global_store_b128 v[1:2], v[5:8], off
	global_store_b128 v[1:2], v[9:12], off offset:16
	s_or_b32 s2, vcc_lo, s2
	s_add_u32 s3, s3, s24
	s_addc_u32 s12, s12, 0
	s_add_u32 s19, s19, s24
	v_add_co_u32 v19, vcc_lo, v19, s23
	s_addc_u32 s20, s20, 0
	s_add_u32 s13, s13, s24
	v_add_co_ci_u32_e32 v20, vcc_lo, 0, v20, vcc_lo
	s_addc_u32 s18, s18, 0
	s_and_b32 s2, exec_lo, s2
	s_delay_alu instid0(SALU_CYCLE_1) | instskip(NEXT) | instid1(SALU_CYCLE_1)
	s_or_b32 s22, s2, s22
	s_and_not1_b32 exec_lo, exec_lo, s22
	s_cbranch_execz .LBB87_20
.LBB87_4:                               ; =>This Inner Loop Header: Depth=1
	v_add_co_u32 v1, s2, s13, v23
	s_delay_alu instid0(VALU_DEP_1) | instskip(SKIP_1) | instid1(VALU_DEP_1)
	v_add_co_ci_u32_e64 v2, null, s18, 0, s2
	v_add_co_u32 v3, s2, s3, v23
	v_add_co_ci_u32_e64 v4, null, s12, 0, s2
	global_load_b128 v[5:8], v[1:2], off
	global_load_b128 v[13:16], v[3:4], off
	global_load_b128 v[9:12], v[1:2], off offset:16
	global_load_b128 v[1:4], v[3:4], off offset:16
	s_mov_b32 s2, exec_lo
	s_waitcnt vmcnt(3)
	v_mul_lo_u32 v6, v6, s10
	v_mul_lo_u32 v18, v5, s11
	v_mad_u64_u32 v[21:22], null, v5, s10, 0
	s_delay_alu instid0(VALU_DEP_1) | instskip(SKIP_1) | instid1(VALU_DEP_1)
	v_add3_u32 v22, v22, v18, v6
                                        ; implicit-def: $vgpr5_vgpr6
	s_waitcnt vmcnt(2)
	v_or_b32_e32 v18, v14, v22
	s_delay_alu instid0(VALU_DEP_1)
	v_cmpx_ne_u64_e32 0, v[17:18]
	s_xor_b32 s25, exec_lo, s2
	s_cbranch_execz .LBB87_6
; %bb.5:                                ;   in Loop: Header=BB87_4 Depth=1
	v_ashrrev_i32_e32 v18, 31, v22
	s_delay_alu instid0(VALU_DEP_1) | instskip(SKIP_1) | instid1(VALU_DEP_2)
	v_add_co_u32 v5, vcc_lo, v21, v18
	v_add_co_ci_u32_e32 v6, vcc_lo, v22, v18, vcc_lo
	v_xor_b32_e32 v26, v5, v18
	s_delay_alu instid0(VALU_DEP_2) | instskip(NEXT) | instid1(VALU_DEP_2)
	v_xor_b32_e32 v27, v6, v18
	v_cvt_f32_u32_e32 v5, v26
	v_sub_co_u32 v28, vcc_lo, 0, v26
	s_delay_alu instid0(VALU_DEP_3) | instskip(SKIP_1) | instid1(VALU_DEP_2)
	v_cvt_f32_u32_e32 v6, v27
	v_sub_co_ci_u32_e32 v29, vcc_lo, 0, v27, vcc_lo
	v_fmac_f32_e32 v5, 0x4f800000, v6
	s_delay_alu instid0(VALU_DEP_1) | instskip(SKIP_2) | instid1(VALU_DEP_1)
	v_rcp_f32_e32 v5, v5
	s_waitcnt_depctr 0xfff
	v_mul_f32_e32 v5, 0x5f7ffffc, v5
	v_mul_f32_e32 v6, 0x2f800000, v5
	s_delay_alu instid0(VALU_DEP_1) | instskip(NEXT) | instid1(VALU_DEP_1)
	v_trunc_f32_e32 v6, v6
	v_fmac_f32_e32 v5, 0xcf800000, v6
	v_cvt_u32_f32_e32 v30, v6
	s_delay_alu instid0(VALU_DEP_2) | instskip(NEXT) | instid1(VALU_DEP_2)
	v_cvt_u32_f32_e32 v31, v5
	v_mul_lo_u32 v21, v28, v30
	s_delay_alu instid0(VALU_DEP_2) | instskip(SKIP_1) | instid1(VALU_DEP_1)
	v_mul_lo_u32 v22, v29, v31
	v_mad_u64_u32 v[5:6], null, v28, v31, 0
	v_add3_u32 v32, v6, v21, v22
	s_delay_alu instid0(VALU_DEP_2) | instskip(SKIP_1) | instid1(VALU_DEP_3)
	v_mul_hi_u32 v33, v31, v5
	v_mad_u64_u32 v[24:25], null, v30, v5, 0
	v_mad_u64_u32 v[21:22], null, v31, v32, 0
	;; [unrolled: 1-line block ×3, first 2 shown]
	s_delay_alu instid0(VALU_DEP_2) | instskip(NEXT) | instid1(VALU_DEP_3)
	v_add_co_u32 v21, vcc_lo, v33, v21
	v_add_co_ci_u32_e32 v22, vcc_lo, 0, v22, vcc_lo
	s_delay_alu instid0(VALU_DEP_2) | instskip(NEXT) | instid1(VALU_DEP_2)
	v_add_co_u32 v21, vcc_lo, v21, v24
	v_add_co_ci_u32_e32 v21, vcc_lo, v22, v25, vcc_lo
	v_add_co_ci_u32_e32 v6, vcc_lo, 0, v6, vcc_lo
	s_delay_alu instid0(VALU_DEP_2) | instskip(NEXT) | instid1(VALU_DEP_2)
	v_add_co_u32 v5, vcc_lo, v21, v5
	v_add_co_ci_u32_e32 v6, vcc_lo, 0, v6, vcc_lo
	s_delay_alu instid0(VALU_DEP_2) | instskip(NEXT) | instid1(VALU_DEP_2)
	v_add_co_u32 v31, vcc_lo, v31, v5
	v_add_co_ci_u32_e32 v30, vcc_lo, v30, v6, vcc_lo
	s_delay_alu instid0(VALU_DEP_2) | instskip(SKIP_1) | instid1(VALU_DEP_3)
	v_mul_lo_u32 v21, v29, v31
	v_mad_u64_u32 v[5:6], null, v28, v31, 0
	v_mul_lo_u32 v22, v28, v30
	s_delay_alu instid0(VALU_DEP_2) | instskip(SKIP_1) | instid1(VALU_DEP_3)
	v_mul_hi_u32 v29, v31, v5
	v_mad_u64_u32 v[24:25], null, v30, v5, 0
	v_add3_u32 v28, v6, v22, v21
	s_delay_alu instid0(VALU_DEP_1) | instskip(SKIP_2) | instid1(VALU_DEP_3)
	v_mad_u64_u32 v[21:22], null, v31, v28, 0
	v_mad_u64_u32 v[5:6], null, v30, v28, 0
	v_ashrrev_i32_e32 v28, 31, v14
	v_add_co_u32 v21, vcc_lo, v29, v21
	s_delay_alu instid0(VALU_DEP_4) | instskip(NEXT) | instid1(VALU_DEP_3)
	v_add_co_ci_u32_e32 v22, vcc_lo, 0, v22, vcc_lo
	v_xor_b32_e32 v18, v28, v18
	s_delay_alu instid0(VALU_DEP_3) | instskip(NEXT) | instid1(VALU_DEP_3)
	v_add_co_u32 v21, vcc_lo, v21, v24
	v_add_co_ci_u32_e32 v21, vcc_lo, v22, v25, vcc_lo
	v_add_co_ci_u32_e32 v6, vcc_lo, 0, v6, vcc_lo
	v_add_co_u32 v13, vcc_lo, v13, v28
	v_add_co_ci_u32_e32 v14, vcc_lo, v14, v28, vcc_lo
	s_delay_alu instid0(VALU_DEP_4) | instskip(NEXT) | instid1(VALU_DEP_4)
	v_add_co_u32 v5, vcc_lo, v21, v5
	v_add_co_ci_u32_e32 v6, vcc_lo, 0, v6, vcc_lo
	s_delay_alu instid0(VALU_DEP_4) | instskip(NEXT) | instid1(VALU_DEP_3)
	v_xor_b32_e32 v24, v13, v28
	v_add_co_u32 v21, vcc_lo, v31, v5
	s_delay_alu instid0(VALU_DEP_3) | instskip(SKIP_1) | instid1(VALU_DEP_3)
	v_add_co_ci_u32_e32 v25, vcc_lo, v30, v6, vcc_lo
	v_xor_b32_e32 v29, v14, v28
	v_mul_hi_u32 v30, v24, v21
	s_delay_alu instid0(VALU_DEP_3) | instskip(NEXT) | instid1(VALU_DEP_3)
	v_mad_u64_u32 v[5:6], null, v24, v25, 0
	v_mad_u64_u32 v[13:14], null, v29, v21, 0
	;; [unrolled: 1-line block ×3, first 2 shown]
	s_delay_alu instid0(VALU_DEP_3) | instskip(NEXT) | instid1(VALU_DEP_4)
	v_add_co_u32 v5, vcc_lo, v30, v5
	v_add_co_ci_u32_e32 v6, vcc_lo, 0, v6, vcc_lo
	s_delay_alu instid0(VALU_DEP_2) | instskip(NEXT) | instid1(VALU_DEP_2)
	v_add_co_u32 v5, vcc_lo, v5, v13
	v_add_co_ci_u32_e32 v5, vcc_lo, v6, v14, vcc_lo
	v_add_co_ci_u32_e32 v6, vcc_lo, 0, v22, vcc_lo
	s_delay_alu instid0(VALU_DEP_2) | instskip(NEXT) | instid1(VALU_DEP_2)
	v_add_co_u32 v13, vcc_lo, v5, v21
	v_add_co_ci_u32_e32 v14, vcc_lo, 0, v6, vcc_lo
	s_delay_alu instid0(VALU_DEP_2) | instskip(SKIP_1) | instid1(VALU_DEP_3)
	v_mul_lo_u32 v21, v27, v13
	v_mad_u64_u32 v[5:6], null, v26, v13, 0
	v_mul_lo_u32 v22, v26, v14
	s_delay_alu instid0(VALU_DEP_2) | instskip(NEXT) | instid1(VALU_DEP_2)
	v_sub_co_u32 v5, vcc_lo, v24, v5
	v_add3_u32 v6, v6, v22, v21
	s_delay_alu instid0(VALU_DEP_1) | instskip(NEXT) | instid1(VALU_DEP_1)
	v_sub_nc_u32_e32 v21, v29, v6
	v_sub_co_ci_u32_e64 v21, s2, v21, v27, vcc_lo
	v_add_co_u32 v22, s2, v13, 2
	s_delay_alu instid0(VALU_DEP_1) | instskip(SKIP_3) | instid1(VALU_DEP_3)
	v_add_co_ci_u32_e64 v24, s2, 0, v14, s2
	v_sub_co_u32 v25, s2, v5, v26
	v_sub_co_ci_u32_e32 v6, vcc_lo, v29, v6, vcc_lo
	v_subrev_co_ci_u32_e64 v21, s2, 0, v21, s2
	v_cmp_ge_u32_e32 vcc_lo, v25, v26
	s_delay_alu instid0(VALU_DEP_3) | instskip(SKIP_1) | instid1(VALU_DEP_4)
	v_cmp_eq_u32_e64 s2, v6, v27
	v_cndmask_b32_e64 v25, 0, -1, vcc_lo
	v_cmp_ge_u32_e32 vcc_lo, v21, v27
	v_cndmask_b32_e64 v29, 0, -1, vcc_lo
	v_cmp_ge_u32_e32 vcc_lo, v5, v26
	;; [unrolled: 2-line block ×3, first 2 shown]
	v_cndmask_b32_e64 v26, 0, -1, vcc_lo
	v_cmp_eq_u32_e32 vcc_lo, v21, v27
	s_delay_alu instid0(VALU_DEP_2) | instskip(SKIP_3) | instid1(VALU_DEP_3)
	v_cndmask_b32_e64 v5, v26, v5, s2
	v_cndmask_b32_e32 v21, v29, v25, vcc_lo
	v_add_co_u32 v25, vcc_lo, v13, 1
	v_add_co_ci_u32_e32 v29, vcc_lo, 0, v14, vcc_lo
	v_cmp_ne_u32_e32 vcc_lo, 0, v21
	s_delay_alu instid0(VALU_DEP_2) | instskip(NEXT) | instid1(VALU_DEP_4)
	v_cndmask_b32_e32 v6, v29, v24, vcc_lo
	v_cndmask_b32_e32 v21, v25, v22, vcc_lo
	v_cmp_ne_u32_e32 vcc_lo, 0, v5
	s_delay_alu instid0(VALU_DEP_2) | instskip(NEXT) | instid1(VALU_DEP_1)
	v_dual_cndmask_b32 v5, v14, v6 :: v_dual_cndmask_b32 v6, v13, v21
                                        ; implicit-def: $vgpr21_vgpr22
	v_xor_b32_e32 v13, v5, v18
	s_delay_alu instid0(VALU_DEP_2) | instskip(NEXT) | instid1(VALU_DEP_1)
	v_xor_b32_e32 v6, v6, v18
	v_sub_co_u32 v5, vcc_lo, v6, v18
	s_delay_alu instid0(VALU_DEP_3)
	v_sub_co_ci_u32_e32 v6, vcc_lo, v13, v18, vcc_lo
.LBB87_6:                               ;   in Loop: Header=BB87_4 Depth=1
	s_and_not1_saveexec_b32 s2, s25
	s_cbranch_execz .LBB87_8
; %bb.7:                                ;   in Loop: Header=BB87_4 Depth=1
	v_cvt_f32_u32_e32 v5, v21
	v_sub_nc_u32_e32 v6, 0, v21
	s_delay_alu instid0(VALU_DEP_2) | instskip(SKIP_2) | instid1(VALU_DEP_1)
	v_rcp_iflag_f32_e32 v5, v5
	s_waitcnt_depctr 0xfff
	v_mul_f32_e32 v5, 0x4f7ffffe, v5
	v_cvt_u32_f32_e32 v5, v5
	s_delay_alu instid0(VALU_DEP_1) | instskip(NEXT) | instid1(VALU_DEP_1)
	v_mul_lo_u32 v6, v6, v5
	v_mul_hi_u32 v6, v5, v6
	s_delay_alu instid0(VALU_DEP_1) | instskip(NEXT) | instid1(VALU_DEP_1)
	v_add_nc_u32_e32 v5, v5, v6
	v_mul_hi_u32 v5, v13, v5
	s_delay_alu instid0(VALU_DEP_1) | instskip(NEXT) | instid1(VALU_DEP_1)
	v_mul_lo_u32 v6, v5, v21
	v_sub_nc_u32_e32 v6, v13, v6
	v_add_nc_u32_e32 v13, 1, v5
	s_delay_alu instid0(VALU_DEP_2) | instskip(SKIP_1) | instid1(VALU_DEP_2)
	v_sub_nc_u32_e32 v14, v6, v21
	v_cmp_ge_u32_e32 vcc_lo, v6, v21
	v_dual_cndmask_b32 v6, v6, v14 :: v_dual_cndmask_b32 v5, v5, v13
	s_delay_alu instid0(VALU_DEP_1) | instskip(NEXT) | instid1(VALU_DEP_2)
	v_cmp_ge_u32_e32 vcc_lo, v6, v21
	v_dual_mov_b32 v6, v17 :: v_dual_add_nc_u32 v13, 1, v5
	s_delay_alu instid0(VALU_DEP_1)
	v_cndmask_b32_e32 v5, v5, v13, vcc_lo
.LBB87_8:                               ;   in Loop: Header=BB87_4 Depth=1
	s_or_b32 exec_lo, exec_lo, s2
	v_mul_lo_u32 v8, v8, s10
	v_mul_lo_u32 v18, v7, s11
	v_mad_u64_u32 v[13:14], null, v7, s10, 0
	s_mov_b32 s2, exec_lo
	s_delay_alu instid0(VALU_DEP_1) | instskip(NEXT) | instid1(VALU_DEP_1)
	v_add3_u32 v14, v14, v18, v8
	v_or_b32_e32 v18, v16, v14
	s_delay_alu instid0(VALU_DEP_1)
	v_cmpx_ne_u64_e32 0, v[17:18]
	s_xor_b32 s25, exec_lo, s2
	s_cbranch_execz .LBB87_10
; %bb.9:                                ;   in Loop: Header=BB87_4 Depth=1
	v_ashrrev_i32_e32 v18, 31, v14
	s_delay_alu instid0(VALU_DEP_1) | instskip(SKIP_1) | instid1(VALU_DEP_2)
	v_add_co_u32 v7, vcc_lo, v13, v18
	v_add_co_ci_u32_e32 v8, vcc_lo, v14, v18, vcc_lo
	v_xor_b32_e32 v24, v7, v18
	s_delay_alu instid0(VALU_DEP_2) | instskip(NEXT) | instid1(VALU_DEP_2)
	v_xor_b32_e32 v25, v8, v18
	v_cvt_f32_u32_e32 v7, v24
	v_sub_co_u32 v26, vcc_lo, 0, v24
	s_delay_alu instid0(VALU_DEP_3) | instskip(SKIP_1) | instid1(VALU_DEP_2)
	v_cvt_f32_u32_e32 v8, v25
	v_sub_co_ci_u32_e32 v27, vcc_lo, 0, v25, vcc_lo
	v_fmac_f32_e32 v7, 0x4f800000, v8
	s_delay_alu instid0(VALU_DEP_1) | instskip(SKIP_2) | instid1(VALU_DEP_1)
	v_rcp_f32_e32 v7, v7
	s_waitcnt_depctr 0xfff
	v_mul_f32_e32 v7, 0x5f7ffffc, v7
	v_mul_f32_e32 v8, 0x2f800000, v7
	s_delay_alu instid0(VALU_DEP_1) | instskip(NEXT) | instid1(VALU_DEP_1)
	v_trunc_f32_e32 v8, v8
	v_fmac_f32_e32 v7, 0xcf800000, v8
	v_cvt_u32_f32_e32 v28, v8
	s_delay_alu instid0(VALU_DEP_2) | instskip(NEXT) | instid1(VALU_DEP_2)
	v_cvt_u32_f32_e32 v29, v7
	v_mul_lo_u32 v13, v26, v28
	s_delay_alu instid0(VALU_DEP_2) | instskip(SKIP_1) | instid1(VALU_DEP_1)
	v_mul_lo_u32 v14, v27, v29
	v_mad_u64_u32 v[7:8], null, v26, v29, 0
	v_add3_u32 v30, v8, v13, v14
	s_delay_alu instid0(VALU_DEP_2) | instskip(SKIP_1) | instid1(VALU_DEP_3)
	v_mul_hi_u32 v31, v29, v7
	v_mad_u64_u32 v[21:22], null, v28, v7, 0
	v_mad_u64_u32 v[13:14], null, v29, v30, 0
	;; [unrolled: 1-line block ×3, first 2 shown]
	s_delay_alu instid0(VALU_DEP_2) | instskip(NEXT) | instid1(VALU_DEP_3)
	v_add_co_u32 v13, vcc_lo, v31, v13
	v_add_co_ci_u32_e32 v14, vcc_lo, 0, v14, vcc_lo
	s_delay_alu instid0(VALU_DEP_2) | instskip(NEXT) | instid1(VALU_DEP_2)
	v_add_co_u32 v13, vcc_lo, v13, v21
	v_add_co_ci_u32_e32 v13, vcc_lo, v14, v22, vcc_lo
	v_add_co_ci_u32_e32 v8, vcc_lo, 0, v8, vcc_lo
	s_delay_alu instid0(VALU_DEP_2) | instskip(NEXT) | instid1(VALU_DEP_2)
	v_add_co_u32 v7, vcc_lo, v13, v7
	v_add_co_ci_u32_e32 v8, vcc_lo, 0, v8, vcc_lo
	s_delay_alu instid0(VALU_DEP_2) | instskip(NEXT) | instid1(VALU_DEP_2)
	v_add_co_u32 v29, vcc_lo, v29, v7
	v_add_co_ci_u32_e32 v28, vcc_lo, v28, v8, vcc_lo
	s_delay_alu instid0(VALU_DEP_2) | instskip(SKIP_1) | instid1(VALU_DEP_3)
	v_mul_lo_u32 v13, v27, v29
	v_mad_u64_u32 v[7:8], null, v26, v29, 0
	v_mul_lo_u32 v14, v26, v28
	s_delay_alu instid0(VALU_DEP_2) | instskip(SKIP_1) | instid1(VALU_DEP_3)
	v_mul_hi_u32 v27, v29, v7
	v_mad_u64_u32 v[21:22], null, v28, v7, 0
	v_add3_u32 v26, v8, v14, v13
	s_delay_alu instid0(VALU_DEP_1) | instskip(SKIP_2) | instid1(VALU_DEP_3)
	v_mad_u64_u32 v[13:14], null, v29, v26, 0
	v_mad_u64_u32 v[7:8], null, v28, v26, 0
	v_ashrrev_i32_e32 v26, 31, v16
	v_add_co_u32 v13, vcc_lo, v27, v13
	s_delay_alu instid0(VALU_DEP_4) | instskip(NEXT) | instid1(VALU_DEP_2)
	v_add_co_ci_u32_e32 v14, vcc_lo, 0, v14, vcc_lo
	v_add_co_u32 v13, vcc_lo, v13, v21
	s_delay_alu instid0(VALU_DEP_2) | instskip(SKIP_3) | instid1(VALU_DEP_4)
	v_add_co_ci_u32_e32 v13, vcc_lo, v14, v22, vcc_lo
	v_add_co_ci_u32_e32 v8, vcc_lo, 0, v8, vcc_lo
	v_add_co_u32 v14, vcc_lo, v15, v26
	v_add_co_ci_u32_e32 v15, vcc_lo, v16, v26, vcc_lo
	v_add_co_u32 v7, vcc_lo, v13, v7
	s_delay_alu instid0(VALU_DEP_4) | instskip(NEXT) | instid1(VALU_DEP_4)
	v_add_co_ci_u32_e32 v8, vcc_lo, 0, v8, vcc_lo
	v_xor_b32_e32 v21, v14, v26
	s_delay_alu instid0(VALU_DEP_3) | instskip(NEXT) | instid1(VALU_DEP_3)
	v_add_co_u32 v16, vcc_lo, v29, v7
	v_add_co_ci_u32_e32 v22, vcc_lo, v28, v8, vcc_lo
	v_xor_b32_e32 v27, v15, v26
	s_delay_alu instid0(VALU_DEP_3) | instskip(NEXT) | instid1(VALU_DEP_3)
	v_mul_hi_u32 v28, v21, v16
	v_mad_u64_u32 v[7:8], null, v21, v22, 0
	s_delay_alu instid0(VALU_DEP_3) | instskip(SKIP_1) | instid1(VALU_DEP_3)
	v_mad_u64_u32 v[13:14], null, v27, v16, 0
	v_mad_u64_u32 v[15:16], null, v27, v22, 0
	v_add_co_u32 v7, vcc_lo, v28, v7
	s_delay_alu instid0(VALU_DEP_4) | instskip(NEXT) | instid1(VALU_DEP_2)
	v_add_co_ci_u32_e32 v8, vcc_lo, 0, v8, vcc_lo
	v_add_co_u32 v7, vcc_lo, v7, v13
	s_delay_alu instid0(VALU_DEP_2) | instskip(SKIP_1) | instid1(VALU_DEP_2)
	v_add_co_ci_u32_e32 v7, vcc_lo, v8, v14, vcc_lo
	v_add_co_ci_u32_e32 v8, vcc_lo, 0, v16, vcc_lo
	v_add_co_u32 v13, vcc_lo, v7, v15
	s_delay_alu instid0(VALU_DEP_2) | instskip(NEXT) | instid1(VALU_DEP_2)
	v_add_co_ci_u32_e32 v14, vcc_lo, 0, v8, vcc_lo
	v_mul_lo_u32 v15, v25, v13
	v_mad_u64_u32 v[7:8], null, v24, v13, 0
	s_delay_alu instid0(VALU_DEP_3) | instskip(NEXT) | instid1(VALU_DEP_2)
	v_mul_lo_u32 v16, v24, v14
	v_sub_co_u32 v7, vcc_lo, v21, v7
	s_delay_alu instid0(VALU_DEP_2) | instskip(NEXT) | instid1(VALU_DEP_1)
	v_add3_u32 v8, v8, v16, v15
	v_sub_nc_u32_e32 v15, v27, v8
	s_delay_alu instid0(VALU_DEP_1) | instskip(SKIP_1) | instid1(VALU_DEP_1)
	v_sub_co_ci_u32_e64 v15, s2, v15, v25, vcc_lo
	v_add_co_u32 v16, s2, v13, 2
	v_add_co_ci_u32_e64 v21, s2, 0, v14, s2
	v_sub_co_u32 v22, s2, v7, v24
	v_sub_co_ci_u32_e32 v8, vcc_lo, v27, v8, vcc_lo
	v_subrev_co_ci_u32_e64 v15, s2, 0, v15, s2
	s_delay_alu instid0(VALU_DEP_3) | instskip(NEXT) | instid1(VALU_DEP_3)
	v_cmp_ge_u32_e32 vcc_lo, v22, v24
	v_cmp_eq_u32_e64 s2, v8, v25
	v_cndmask_b32_e64 v22, 0, -1, vcc_lo
	s_delay_alu instid0(VALU_DEP_4)
	v_cmp_ge_u32_e32 vcc_lo, v15, v25
	v_cndmask_b32_e64 v27, 0, -1, vcc_lo
	v_cmp_ge_u32_e32 vcc_lo, v7, v24
	v_cndmask_b32_e64 v7, 0, -1, vcc_lo
	v_cmp_ge_u32_e32 vcc_lo, v8, v25
	v_cndmask_b32_e64 v24, 0, -1, vcc_lo
	v_cmp_eq_u32_e32 vcc_lo, v15, v25
	s_delay_alu instid0(VALU_DEP_2) | instskip(SKIP_3) | instid1(VALU_DEP_3)
	v_cndmask_b32_e64 v7, v24, v7, s2
	v_cndmask_b32_e32 v15, v27, v22, vcc_lo
	v_add_co_u32 v22, vcc_lo, v13, 1
	v_add_co_ci_u32_e32 v27, vcc_lo, 0, v14, vcc_lo
	v_cmp_ne_u32_e32 vcc_lo, 0, v15
	s_delay_alu instid0(VALU_DEP_2) | instskip(SKIP_2) | instid1(VALU_DEP_3)
	v_dual_cndmask_b32 v8, v27, v21 :: v_dual_cndmask_b32 v15, v22, v16
	v_cmp_ne_u32_e32 vcc_lo, 0, v7
	v_xor_b32_e32 v16, v26, v18
	v_dual_cndmask_b32 v7, v14, v8 :: v_dual_cndmask_b32 v8, v13, v15
	s_delay_alu instid0(VALU_DEP_1) | instskip(NEXT) | instid1(VALU_DEP_2)
	v_xor_b32_e32 v13, v7, v16
	v_xor_b32_e32 v8, v8, v16
	s_delay_alu instid0(VALU_DEP_1) | instskip(NEXT) | instid1(VALU_DEP_3)
	v_sub_co_u32 v7, vcc_lo, v8, v16
	v_sub_co_ci_u32_e32 v8, vcc_lo, v13, v16, vcc_lo
                                        ; implicit-def: $vgpr13_vgpr14
                                        ; implicit-def: $vgpr15_vgpr16
.LBB87_10:                              ;   in Loop: Header=BB87_4 Depth=1
	s_and_not1_saveexec_b32 s2, s25
	s_cbranch_execz .LBB87_12
; %bb.11:                               ;   in Loop: Header=BB87_4 Depth=1
	v_cvt_f32_u32_e32 v7, v13
	v_sub_nc_u32_e32 v8, 0, v13
	s_delay_alu instid0(VALU_DEP_2) | instskip(SKIP_2) | instid1(VALU_DEP_1)
	v_rcp_iflag_f32_e32 v7, v7
	s_waitcnt_depctr 0xfff
	v_mul_f32_e32 v7, 0x4f7ffffe, v7
	v_cvt_u32_f32_e32 v7, v7
	s_delay_alu instid0(VALU_DEP_1) | instskip(NEXT) | instid1(VALU_DEP_1)
	v_mul_lo_u32 v8, v8, v7
	v_mul_hi_u32 v8, v7, v8
	s_delay_alu instid0(VALU_DEP_1) | instskip(NEXT) | instid1(VALU_DEP_1)
	v_add_nc_u32_e32 v7, v7, v8
	v_mul_hi_u32 v7, v15, v7
	s_delay_alu instid0(VALU_DEP_1) | instskip(SKIP_1) | instid1(VALU_DEP_2)
	v_mul_lo_u32 v8, v7, v13
	v_add_nc_u32_e32 v14, 1, v7
	v_sub_nc_u32_e32 v8, v15, v8
	s_delay_alu instid0(VALU_DEP_1) | instskip(SKIP_1) | instid1(VALU_DEP_2)
	v_sub_nc_u32_e32 v15, v8, v13
	v_cmp_ge_u32_e32 vcc_lo, v8, v13
	v_dual_cndmask_b32 v8, v8, v15 :: v_dual_cndmask_b32 v7, v7, v14
	s_delay_alu instid0(VALU_DEP_1) | instskip(NEXT) | instid1(VALU_DEP_2)
	v_cmp_ge_u32_e32 vcc_lo, v8, v13
	v_add_nc_u32_e32 v14, 1, v7
	s_delay_alu instid0(VALU_DEP_1)
	v_dual_mov_b32 v8, v17 :: v_dual_cndmask_b32 v7, v7, v14
.LBB87_12:                              ;   in Loop: Header=BB87_4 Depth=1
	s_or_b32 exec_lo, exec_lo, s2
	s_waitcnt vmcnt(1)
	v_mul_lo_u32 v10, v10, s10
	v_mul_lo_u32 v15, v9, s11
	v_mad_u64_u32 v[13:14], null, v9, s10, 0
	s_mov_b32 s2, exec_lo
	s_delay_alu instid0(VALU_DEP_1) | instskip(SKIP_1) | instid1(VALU_DEP_1)
	v_add3_u32 v14, v14, v15, v10
                                        ; implicit-def: $vgpr9_vgpr10
	s_waitcnt vmcnt(0)
	v_or_b32_e32 v18, v2, v14
	s_delay_alu instid0(VALU_DEP_1)
	v_cmpx_ne_u64_e32 0, v[17:18]
	s_xor_b32 s25, exec_lo, s2
	s_cbranch_execz .LBB87_14
; %bb.13:                               ;   in Loop: Header=BB87_4 Depth=1
	v_ashrrev_i32_e32 v18, 31, v14
	s_delay_alu instid0(VALU_DEP_1) | instskip(SKIP_1) | instid1(VALU_DEP_2)
	v_add_co_u32 v9, vcc_lo, v13, v18
	v_add_co_ci_u32_e32 v10, vcc_lo, v14, v18, vcc_lo
	v_xor_b32_e32 v21, v9, v18
	s_delay_alu instid0(VALU_DEP_2) | instskip(NEXT) | instid1(VALU_DEP_2)
	v_xor_b32_e32 v22, v10, v18
	v_cvt_f32_u32_e32 v9, v21
	v_sub_co_u32 v24, vcc_lo, 0, v21
	s_delay_alu instid0(VALU_DEP_3) | instskip(SKIP_1) | instid1(VALU_DEP_2)
	v_cvt_f32_u32_e32 v10, v22
	v_sub_co_ci_u32_e32 v25, vcc_lo, 0, v22, vcc_lo
	v_fmac_f32_e32 v9, 0x4f800000, v10
	s_delay_alu instid0(VALU_DEP_1) | instskip(SKIP_2) | instid1(VALU_DEP_1)
	v_rcp_f32_e32 v9, v9
	s_waitcnt_depctr 0xfff
	v_mul_f32_e32 v9, 0x5f7ffffc, v9
	v_mul_f32_e32 v10, 0x2f800000, v9
	s_delay_alu instid0(VALU_DEP_1) | instskip(NEXT) | instid1(VALU_DEP_1)
	v_trunc_f32_e32 v10, v10
	v_fmac_f32_e32 v9, 0xcf800000, v10
	v_cvt_u32_f32_e32 v26, v10
	s_delay_alu instid0(VALU_DEP_2) | instskip(NEXT) | instid1(VALU_DEP_2)
	v_cvt_u32_f32_e32 v27, v9
	v_mul_lo_u32 v13, v24, v26
	s_delay_alu instid0(VALU_DEP_2) | instskip(SKIP_1) | instid1(VALU_DEP_1)
	v_mul_lo_u32 v14, v25, v27
	v_mad_u64_u32 v[9:10], null, v24, v27, 0
	v_add3_u32 v28, v10, v13, v14
	s_delay_alu instid0(VALU_DEP_2) | instskip(SKIP_1) | instid1(VALU_DEP_3)
	v_mul_hi_u32 v29, v27, v9
	v_mad_u64_u32 v[15:16], null, v26, v9, 0
	v_mad_u64_u32 v[13:14], null, v27, v28, 0
	;; [unrolled: 1-line block ×3, first 2 shown]
	s_delay_alu instid0(VALU_DEP_2) | instskip(NEXT) | instid1(VALU_DEP_3)
	v_add_co_u32 v13, vcc_lo, v29, v13
	v_add_co_ci_u32_e32 v14, vcc_lo, 0, v14, vcc_lo
	s_delay_alu instid0(VALU_DEP_2) | instskip(NEXT) | instid1(VALU_DEP_2)
	v_add_co_u32 v13, vcc_lo, v13, v15
	v_add_co_ci_u32_e32 v13, vcc_lo, v14, v16, vcc_lo
	v_add_co_ci_u32_e32 v10, vcc_lo, 0, v10, vcc_lo
	s_delay_alu instid0(VALU_DEP_2) | instskip(NEXT) | instid1(VALU_DEP_2)
	v_add_co_u32 v9, vcc_lo, v13, v9
	v_add_co_ci_u32_e32 v10, vcc_lo, 0, v10, vcc_lo
	s_delay_alu instid0(VALU_DEP_2) | instskip(NEXT) | instid1(VALU_DEP_2)
	v_add_co_u32 v27, vcc_lo, v27, v9
	v_add_co_ci_u32_e32 v26, vcc_lo, v26, v10, vcc_lo
	s_delay_alu instid0(VALU_DEP_2) | instskip(SKIP_1) | instid1(VALU_DEP_3)
	v_mul_lo_u32 v13, v25, v27
	v_mad_u64_u32 v[9:10], null, v24, v27, 0
	v_mul_lo_u32 v14, v24, v26
	s_delay_alu instid0(VALU_DEP_2) | instskip(SKIP_1) | instid1(VALU_DEP_3)
	v_mul_hi_u32 v25, v27, v9
	v_mad_u64_u32 v[15:16], null, v26, v9, 0
	v_add3_u32 v24, v10, v14, v13
	s_delay_alu instid0(VALU_DEP_1) | instskip(SKIP_2) | instid1(VALU_DEP_3)
	v_mad_u64_u32 v[13:14], null, v27, v24, 0
	v_mad_u64_u32 v[9:10], null, v26, v24, 0
	v_ashrrev_i32_e32 v24, 31, v2
	v_add_co_u32 v13, vcc_lo, v25, v13
	s_delay_alu instid0(VALU_DEP_4) | instskip(NEXT) | instid1(VALU_DEP_2)
	v_add_co_ci_u32_e32 v14, vcc_lo, 0, v14, vcc_lo
	v_add_co_u32 v13, vcc_lo, v13, v15
	s_delay_alu instid0(VALU_DEP_2) | instskip(SKIP_3) | instid1(VALU_DEP_4)
	v_add_co_ci_u32_e32 v13, vcc_lo, v14, v16, vcc_lo
	v_add_co_ci_u32_e32 v10, vcc_lo, 0, v10, vcc_lo
	v_add_co_u32 v1, vcc_lo, v1, v24
	v_add_co_ci_u32_e32 v2, vcc_lo, v2, v24, vcc_lo
	v_add_co_u32 v9, vcc_lo, v13, v9
	s_delay_alu instid0(VALU_DEP_4) | instskip(NEXT) | instid1(VALU_DEP_4)
	v_add_co_ci_u32_e32 v10, vcc_lo, 0, v10, vcc_lo
	v_xor_b32_e32 v15, v1, v24
	s_delay_alu instid0(VALU_DEP_3) | instskip(NEXT) | instid1(VALU_DEP_3)
	v_add_co_u32 v13, vcc_lo, v27, v9
	v_add_co_ci_u32_e32 v16, vcc_lo, v26, v10, vcc_lo
	v_xor_b32_e32 v25, v2, v24
	s_delay_alu instid0(VALU_DEP_3) | instskip(NEXT) | instid1(VALU_DEP_3)
	v_mul_hi_u32 v26, v15, v13
	v_mad_u64_u32 v[1:2], null, v15, v16, 0
	s_delay_alu instid0(VALU_DEP_3) | instskip(SKIP_1) | instid1(VALU_DEP_3)
	v_mad_u64_u32 v[9:10], null, v25, v13, 0
	v_mad_u64_u32 v[13:14], null, v25, v16, 0
	v_add_co_u32 v1, vcc_lo, v26, v1
	s_delay_alu instid0(VALU_DEP_4) | instskip(NEXT) | instid1(VALU_DEP_2)
	v_add_co_ci_u32_e32 v2, vcc_lo, 0, v2, vcc_lo
	v_add_co_u32 v1, vcc_lo, v1, v9
	s_delay_alu instid0(VALU_DEP_2) | instskip(SKIP_1) | instid1(VALU_DEP_2)
	v_add_co_ci_u32_e32 v1, vcc_lo, v2, v10, vcc_lo
	v_add_co_ci_u32_e32 v2, vcc_lo, 0, v14, vcc_lo
	v_add_co_u32 v9, vcc_lo, v1, v13
	s_delay_alu instid0(VALU_DEP_2) | instskip(NEXT) | instid1(VALU_DEP_2)
	v_add_co_ci_u32_e32 v10, vcc_lo, 0, v2, vcc_lo
	v_mul_lo_u32 v13, v22, v9
	v_mad_u64_u32 v[1:2], null, v21, v9, 0
	s_delay_alu instid0(VALU_DEP_3) | instskip(NEXT) | instid1(VALU_DEP_2)
	v_mul_lo_u32 v14, v21, v10
	v_sub_co_u32 v1, vcc_lo, v15, v1
	s_delay_alu instid0(VALU_DEP_2) | instskip(NEXT) | instid1(VALU_DEP_1)
	v_add3_u32 v2, v2, v14, v13
	v_sub_nc_u32_e32 v13, v25, v2
	s_delay_alu instid0(VALU_DEP_1) | instskip(SKIP_1) | instid1(VALU_DEP_1)
	v_sub_co_ci_u32_e64 v13, s2, v13, v22, vcc_lo
	v_add_co_u32 v14, s2, v9, 2
	v_add_co_ci_u32_e64 v15, s2, 0, v10, s2
	v_sub_co_u32 v16, s2, v1, v21
	v_sub_co_ci_u32_e32 v2, vcc_lo, v25, v2, vcc_lo
	v_subrev_co_ci_u32_e64 v13, s2, 0, v13, s2
	s_delay_alu instid0(VALU_DEP_3) | instskip(NEXT) | instid1(VALU_DEP_3)
	v_cmp_ge_u32_e32 vcc_lo, v16, v21
	v_cmp_eq_u32_e64 s2, v2, v22
	v_cndmask_b32_e64 v16, 0, -1, vcc_lo
	s_delay_alu instid0(VALU_DEP_4)
	v_cmp_ge_u32_e32 vcc_lo, v13, v22
	v_cndmask_b32_e64 v25, 0, -1, vcc_lo
	v_cmp_ge_u32_e32 vcc_lo, v1, v21
	v_cndmask_b32_e64 v1, 0, -1, vcc_lo
	v_cmp_ge_u32_e32 vcc_lo, v2, v22
	v_cndmask_b32_e64 v21, 0, -1, vcc_lo
	v_cmp_eq_u32_e32 vcc_lo, v13, v22
	s_delay_alu instid0(VALU_DEP_2) | instskip(SKIP_3) | instid1(VALU_DEP_3)
	v_cndmask_b32_e64 v1, v21, v1, s2
	v_cndmask_b32_e32 v13, v25, v16, vcc_lo
	v_add_co_u32 v16, vcc_lo, v9, 1
	v_add_co_ci_u32_e32 v25, vcc_lo, 0, v10, vcc_lo
	v_cmp_ne_u32_e32 vcc_lo, 0, v13
	s_delay_alu instid0(VALU_DEP_2) | instskip(SKIP_2) | instid1(VALU_DEP_3)
	v_dual_cndmask_b32 v2, v25, v15 :: v_dual_cndmask_b32 v13, v16, v14
	v_cmp_ne_u32_e32 vcc_lo, 0, v1
	v_xor_b32_e32 v1, v24, v18
	v_dual_cndmask_b32 v9, v9, v13 :: v_dual_cndmask_b32 v2, v10, v2
                                        ; implicit-def: $vgpr13_vgpr14
	s_delay_alu instid0(VALU_DEP_1) | instskip(NEXT) | instid1(VALU_DEP_2)
	v_xor_b32_e32 v9, v9, v1
	v_xor_b32_e32 v2, v2, v1
	s_delay_alu instid0(VALU_DEP_2) | instskip(NEXT) | instid1(VALU_DEP_2)
	v_sub_co_u32 v9, vcc_lo, v9, v1
	v_sub_co_ci_u32_e32 v10, vcc_lo, v2, v1, vcc_lo
.LBB87_14:                              ;   in Loop: Header=BB87_4 Depth=1
	s_and_not1_saveexec_b32 s2, s25
	s_cbranch_execz .LBB87_16
; %bb.15:                               ;   in Loop: Header=BB87_4 Depth=1
	v_cvt_f32_u32_e32 v2, v13
	v_sub_nc_u32_e32 v9, 0, v13
	s_delay_alu instid0(VALU_DEP_2) | instskip(SKIP_2) | instid1(VALU_DEP_1)
	v_rcp_iflag_f32_e32 v2, v2
	s_waitcnt_depctr 0xfff
	v_mul_f32_e32 v2, 0x4f7ffffe, v2
	v_cvt_u32_f32_e32 v2, v2
	s_delay_alu instid0(VALU_DEP_1) | instskip(NEXT) | instid1(VALU_DEP_1)
	v_mul_lo_u32 v9, v9, v2
	v_mul_hi_u32 v9, v2, v9
	s_delay_alu instid0(VALU_DEP_1) | instskip(NEXT) | instid1(VALU_DEP_1)
	v_add_nc_u32_e32 v2, v2, v9
	v_mul_hi_u32 v2, v1, v2
	s_delay_alu instid0(VALU_DEP_1) | instskip(NEXT) | instid1(VALU_DEP_1)
	v_mul_lo_u32 v9, v2, v13
	v_sub_nc_u32_e32 v1, v1, v9
	v_add_nc_u32_e32 v9, 1, v2
	s_delay_alu instid0(VALU_DEP_2) | instskip(SKIP_1) | instid1(VALU_DEP_2)
	v_sub_nc_u32_e32 v10, v1, v13
	v_cmp_ge_u32_e32 vcc_lo, v1, v13
	v_cndmask_b32_e32 v1, v1, v10, vcc_lo
	v_mov_b32_e32 v10, v17
	v_cndmask_b32_e32 v2, v2, v9, vcc_lo
	s_delay_alu instid0(VALU_DEP_3) | instskip(NEXT) | instid1(VALU_DEP_2)
	v_cmp_ge_u32_e32 vcc_lo, v1, v13
	v_add_nc_u32_e32 v9, 1, v2
	s_delay_alu instid0(VALU_DEP_1)
	v_cndmask_b32_e32 v9, v2, v9, vcc_lo
.LBB87_16:                              ;   in Loop: Header=BB87_4 Depth=1
	s_or_b32 exec_lo, exec_lo, s2
	v_mul_lo_u32 v12, v12, s10
	v_mul_lo_u32 v13, v11, s11
	v_mad_u64_u32 v[1:2], null, v11, s10, 0
	s_mov_b32 s2, exec_lo
	s_delay_alu instid0(VALU_DEP_1) | instskip(NEXT) | instid1(VALU_DEP_1)
	v_add3_u32 v2, v2, v13, v12
	v_or_b32_e32 v18, v4, v2
	s_delay_alu instid0(VALU_DEP_1)
	v_cmpx_ne_u64_e32 0, v[17:18]
	s_xor_b32 s25, exec_lo, s2
	s_cbranch_execz .LBB87_18
; %bb.17:                               ;   in Loop: Header=BB87_4 Depth=1
	v_ashrrev_i32_e32 v15, 31, v2
	s_delay_alu instid0(VALU_DEP_1) | instskip(SKIP_1) | instid1(VALU_DEP_2)
	v_add_co_u32 v1, vcc_lo, v1, v15
	v_add_co_ci_u32_e32 v2, vcc_lo, v2, v15, vcc_lo
	v_xor_b32_e32 v16, v1, v15
	s_delay_alu instid0(VALU_DEP_2) | instskip(NEXT) | instid1(VALU_DEP_2)
	v_xor_b32_e32 v18, v2, v15
	v_cvt_f32_u32_e32 v1, v16
	v_sub_co_u32 v21, vcc_lo, 0, v16
	s_delay_alu instid0(VALU_DEP_3) | instskip(SKIP_1) | instid1(VALU_DEP_2)
	v_cvt_f32_u32_e32 v2, v18
	v_sub_co_ci_u32_e32 v22, vcc_lo, 0, v18, vcc_lo
	v_fmac_f32_e32 v1, 0x4f800000, v2
	s_delay_alu instid0(VALU_DEP_1) | instskip(SKIP_2) | instid1(VALU_DEP_1)
	v_rcp_f32_e32 v1, v1
	s_waitcnt_depctr 0xfff
	v_mul_f32_e32 v1, 0x5f7ffffc, v1
	v_mul_f32_e32 v2, 0x2f800000, v1
	s_delay_alu instid0(VALU_DEP_1) | instskip(NEXT) | instid1(VALU_DEP_1)
	v_trunc_f32_e32 v2, v2
	v_fmac_f32_e32 v1, 0xcf800000, v2
	v_cvt_u32_f32_e32 v24, v2
	s_delay_alu instid0(VALU_DEP_2) | instskip(NEXT) | instid1(VALU_DEP_2)
	v_cvt_u32_f32_e32 v25, v1
	v_mul_lo_u32 v11, v21, v24
	s_delay_alu instid0(VALU_DEP_2) | instskip(SKIP_1) | instid1(VALU_DEP_1)
	v_mul_lo_u32 v12, v22, v25
	v_mad_u64_u32 v[1:2], null, v21, v25, 0
	v_add3_u32 v26, v2, v11, v12
	s_delay_alu instid0(VALU_DEP_2) | instskip(SKIP_1) | instid1(VALU_DEP_3)
	v_mul_hi_u32 v27, v25, v1
	v_mad_u64_u32 v[13:14], null, v24, v1, 0
	v_mad_u64_u32 v[11:12], null, v25, v26, 0
	;; [unrolled: 1-line block ×3, first 2 shown]
	s_delay_alu instid0(VALU_DEP_2) | instskip(NEXT) | instid1(VALU_DEP_3)
	v_add_co_u32 v11, vcc_lo, v27, v11
	v_add_co_ci_u32_e32 v12, vcc_lo, 0, v12, vcc_lo
	s_delay_alu instid0(VALU_DEP_2) | instskip(NEXT) | instid1(VALU_DEP_2)
	v_add_co_u32 v11, vcc_lo, v11, v13
	v_add_co_ci_u32_e32 v11, vcc_lo, v12, v14, vcc_lo
	v_add_co_ci_u32_e32 v2, vcc_lo, 0, v2, vcc_lo
	s_delay_alu instid0(VALU_DEP_2) | instskip(NEXT) | instid1(VALU_DEP_2)
	v_add_co_u32 v1, vcc_lo, v11, v1
	v_add_co_ci_u32_e32 v2, vcc_lo, 0, v2, vcc_lo
	s_delay_alu instid0(VALU_DEP_2) | instskip(NEXT) | instid1(VALU_DEP_2)
	v_add_co_u32 v25, vcc_lo, v25, v1
	v_add_co_ci_u32_e32 v24, vcc_lo, v24, v2, vcc_lo
	s_delay_alu instid0(VALU_DEP_2) | instskip(SKIP_1) | instid1(VALU_DEP_3)
	v_mul_lo_u32 v11, v22, v25
	v_mad_u64_u32 v[1:2], null, v21, v25, 0
	v_mul_lo_u32 v12, v21, v24
	s_delay_alu instid0(VALU_DEP_2) | instskip(SKIP_1) | instid1(VALU_DEP_3)
	v_mul_hi_u32 v22, v25, v1
	v_mad_u64_u32 v[13:14], null, v24, v1, 0
	v_add3_u32 v21, v2, v12, v11
	s_delay_alu instid0(VALU_DEP_1) | instskip(SKIP_2) | instid1(VALU_DEP_3)
	v_mad_u64_u32 v[11:12], null, v25, v21, 0
	v_mad_u64_u32 v[1:2], null, v24, v21, 0
	v_ashrrev_i32_e32 v21, 31, v4
	v_add_co_u32 v11, vcc_lo, v22, v11
	s_delay_alu instid0(VALU_DEP_4) | instskip(NEXT) | instid1(VALU_DEP_2)
	v_add_co_ci_u32_e32 v12, vcc_lo, 0, v12, vcc_lo
	v_add_co_u32 v11, vcc_lo, v11, v13
	s_delay_alu instid0(VALU_DEP_2) | instskip(SKIP_3) | instid1(VALU_DEP_4)
	v_add_co_ci_u32_e32 v11, vcc_lo, v12, v14, vcc_lo
	v_add_co_ci_u32_e32 v2, vcc_lo, 0, v2, vcc_lo
	v_add_co_u32 v3, vcc_lo, v3, v21
	v_add_co_ci_u32_e32 v4, vcc_lo, v4, v21, vcc_lo
	v_add_co_u32 v1, vcc_lo, v11, v1
	s_delay_alu instid0(VALU_DEP_4) | instskip(NEXT) | instid1(VALU_DEP_4)
	v_add_co_ci_u32_e32 v2, vcc_lo, 0, v2, vcc_lo
	v_xor_b32_e32 v13, v3, v21
	s_delay_alu instid0(VALU_DEP_3) | instskip(NEXT) | instid1(VALU_DEP_3)
	v_add_co_u32 v11, vcc_lo, v25, v1
	v_add_co_ci_u32_e32 v14, vcc_lo, v24, v2, vcc_lo
	v_xor_b32_e32 v22, v4, v21
	s_delay_alu instid0(VALU_DEP_3) | instskip(NEXT) | instid1(VALU_DEP_3)
	v_mul_hi_u32 v24, v13, v11
	v_mad_u64_u32 v[1:2], null, v13, v14, 0
	s_delay_alu instid0(VALU_DEP_3) | instskip(SKIP_1) | instid1(VALU_DEP_3)
	v_mad_u64_u32 v[3:4], null, v22, v11, 0
	v_mad_u64_u32 v[11:12], null, v22, v14, 0
	v_add_co_u32 v1, vcc_lo, v24, v1
	s_delay_alu instid0(VALU_DEP_4) | instskip(NEXT) | instid1(VALU_DEP_2)
	v_add_co_ci_u32_e32 v2, vcc_lo, 0, v2, vcc_lo
	v_add_co_u32 v1, vcc_lo, v1, v3
	s_delay_alu instid0(VALU_DEP_2) | instskip(SKIP_1) | instid1(VALU_DEP_2)
	v_add_co_ci_u32_e32 v1, vcc_lo, v2, v4, vcc_lo
	v_add_co_ci_u32_e32 v2, vcc_lo, 0, v12, vcc_lo
	v_add_co_u32 v3, vcc_lo, v1, v11
	s_delay_alu instid0(VALU_DEP_2) | instskip(NEXT) | instid1(VALU_DEP_2)
	v_add_co_ci_u32_e32 v4, vcc_lo, 0, v2, vcc_lo
	v_mul_lo_u32 v11, v18, v3
	v_mad_u64_u32 v[1:2], null, v16, v3, 0
	s_delay_alu instid0(VALU_DEP_3) | instskip(NEXT) | instid1(VALU_DEP_2)
	v_mul_lo_u32 v12, v16, v4
	v_sub_co_u32 v1, vcc_lo, v13, v1
	s_delay_alu instid0(VALU_DEP_2) | instskip(NEXT) | instid1(VALU_DEP_1)
	v_add3_u32 v2, v2, v12, v11
	v_sub_nc_u32_e32 v11, v22, v2
	s_delay_alu instid0(VALU_DEP_1) | instskip(SKIP_1) | instid1(VALU_DEP_1)
	v_sub_co_ci_u32_e64 v11, s2, v11, v18, vcc_lo
	v_add_co_u32 v12, s2, v3, 2
	v_add_co_ci_u32_e64 v13, s2, 0, v4, s2
	v_sub_co_u32 v14, s2, v1, v16
	v_sub_co_ci_u32_e32 v2, vcc_lo, v22, v2, vcc_lo
	v_subrev_co_ci_u32_e64 v11, s2, 0, v11, s2
	s_delay_alu instid0(VALU_DEP_3) | instskip(NEXT) | instid1(VALU_DEP_3)
	v_cmp_ge_u32_e32 vcc_lo, v14, v16
	v_cmp_eq_u32_e64 s2, v2, v18
	v_cndmask_b32_e64 v14, 0, -1, vcc_lo
	s_delay_alu instid0(VALU_DEP_4)
	v_cmp_ge_u32_e32 vcc_lo, v11, v18
	v_cndmask_b32_e64 v22, 0, -1, vcc_lo
	v_cmp_ge_u32_e32 vcc_lo, v1, v16
	v_cndmask_b32_e64 v1, 0, -1, vcc_lo
	;; [unrolled: 2-line block ×3, first 2 shown]
	v_cmp_eq_u32_e32 vcc_lo, v11, v18
	s_delay_alu instid0(VALU_DEP_2) | instskip(SKIP_3) | instid1(VALU_DEP_3)
	v_cndmask_b32_e64 v1, v16, v1, s2
	v_cndmask_b32_e32 v11, v22, v14, vcc_lo
	v_add_co_u32 v14, vcc_lo, v3, 1
	v_add_co_ci_u32_e32 v22, vcc_lo, 0, v4, vcc_lo
	v_cmp_ne_u32_e32 vcc_lo, 0, v11
	s_delay_alu instid0(VALU_DEP_2) | instskip(NEXT) | instid1(VALU_DEP_4)
	v_cndmask_b32_e32 v2, v22, v13, vcc_lo
	v_cndmask_b32_e32 v11, v14, v12, vcc_lo
	v_cmp_ne_u32_e32 vcc_lo, 0, v1
	v_xor_b32_e32 v1, v21, v15
	s_delay_alu instid0(VALU_DEP_3) | instskip(NEXT) | instid1(VALU_DEP_1)
	v_dual_cndmask_b32 v3, v3, v11 :: v_dual_cndmask_b32 v2, v4, v2
	v_xor_b32_e32 v3, v3, v1
	s_delay_alu instid0(VALU_DEP_2) | instskip(NEXT) | instid1(VALU_DEP_2)
	v_xor_b32_e32 v2, v2, v1
	v_sub_co_u32 v11, vcc_lo, v3, v1
	s_delay_alu instid0(VALU_DEP_2)
	v_sub_co_ci_u32_e32 v12, vcc_lo, v2, v1, vcc_lo
                                        ; implicit-def: $vgpr1_vgpr2
                                        ; implicit-def: $vgpr3_vgpr4
.LBB87_18:                              ;   in Loop: Header=BB87_4 Depth=1
	s_and_not1_saveexec_b32 s2, s25
	s_cbranch_execz .LBB87_3
; %bb.19:                               ;   in Loop: Header=BB87_4 Depth=1
	v_cvt_f32_u32_e32 v2, v1
	v_sub_nc_u32_e32 v4, 0, v1
	v_mov_b32_e32 v12, v17
	s_delay_alu instid0(VALU_DEP_3) | instskip(SKIP_2) | instid1(VALU_DEP_1)
	v_rcp_iflag_f32_e32 v2, v2
	s_waitcnt_depctr 0xfff
	v_mul_f32_e32 v2, 0x4f7ffffe, v2
	v_cvt_u32_f32_e32 v2, v2
	s_delay_alu instid0(VALU_DEP_1) | instskip(NEXT) | instid1(VALU_DEP_1)
	v_mul_lo_u32 v4, v4, v2
	v_mul_hi_u32 v4, v2, v4
	s_delay_alu instid0(VALU_DEP_1) | instskip(NEXT) | instid1(VALU_DEP_1)
	v_add_nc_u32_e32 v2, v2, v4
	v_mul_hi_u32 v2, v3, v2
	s_delay_alu instid0(VALU_DEP_1) | instskip(NEXT) | instid1(VALU_DEP_1)
	v_mul_lo_u32 v4, v2, v1
	v_sub_nc_u32_e32 v3, v3, v4
	v_add_nc_u32_e32 v4, 1, v2
	s_delay_alu instid0(VALU_DEP_2) | instskip(SKIP_1) | instid1(VALU_DEP_2)
	v_sub_nc_u32_e32 v11, v3, v1
	v_cmp_ge_u32_e32 vcc_lo, v3, v1
	v_dual_cndmask_b32 v3, v3, v11 :: v_dual_cndmask_b32 v2, v2, v4
	s_delay_alu instid0(VALU_DEP_1) | instskip(NEXT) | instid1(VALU_DEP_2)
	v_cmp_ge_u32_e32 vcc_lo, v3, v1
	v_add_nc_u32_e32 v4, 1, v2
	s_delay_alu instid0(VALU_DEP_1)
	v_cndmask_b32_e32 v11, v2, v4, vcc_lo
	s_branch .LBB87_3
.LBB87_20:
	s_or_b32 exec_lo, exec_lo, s21
	s_mov_b32 s2, 0
.LBB87_21:
	s_delay_alu instid0(SALU_CYCLE_1)
	s_and_not1_b32 vcc_lo, exec_lo, s2
	s_cbranch_vccnz .LBB87_57
; %bb.22:
	v_cmp_lt_i64_e64 s2, s[8:9], 1
	s_delay_alu instid0(VALU_DEP_1)
	s_and_b32 vcc_lo, exec_lo, s2
	s_cbranch_vccnz .LBB87_57
; %bb.23:
	s_load_b32 s0, s[0:1], 0xc64
	v_dual_mov_b32 v1, 0 :: v_dual_lshlrev_b32 v2, 3, v0
	v_cmp_gt_u64_e64 s1, 0x10000, s[8:9]
	s_delay_alu instid0(VALU_DEP_2) | instskip(NEXT) | instid1(VALU_DEP_1)
	v_add_co_u32 v21, s2, s4, v2
	v_add_co_ci_u32_e64 v22, null, s5, 0, s2
	v_add_co_u32 v23, s2, s14, v2
	s_delay_alu instid0(VALU_DEP_1) | instskip(SKIP_1) | instid1(VALU_DEP_1)
	v_add_co_ci_u32_e64 v24, null, s15, 0, s2
	v_add_co_u32 v25, s2, s16, v2
	v_add_co_ci_u32_e64 v26, null, s17, 0, s2
	s_waitcnt lgkmcnt(0)
	s_and_b32 s0, s0, 0xffff
	s_and_b32 s1, s1, exec_lo
	s_mul_i32 s2, s0, 3
	s_cselect_b32 s13, s9, 0
	v_add_co_u32 v33, s2, s2, v0
	s_delay_alu instid0(VALU_DEP_1)
	v_add_co_ci_u32_e64 v34, null, 0, 0, s2
	v_add_co_u32 v39, s2, v0, s0
	v_mov_b32_e32 v3, v1
	s_cselect_b32 s12, s8, 0x10000
	s_lshl_b32 s3, s0, 4
	s_lshl_b32 s1, s0, 1
	v_add_co_ci_u32_e64 v42, null, 0, 0, s2
	v_mad_u64_u32 v[4:5], null, s0, 24, v[2:3]
	v_add_co_u32 v2, s3, s3, v2
	s_delay_alu instid0(VALU_DEP_1) | instskip(SKIP_1) | instid1(VALU_DEP_4)
	v_add_co_ci_u32_e64 v3, null, 0, 0, s3
	v_add_co_u32 v43, s1, s1, v0
	v_add_co_u32 v27, vcc_lo, s4, v4
	v_add_co_ci_u32_e32 v28, vcc_lo, s5, v5, vcc_lo
	v_add_co_u32 v29, vcc_lo, s14, v4
	v_add_co_ci_u32_e32 v30, vcc_lo, s15, v5, vcc_lo
	;; [unrolled: 2-line block ×5, first 2 shown]
	v_add_co_u32 v40, vcc_lo, s16, v2
	v_lshlrev_b32_e32 v2, 3, v39
	v_add_co_ci_u32_e64 v44, null, 0, 0, s1
	v_add_co_ci_u32_e32 v41, vcc_lo, s17, v3, vcc_lo
	s_delay_alu instid0(VALU_DEP_3) | instskip(NEXT) | instid1(VALU_DEP_1)
	v_add_co_u32 v45, s1, s4, v2
	v_add_co_ci_u32_e64 v46, null, s5, 0, s1
	v_add_co_u32 v47, s1, s14, v2
	s_delay_alu instid0(VALU_DEP_1) | instskip(SKIP_1) | instid1(VALU_DEP_1)
	v_add_co_ci_u32_e64 v48, null, s15, 0, s1
	v_add_co_u32 v49, s1, s16, v2
	v_add_co_ci_u32_e64 v50, null, s17, 0, s1
	s_lshl_b32 s5, s0, 2
	s_lshl_b32 s16, s0, 5
	s_mov_b64 s[14:15], 0
	s_branch .LBB87_25
.LBB87_24:                              ;   in Loop: Header=BB87_25 Depth=1
	s_or_b32 exec_lo, exec_lo, s0
	v_add_co_u32 v21, vcc_lo, v21, s16
	v_add_co_ci_u32_e32 v22, vcc_lo, 0, v22, vcc_lo
	v_add_co_u32 v23, vcc_lo, v23, s16
	v_add_co_ci_u32_e32 v24, vcc_lo, 0, v24, vcc_lo
	;; [unrolled: 2-line block ×9, first 2 shown]
	s_add_u32 s14, s14, s5
	v_add_co_u32 v45, vcc_lo, v45, s16
	s_addc_u32 s15, s15, 0
	v_add_co_ci_u32_e32 v46, vcc_lo, 0, v46, vcc_lo
	v_cmp_ge_i64_e64 s0, s[14:15], s[8:9]
	v_cmp_lt_u64_e64 s1, 0xffff, s[14:15]
	v_add_co_u32 v47, vcc_lo, v47, s16
	v_add_co_ci_u32_e32 v48, vcc_lo, 0, v48, vcc_lo
	v_add_co_u32 v49, vcc_lo, v49, s16
	v_add_co_ci_u32_e32 v50, vcc_lo, 0, v50, vcc_lo
	s_or_b32 s0, s0, s1
	s_delay_alu instid0(SALU_CYCLE_1)
	s_and_b32 vcc_lo, exec_lo, s0
	s_cbranch_vccnz .LBB87_57
.LBB87_25:                              ; =>This Inner Loop Header: Depth=1
	v_add_co_u32 v2, s0, v0, s14
	s_delay_alu instid0(VALU_DEP_1) | instskip(SKIP_2) | instid1(VALU_DEP_2)
	v_add_co_ci_u32_e64 v3, null, 0, s15, s0
	v_mov_b32_e32 v17, 0
	v_mov_b32_e32 v18, 0
	;; [unrolled: 1-line block ×3, first 2 shown]
	s_delay_alu instid0(VALU_DEP_4) | instskip(NEXT) | instid1(VALU_DEP_3)
	v_cmp_gt_u64_e64 s3, s[12:13], v[2:3]
	v_dual_mov_b32 v3, v17 :: v_dual_mov_b32 v4, v18
	v_mov_b32_e32 v6, v18
	s_delay_alu instid0(VALU_DEP_3)
	s_and_saveexec_b32 s0, s3
	s_cbranch_execz .LBB87_27
; %bb.26:                               ;   in Loop: Header=BB87_25 Depth=1
	v_add_co_u32 v2, vcc_lo, v21, s6
	v_add_co_ci_u32_e32 v3, vcc_lo, s7, v22, vcc_lo
	v_add_co_u32 v5, vcc_lo, v23, s6
	v_add_co_ci_u32_e32 v6, vcc_lo, s7, v24, vcc_lo
	global_load_b64 v[3:4], v[2:3], off
	global_load_b64 v[5:6], v[5:6], off
.LBB87_27:                              ;   in Loop: Header=BB87_25 Depth=1
	s_or_b32 exec_lo, exec_lo, s0
	v_add_co_u32 v7, vcc_lo, v39, s14
	v_add_co_ci_u32_e32 v8, vcc_lo, s15, v42, vcc_lo
	s_delay_alu instid0(VALU_DEP_1) | instskip(SKIP_1) | instid1(VALU_DEP_2)
	v_cmp_gt_u64_e64 s0, s[12:13], v[7:8]
	v_dual_mov_b32 v7, v17 :: v_dual_mov_b32 v8, v18
	s_and_saveexec_b32 s1, s0
	s_cbranch_execz .LBB87_29
; %bb.28:                               ;   in Loop: Header=BB87_25 Depth=1
	v_add_co_u32 v7, vcc_lo, v45, s6
	v_add_co_ci_u32_e32 v8, vcc_lo, s7, v46, vcc_lo
	v_add_co_u32 v9, vcc_lo, v47, s6
	v_add_co_ci_u32_e32 v10, vcc_lo, s7, v48, vcc_lo
	global_load_b64 v[17:18], v[7:8], off
	global_load_b64 v[7:8], v[9:10], off
.LBB87_29:                              ;   in Loop: Header=BB87_25 Depth=1
	s_or_b32 exec_lo, exec_lo, s1
	v_add_co_u32 v11, vcc_lo, v43, s14
	v_add_co_ci_u32_e32 v12, vcc_lo, s15, v44, vcc_lo
	v_mov_b32_e32 v9, 0
	v_mov_b32_e32 v10, 0
	s_delay_alu instid0(VALU_DEP_3) | instskip(NEXT) | instid1(VALU_DEP_2)
	v_cmp_gt_u64_e64 s1, s[12:13], v[11:12]
	v_dual_mov_b32 v16, v10 :: v_dual_mov_b32 v15, v9
	v_dual_mov_b32 v12, v10 :: v_dual_mov_b32 v11, v9
	s_delay_alu instid0(VALU_DEP_3)
	s_and_saveexec_b32 s2, s1
	s_cbranch_execz .LBB87_31
; %bb.30:                               ;   in Loop: Header=BB87_25 Depth=1
	v_add_co_u32 v11, vcc_lo, v35, s6
	v_add_co_ci_u32_e32 v12, vcc_lo, s7, v36, vcc_lo
	v_add_co_u32 v13, vcc_lo, v37, s6
	v_add_co_ci_u32_e32 v14, vcc_lo, s7, v38, vcc_lo
	global_load_b64 v[15:16], v[11:12], off
	global_load_b64 v[11:12], v[13:14], off
.LBB87_31:                              ;   in Loop: Header=BB87_25 Depth=1
	s_or_b32 exec_lo, exec_lo, s2
	v_add_co_u32 v13, vcc_lo, v33, s14
	v_add_co_ci_u32_e32 v14, vcc_lo, s15, v34, vcc_lo
	s_delay_alu instid0(VALU_DEP_1) | instskip(SKIP_1) | instid1(VALU_DEP_2)
	v_cmp_gt_u64_e64 s2, s[12:13], v[13:14]
	v_dual_mov_b32 v14, v10 :: v_dual_mov_b32 v13, v9
	s_and_saveexec_b32 s4, s2
	s_cbranch_execz .LBB87_33
; %bb.32:                               ;   in Loop: Header=BB87_25 Depth=1
	v_add_co_u32 v9, vcc_lo, v27, s6
	v_add_co_ci_u32_e32 v10, vcc_lo, s7, v28, vcc_lo
	v_add_co_u32 v13, vcc_lo, v29, s6
	v_add_co_ci_u32_e32 v14, vcc_lo, s7, v30, vcc_lo
	global_load_b64 v[9:10], v[9:10], off
	global_load_b64 v[13:14], v[13:14], off
.LBB87_33:                              ;   in Loop: Header=BB87_25 Depth=1
	s_or_b32 exec_lo, exec_lo, s4
	s_waitcnt vmcnt(0)
	v_mul_lo_u32 v2, v8, s10
	v_mul_lo_u32 v8, v7, s11
	v_mad_u64_u32 v[19:20], null, v7, s10, 0
	s_mov_b32 s4, exec_lo
	s_delay_alu instid0(VALU_DEP_1) | instskip(NEXT) | instid1(VALU_DEP_1)
	v_add3_u32 v20, v20, v8, v2
                                        ; implicit-def: $vgpr7_vgpr8
	v_or_b32_e32 v2, v18, v20
	s_delay_alu instid0(VALU_DEP_1)
	v_cmpx_ne_u64_e32 0, v[1:2]
	s_xor_b32 s17, exec_lo, s4
	s_cbranch_execz .LBB87_35
; %bb.34:                               ;   in Loop: Header=BB87_25 Depth=1
	v_ashrrev_i32_e32 v2, 31, v20
	s_delay_alu instid0(VALU_DEP_1) | instskip(SKIP_1) | instid1(VALU_DEP_2)
	v_add_co_u32 v7, vcc_lo, v19, v2
	v_add_co_ci_u32_e32 v8, vcc_lo, v20, v2, vcc_lo
	v_xor_b32_e32 v53, v7, v2
	s_delay_alu instid0(VALU_DEP_2) | instskip(NEXT) | instid1(VALU_DEP_2)
	v_xor_b32_e32 v54, v8, v2
	v_cvt_f32_u32_e32 v7, v53
	v_sub_co_u32 v55, vcc_lo, 0, v53
	s_delay_alu instid0(VALU_DEP_3) | instskip(SKIP_1) | instid1(VALU_DEP_2)
	v_cvt_f32_u32_e32 v8, v54
	v_sub_co_ci_u32_e32 v56, vcc_lo, 0, v54, vcc_lo
	v_fmac_f32_e32 v7, 0x4f800000, v8
	s_delay_alu instid0(VALU_DEP_1) | instskip(SKIP_2) | instid1(VALU_DEP_1)
	v_rcp_f32_e32 v7, v7
	s_waitcnt_depctr 0xfff
	v_mul_f32_e32 v7, 0x5f7ffffc, v7
	v_mul_f32_e32 v8, 0x2f800000, v7
	s_delay_alu instid0(VALU_DEP_1) | instskip(NEXT) | instid1(VALU_DEP_1)
	v_trunc_f32_e32 v8, v8
	v_fmac_f32_e32 v7, 0xcf800000, v8
	v_cvt_u32_f32_e32 v57, v8
	s_delay_alu instid0(VALU_DEP_2) | instskip(NEXT) | instid1(VALU_DEP_2)
	v_cvt_u32_f32_e32 v58, v7
	v_mul_lo_u32 v19, v55, v57
	s_delay_alu instid0(VALU_DEP_2) | instskip(SKIP_1) | instid1(VALU_DEP_1)
	v_mul_lo_u32 v20, v56, v58
	v_mad_u64_u32 v[7:8], null, v55, v58, 0
	v_add3_u32 v59, v8, v19, v20
	s_delay_alu instid0(VALU_DEP_2) | instskip(SKIP_1) | instid1(VALU_DEP_3)
	v_mul_hi_u32 v60, v58, v7
	v_mad_u64_u32 v[51:52], null, v57, v7, 0
	v_mad_u64_u32 v[19:20], null, v58, v59, 0
	;; [unrolled: 1-line block ×3, first 2 shown]
	s_delay_alu instid0(VALU_DEP_2) | instskip(NEXT) | instid1(VALU_DEP_3)
	v_add_co_u32 v19, vcc_lo, v60, v19
	v_add_co_ci_u32_e32 v20, vcc_lo, 0, v20, vcc_lo
	s_delay_alu instid0(VALU_DEP_2) | instskip(NEXT) | instid1(VALU_DEP_2)
	v_add_co_u32 v19, vcc_lo, v19, v51
	v_add_co_ci_u32_e32 v19, vcc_lo, v20, v52, vcc_lo
	v_add_co_ci_u32_e32 v8, vcc_lo, 0, v8, vcc_lo
	s_delay_alu instid0(VALU_DEP_2) | instskip(NEXT) | instid1(VALU_DEP_2)
	v_add_co_u32 v7, vcc_lo, v19, v7
	v_add_co_ci_u32_e32 v8, vcc_lo, 0, v8, vcc_lo
	s_delay_alu instid0(VALU_DEP_2) | instskip(NEXT) | instid1(VALU_DEP_2)
	v_add_co_u32 v58, vcc_lo, v58, v7
	v_add_co_ci_u32_e32 v57, vcc_lo, v57, v8, vcc_lo
	s_delay_alu instid0(VALU_DEP_2) | instskip(SKIP_1) | instid1(VALU_DEP_3)
	v_mul_lo_u32 v19, v56, v58
	v_mad_u64_u32 v[7:8], null, v55, v58, 0
	v_mul_lo_u32 v20, v55, v57
	s_delay_alu instid0(VALU_DEP_2) | instskip(SKIP_1) | instid1(VALU_DEP_3)
	v_mul_hi_u32 v56, v58, v7
	v_mad_u64_u32 v[51:52], null, v57, v7, 0
	v_add3_u32 v55, v8, v20, v19
	s_delay_alu instid0(VALU_DEP_1) | instskip(SKIP_2) | instid1(VALU_DEP_3)
	v_mad_u64_u32 v[19:20], null, v58, v55, 0
	v_mad_u64_u32 v[7:8], null, v57, v55, 0
	v_ashrrev_i32_e32 v55, 31, v18
	v_add_co_u32 v19, vcc_lo, v56, v19
	s_delay_alu instid0(VALU_DEP_4) | instskip(NEXT) | instid1(VALU_DEP_3)
	v_add_co_ci_u32_e32 v20, vcc_lo, 0, v20, vcc_lo
	v_xor_b32_e32 v2, v55, v2
	s_delay_alu instid0(VALU_DEP_3) | instskip(NEXT) | instid1(VALU_DEP_3)
	v_add_co_u32 v19, vcc_lo, v19, v51
	v_add_co_ci_u32_e32 v19, vcc_lo, v20, v52, vcc_lo
	v_add_co_ci_u32_e32 v8, vcc_lo, 0, v8, vcc_lo
	v_add_co_u32 v17, vcc_lo, v17, v55
	v_add_co_ci_u32_e32 v18, vcc_lo, v18, v55, vcc_lo
	s_delay_alu instid0(VALU_DEP_4) | instskip(NEXT) | instid1(VALU_DEP_4)
	v_add_co_u32 v7, vcc_lo, v19, v7
	v_add_co_ci_u32_e32 v8, vcc_lo, 0, v8, vcc_lo
	s_delay_alu instid0(VALU_DEP_4) | instskip(NEXT) | instid1(VALU_DEP_3)
	v_xor_b32_e32 v51, v17, v55
	v_add_co_u32 v19, vcc_lo, v58, v7
	s_delay_alu instid0(VALU_DEP_3) | instskip(SKIP_1) | instid1(VALU_DEP_3)
	v_add_co_ci_u32_e32 v52, vcc_lo, v57, v8, vcc_lo
	v_xor_b32_e32 v56, v18, v55
	v_mul_hi_u32 v57, v51, v19
	s_delay_alu instid0(VALU_DEP_3) | instskip(NEXT) | instid1(VALU_DEP_3)
	v_mad_u64_u32 v[7:8], null, v51, v52, 0
	v_mad_u64_u32 v[17:18], null, v56, v19, 0
	;; [unrolled: 1-line block ×3, first 2 shown]
	s_delay_alu instid0(VALU_DEP_3) | instskip(NEXT) | instid1(VALU_DEP_4)
	v_add_co_u32 v7, vcc_lo, v57, v7
	v_add_co_ci_u32_e32 v8, vcc_lo, 0, v8, vcc_lo
	s_delay_alu instid0(VALU_DEP_2) | instskip(NEXT) | instid1(VALU_DEP_2)
	v_add_co_u32 v7, vcc_lo, v7, v17
	v_add_co_ci_u32_e32 v7, vcc_lo, v8, v18, vcc_lo
	v_add_co_ci_u32_e32 v8, vcc_lo, 0, v20, vcc_lo
	s_delay_alu instid0(VALU_DEP_2) | instskip(NEXT) | instid1(VALU_DEP_2)
	v_add_co_u32 v17, vcc_lo, v7, v19
	v_add_co_ci_u32_e32 v18, vcc_lo, 0, v8, vcc_lo
	s_delay_alu instid0(VALU_DEP_2) | instskip(SKIP_1) | instid1(VALU_DEP_3)
	v_mul_lo_u32 v19, v54, v17
	v_mad_u64_u32 v[7:8], null, v53, v17, 0
	v_mul_lo_u32 v20, v53, v18
	s_delay_alu instid0(VALU_DEP_2) | instskip(NEXT) | instid1(VALU_DEP_2)
	v_sub_co_u32 v7, vcc_lo, v51, v7
	v_add3_u32 v8, v8, v20, v19
	s_delay_alu instid0(VALU_DEP_1) | instskip(NEXT) | instid1(VALU_DEP_1)
	v_sub_nc_u32_e32 v19, v56, v8
	v_sub_co_ci_u32_e64 v19, s4, v19, v54, vcc_lo
	v_add_co_u32 v20, s4, v17, 2
	s_delay_alu instid0(VALU_DEP_1) | instskip(SKIP_3) | instid1(VALU_DEP_3)
	v_add_co_ci_u32_e64 v51, s4, 0, v18, s4
	v_sub_co_u32 v52, s4, v7, v53
	v_sub_co_ci_u32_e32 v8, vcc_lo, v56, v8, vcc_lo
	v_subrev_co_ci_u32_e64 v19, s4, 0, v19, s4
	v_cmp_ge_u32_e32 vcc_lo, v52, v53
	s_delay_alu instid0(VALU_DEP_3) | instskip(SKIP_1) | instid1(VALU_DEP_4)
	v_cmp_eq_u32_e64 s4, v8, v54
	v_cndmask_b32_e64 v52, 0, -1, vcc_lo
	v_cmp_ge_u32_e32 vcc_lo, v19, v54
	v_cndmask_b32_e64 v56, 0, -1, vcc_lo
	v_cmp_ge_u32_e32 vcc_lo, v7, v53
	;; [unrolled: 2-line block ×3, first 2 shown]
	v_cndmask_b32_e64 v53, 0, -1, vcc_lo
	v_cmp_eq_u32_e32 vcc_lo, v19, v54
	s_delay_alu instid0(VALU_DEP_2) | instskip(SKIP_3) | instid1(VALU_DEP_3)
	v_cndmask_b32_e64 v7, v53, v7, s4
	v_cndmask_b32_e32 v19, v56, v52, vcc_lo
	v_add_co_u32 v52, vcc_lo, v17, 1
	v_add_co_ci_u32_e32 v56, vcc_lo, 0, v18, vcc_lo
	v_cmp_ne_u32_e32 vcc_lo, 0, v19
	s_delay_alu instid0(VALU_DEP_2) | instskip(NEXT) | instid1(VALU_DEP_4)
	v_cndmask_b32_e32 v8, v56, v51, vcc_lo
	v_cndmask_b32_e32 v19, v52, v20, vcc_lo
	v_cmp_ne_u32_e32 vcc_lo, 0, v7
	s_delay_alu instid0(VALU_DEP_2) | instskip(NEXT) | instid1(VALU_DEP_1)
	v_dual_cndmask_b32 v7, v18, v8 :: v_dual_cndmask_b32 v8, v17, v19
                                        ; implicit-def: $vgpr19_vgpr20
	v_xor_b32_e32 v17, v7, v2
	s_delay_alu instid0(VALU_DEP_2) | instskip(NEXT) | instid1(VALU_DEP_1)
	v_xor_b32_e32 v8, v8, v2
	v_sub_co_u32 v7, vcc_lo, v8, v2
	s_delay_alu instid0(VALU_DEP_3)
	v_sub_co_ci_u32_e32 v8, vcc_lo, v17, v2, vcc_lo
                                        ; implicit-def: $vgpr17_vgpr18
.LBB87_35:                              ;   in Loop: Header=BB87_25 Depth=1
	s_and_not1_saveexec_b32 s4, s17
	s_cbranch_execz .LBB87_37
; %bb.36:                               ;   in Loop: Header=BB87_25 Depth=1
	v_cvt_f32_u32_e32 v2, v19
	v_sub_nc_u32_e32 v7, 0, v19
	s_delay_alu instid0(VALU_DEP_2) | instskip(SKIP_2) | instid1(VALU_DEP_1)
	v_rcp_iflag_f32_e32 v2, v2
	s_waitcnt_depctr 0xfff
	v_mul_f32_e32 v2, 0x4f7ffffe, v2
	v_cvt_u32_f32_e32 v2, v2
	s_delay_alu instid0(VALU_DEP_1) | instskip(NEXT) | instid1(VALU_DEP_1)
	v_mul_lo_u32 v7, v7, v2
	v_mul_hi_u32 v7, v2, v7
	s_delay_alu instid0(VALU_DEP_1) | instskip(NEXT) | instid1(VALU_DEP_1)
	v_add_nc_u32_e32 v2, v2, v7
	v_mul_hi_u32 v2, v17, v2
	s_delay_alu instid0(VALU_DEP_1) | instskip(SKIP_1) | instid1(VALU_DEP_2)
	v_mul_lo_u32 v7, v2, v19
	v_add_nc_u32_e32 v8, 1, v2
	v_sub_nc_u32_e32 v7, v17, v7
	s_delay_alu instid0(VALU_DEP_1) | instskip(SKIP_1) | instid1(VALU_DEP_2)
	v_sub_nc_u32_e32 v17, v7, v19
	v_cmp_ge_u32_e32 vcc_lo, v7, v19
	v_dual_cndmask_b32 v7, v7, v17 :: v_dual_cndmask_b32 v2, v2, v8
	s_delay_alu instid0(VALU_DEP_1) | instskip(NEXT) | instid1(VALU_DEP_2)
	v_cmp_ge_u32_e32 vcc_lo, v7, v19
	v_add_nc_u32_e32 v8, 1, v2
	s_delay_alu instid0(VALU_DEP_1)
	v_dual_cndmask_b32 v7, v2, v8 :: v_dual_mov_b32 v8, v1
.LBB87_37:                              ;   in Loop: Header=BB87_25 Depth=1
	s_or_b32 exec_lo, exec_lo, s4
	v_mul_lo_u32 v2, v12, s10
	v_mul_lo_u32 v12, v11, s11
	v_mad_u64_u32 v[17:18], null, v11, s10, 0
	s_mov_b32 s4, exec_lo
	s_delay_alu instid0(VALU_DEP_1) | instskip(NEXT) | instid1(VALU_DEP_1)
	v_add3_u32 v18, v18, v12, v2
                                        ; implicit-def: $vgpr11_vgpr12
	v_or_b32_e32 v2, v16, v18
	s_delay_alu instid0(VALU_DEP_1)
	v_cmpx_ne_u64_e32 0, v[1:2]
	s_xor_b32 s17, exec_lo, s4
	s_cbranch_execz .LBB87_39
; %bb.38:                               ;   in Loop: Header=BB87_25 Depth=1
	v_ashrrev_i32_e32 v2, 31, v18
	s_delay_alu instid0(VALU_DEP_1) | instskip(SKIP_1) | instid1(VALU_DEP_2)
	v_add_co_u32 v11, vcc_lo, v17, v2
	v_add_co_ci_u32_e32 v12, vcc_lo, v18, v2, vcc_lo
	v_xor_b32_e32 v51, v11, v2
	s_delay_alu instid0(VALU_DEP_2) | instskip(NEXT) | instid1(VALU_DEP_2)
	v_xor_b32_e32 v52, v12, v2
	v_cvt_f32_u32_e32 v11, v51
	v_sub_co_u32 v53, vcc_lo, 0, v51
	s_delay_alu instid0(VALU_DEP_3) | instskip(SKIP_1) | instid1(VALU_DEP_2)
	v_cvt_f32_u32_e32 v12, v52
	v_sub_co_ci_u32_e32 v54, vcc_lo, 0, v52, vcc_lo
	v_fmac_f32_e32 v11, 0x4f800000, v12
	s_delay_alu instid0(VALU_DEP_1) | instskip(SKIP_2) | instid1(VALU_DEP_1)
	v_rcp_f32_e32 v11, v11
	s_waitcnt_depctr 0xfff
	v_mul_f32_e32 v11, 0x5f7ffffc, v11
	v_mul_f32_e32 v12, 0x2f800000, v11
	s_delay_alu instid0(VALU_DEP_1) | instskip(NEXT) | instid1(VALU_DEP_1)
	v_trunc_f32_e32 v12, v12
	v_fmac_f32_e32 v11, 0xcf800000, v12
	v_cvt_u32_f32_e32 v55, v12
	s_delay_alu instid0(VALU_DEP_2) | instskip(NEXT) | instid1(VALU_DEP_2)
	v_cvt_u32_f32_e32 v56, v11
	v_mul_lo_u32 v17, v53, v55
	s_delay_alu instid0(VALU_DEP_2) | instskip(SKIP_1) | instid1(VALU_DEP_1)
	v_mul_lo_u32 v18, v54, v56
	v_mad_u64_u32 v[11:12], null, v53, v56, 0
	v_add3_u32 v57, v12, v17, v18
	s_delay_alu instid0(VALU_DEP_2) | instskip(SKIP_1) | instid1(VALU_DEP_3)
	v_mul_hi_u32 v58, v56, v11
	v_mad_u64_u32 v[19:20], null, v55, v11, 0
	v_mad_u64_u32 v[17:18], null, v56, v57, 0
	;; [unrolled: 1-line block ×3, first 2 shown]
	s_delay_alu instid0(VALU_DEP_2) | instskip(NEXT) | instid1(VALU_DEP_3)
	v_add_co_u32 v17, vcc_lo, v58, v17
	v_add_co_ci_u32_e32 v18, vcc_lo, 0, v18, vcc_lo
	s_delay_alu instid0(VALU_DEP_2) | instskip(NEXT) | instid1(VALU_DEP_2)
	v_add_co_u32 v17, vcc_lo, v17, v19
	v_add_co_ci_u32_e32 v17, vcc_lo, v18, v20, vcc_lo
	v_add_co_ci_u32_e32 v12, vcc_lo, 0, v12, vcc_lo
	s_delay_alu instid0(VALU_DEP_2) | instskip(NEXT) | instid1(VALU_DEP_2)
	v_add_co_u32 v11, vcc_lo, v17, v11
	v_add_co_ci_u32_e32 v12, vcc_lo, 0, v12, vcc_lo
	s_delay_alu instid0(VALU_DEP_2) | instskip(NEXT) | instid1(VALU_DEP_2)
	v_add_co_u32 v56, vcc_lo, v56, v11
	v_add_co_ci_u32_e32 v55, vcc_lo, v55, v12, vcc_lo
	s_delay_alu instid0(VALU_DEP_2) | instskip(SKIP_1) | instid1(VALU_DEP_3)
	v_mul_lo_u32 v17, v54, v56
	v_mad_u64_u32 v[11:12], null, v53, v56, 0
	v_mul_lo_u32 v18, v53, v55
	s_delay_alu instid0(VALU_DEP_2) | instskip(SKIP_1) | instid1(VALU_DEP_3)
	v_mul_hi_u32 v54, v56, v11
	v_mad_u64_u32 v[19:20], null, v55, v11, 0
	v_add3_u32 v53, v12, v18, v17
	s_delay_alu instid0(VALU_DEP_1) | instskip(SKIP_2) | instid1(VALU_DEP_3)
	v_mad_u64_u32 v[17:18], null, v56, v53, 0
	v_mad_u64_u32 v[11:12], null, v55, v53, 0
	v_ashrrev_i32_e32 v53, 31, v16
	v_add_co_u32 v17, vcc_lo, v54, v17
	s_delay_alu instid0(VALU_DEP_4) | instskip(NEXT) | instid1(VALU_DEP_3)
	v_add_co_ci_u32_e32 v18, vcc_lo, 0, v18, vcc_lo
	v_xor_b32_e32 v2, v53, v2
	s_delay_alu instid0(VALU_DEP_3) | instskip(NEXT) | instid1(VALU_DEP_3)
	v_add_co_u32 v17, vcc_lo, v17, v19
	v_add_co_ci_u32_e32 v17, vcc_lo, v18, v20, vcc_lo
	v_add_co_ci_u32_e32 v12, vcc_lo, 0, v12, vcc_lo
	v_add_co_u32 v15, vcc_lo, v15, v53
	v_add_co_ci_u32_e32 v16, vcc_lo, v16, v53, vcc_lo
	s_delay_alu instid0(VALU_DEP_4) | instskip(NEXT) | instid1(VALU_DEP_4)
	v_add_co_u32 v11, vcc_lo, v17, v11
	v_add_co_ci_u32_e32 v12, vcc_lo, 0, v12, vcc_lo
	s_delay_alu instid0(VALU_DEP_4) | instskip(NEXT) | instid1(VALU_DEP_3)
	v_xor_b32_e32 v19, v15, v53
	v_add_co_u32 v17, vcc_lo, v56, v11
	s_delay_alu instid0(VALU_DEP_3) | instskip(SKIP_1) | instid1(VALU_DEP_3)
	v_add_co_ci_u32_e32 v20, vcc_lo, v55, v12, vcc_lo
	v_xor_b32_e32 v54, v16, v53
	v_mul_hi_u32 v55, v19, v17
	s_delay_alu instid0(VALU_DEP_3) | instskip(NEXT) | instid1(VALU_DEP_3)
	v_mad_u64_u32 v[11:12], null, v19, v20, 0
	v_mad_u64_u32 v[15:16], null, v54, v17, 0
	;; [unrolled: 1-line block ×3, first 2 shown]
	s_delay_alu instid0(VALU_DEP_3) | instskip(NEXT) | instid1(VALU_DEP_4)
	v_add_co_u32 v11, vcc_lo, v55, v11
	v_add_co_ci_u32_e32 v12, vcc_lo, 0, v12, vcc_lo
	s_delay_alu instid0(VALU_DEP_2) | instskip(NEXT) | instid1(VALU_DEP_2)
	v_add_co_u32 v11, vcc_lo, v11, v15
	v_add_co_ci_u32_e32 v11, vcc_lo, v12, v16, vcc_lo
	v_add_co_ci_u32_e32 v12, vcc_lo, 0, v18, vcc_lo
	s_delay_alu instid0(VALU_DEP_2) | instskip(NEXT) | instid1(VALU_DEP_2)
	v_add_co_u32 v15, vcc_lo, v11, v17
	v_add_co_ci_u32_e32 v16, vcc_lo, 0, v12, vcc_lo
	s_delay_alu instid0(VALU_DEP_2) | instskip(SKIP_1) | instid1(VALU_DEP_3)
	v_mul_lo_u32 v17, v52, v15
	v_mad_u64_u32 v[11:12], null, v51, v15, 0
	v_mul_lo_u32 v18, v51, v16
	s_delay_alu instid0(VALU_DEP_2) | instskip(NEXT) | instid1(VALU_DEP_2)
	v_sub_co_u32 v11, vcc_lo, v19, v11
	v_add3_u32 v12, v12, v18, v17
	s_delay_alu instid0(VALU_DEP_1) | instskip(NEXT) | instid1(VALU_DEP_1)
	v_sub_nc_u32_e32 v17, v54, v12
	v_sub_co_ci_u32_e64 v17, s4, v17, v52, vcc_lo
	v_add_co_u32 v18, s4, v15, 2
	s_delay_alu instid0(VALU_DEP_1) | instskip(SKIP_3) | instid1(VALU_DEP_3)
	v_add_co_ci_u32_e64 v19, s4, 0, v16, s4
	v_sub_co_u32 v20, s4, v11, v51
	v_sub_co_ci_u32_e32 v12, vcc_lo, v54, v12, vcc_lo
	v_subrev_co_ci_u32_e64 v17, s4, 0, v17, s4
	v_cmp_ge_u32_e32 vcc_lo, v20, v51
	s_delay_alu instid0(VALU_DEP_3) | instskip(SKIP_1) | instid1(VALU_DEP_4)
	v_cmp_eq_u32_e64 s4, v12, v52
	v_cndmask_b32_e64 v20, 0, -1, vcc_lo
	v_cmp_ge_u32_e32 vcc_lo, v17, v52
	v_cndmask_b32_e64 v54, 0, -1, vcc_lo
	v_cmp_ge_u32_e32 vcc_lo, v11, v51
	;; [unrolled: 2-line block ×3, first 2 shown]
	v_cndmask_b32_e64 v51, 0, -1, vcc_lo
	v_cmp_eq_u32_e32 vcc_lo, v17, v52
	s_delay_alu instid0(VALU_DEP_2) | instskip(SKIP_3) | instid1(VALU_DEP_3)
	v_cndmask_b32_e64 v11, v51, v11, s4
	v_cndmask_b32_e32 v17, v54, v20, vcc_lo
	v_add_co_u32 v20, vcc_lo, v15, 1
	v_add_co_ci_u32_e32 v54, vcc_lo, 0, v16, vcc_lo
	v_cmp_ne_u32_e32 vcc_lo, 0, v17
	s_delay_alu instid0(VALU_DEP_2) | instskip(SKIP_1) | instid1(VALU_DEP_2)
	v_dual_cndmask_b32 v12, v54, v19 :: v_dual_cndmask_b32 v17, v20, v18
	v_cmp_ne_u32_e32 vcc_lo, 0, v11
	v_dual_cndmask_b32 v11, v16, v12 :: v_dual_cndmask_b32 v12, v15, v17
                                        ; implicit-def: $vgpr17_vgpr18
	s_delay_alu instid0(VALU_DEP_1) | instskip(NEXT) | instid1(VALU_DEP_2)
	v_xor_b32_e32 v15, v11, v2
	v_xor_b32_e32 v12, v12, v2
	s_delay_alu instid0(VALU_DEP_1) | instskip(NEXT) | instid1(VALU_DEP_3)
	v_sub_co_u32 v11, vcc_lo, v12, v2
	v_sub_co_ci_u32_e32 v12, vcc_lo, v15, v2, vcc_lo
                                        ; implicit-def: $vgpr15_vgpr16
.LBB87_39:                              ;   in Loop: Header=BB87_25 Depth=1
	s_and_not1_saveexec_b32 s4, s17
	s_cbranch_execz .LBB87_41
; %bb.40:                               ;   in Loop: Header=BB87_25 Depth=1
	v_cvt_f32_u32_e32 v2, v17
	v_sub_nc_u32_e32 v11, 0, v17
	s_delay_alu instid0(VALU_DEP_2) | instskip(SKIP_2) | instid1(VALU_DEP_1)
	v_rcp_iflag_f32_e32 v2, v2
	s_waitcnt_depctr 0xfff
	v_mul_f32_e32 v2, 0x4f7ffffe, v2
	v_cvt_u32_f32_e32 v2, v2
	s_delay_alu instid0(VALU_DEP_1) | instskip(NEXT) | instid1(VALU_DEP_1)
	v_mul_lo_u32 v11, v11, v2
	v_mul_hi_u32 v11, v2, v11
	s_delay_alu instid0(VALU_DEP_1) | instskip(NEXT) | instid1(VALU_DEP_1)
	v_add_nc_u32_e32 v2, v2, v11
	v_mul_hi_u32 v2, v15, v2
	s_delay_alu instid0(VALU_DEP_1) | instskip(SKIP_1) | instid1(VALU_DEP_2)
	v_mul_lo_u32 v11, v2, v17
	v_add_nc_u32_e32 v12, 1, v2
	v_sub_nc_u32_e32 v11, v15, v11
	s_delay_alu instid0(VALU_DEP_1) | instskip(SKIP_1) | instid1(VALU_DEP_2)
	v_sub_nc_u32_e32 v15, v11, v17
	v_cmp_ge_u32_e32 vcc_lo, v11, v17
	v_dual_cndmask_b32 v11, v11, v15 :: v_dual_cndmask_b32 v2, v2, v12
	s_delay_alu instid0(VALU_DEP_1) | instskip(NEXT) | instid1(VALU_DEP_2)
	v_cmp_ge_u32_e32 vcc_lo, v11, v17
	v_add_nc_u32_e32 v12, 1, v2
	s_delay_alu instid0(VALU_DEP_1)
	v_dual_cndmask_b32 v11, v2, v12 :: v_dual_mov_b32 v12, v1
.LBB87_41:                              ;   in Loop: Header=BB87_25 Depth=1
	s_or_b32 exec_lo, exec_lo, s4
	v_mul_lo_u32 v2, v14, s10
	v_mul_lo_u32 v14, v13, s11
	v_mad_u64_u32 v[15:16], null, v13, s10, 0
	s_mov_b32 s4, exec_lo
	s_delay_alu instid0(VALU_DEP_1) | instskip(NEXT) | instid1(VALU_DEP_1)
	v_add3_u32 v16, v16, v14, v2
                                        ; implicit-def: $vgpr13_vgpr14
	v_or_b32_e32 v2, v10, v16
	s_delay_alu instid0(VALU_DEP_1)
	v_cmpx_ne_u64_e32 0, v[1:2]
	s_xor_b32 s17, exec_lo, s4
	s_cbranch_execnz .LBB87_47
; %bb.42:                               ;   in Loop: Header=BB87_25 Depth=1
	s_and_not1_saveexec_b32 s4, s17
	s_cbranch_execnz .LBB87_48
.LBB87_43:                              ;   in Loop: Header=BB87_25 Depth=1
	s_or_b32 exec_lo, exec_lo, s4
	s_and_saveexec_b32 s4, s3
	s_cbranch_execnz .LBB87_49
.LBB87_44:                              ;   in Loop: Header=BB87_25 Depth=1
	s_or_b32 exec_lo, exec_lo, s4
	s_and_saveexec_b32 s3, s0
	s_cbranch_execnz .LBB87_54
.LBB87_45:                              ;   in Loop: Header=BB87_25 Depth=1
	s_or_b32 exec_lo, exec_lo, s3
	s_and_saveexec_b32 s0, s1
	s_cbranch_execnz .LBB87_55
.LBB87_46:                              ;   in Loop: Header=BB87_25 Depth=1
	s_or_b32 exec_lo, exec_lo, s0
	s_and_saveexec_b32 s0, s2
	s_cbranch_execz .LBB87_24
	s_branch .LBB87_56
.LBB87_47:                              ;   in Loop: Header=BB87_25 Depth=1
	v_ashrrev_i32_e32 v2, 31, v16
	s_delay_alu instid0(VALU_DEP_1) | instskip(SKIP_1) | instid1(VALU_DEP_2)
	v_add_co_u32 v13, vcc_lo, v15, v2
	v_add_co_ci_u32_e32 v14, vcc_lo, v16, v2, vcc_lo
	v_xor_b32_e32 v20, v13, v2
	s_delay_alu instid0(VALU_DEP_2) | instskip(NEXT) | instid1(VALU_DEP_2)
	v_xor_b32_e32 v51, v14, v2
	v_cvt_f32_u32_e32 v13, v20
	v_sub_co_u32 v52, vcc_lo, 0, v20
	s_delay_alu instid0(VALU_DEP_3) | instskip(SKIP_1) | instid1(VALU_DEP_2)
	v_cvt_f32_u32_e32 v14, v51
	v_sub_co_ci_u32_e32 v53, vcc_lo, 0, v51, vcc_lo
	v_fmac_f32_e32 v13, 0x4f800000, v14
	s_delay_alu instid0(VALU_DEP_1) | instskip(SKIP_2) | instid1(VALU_DEP_1)
	v_rcp_f32_e32 v13, v13
	s_waitcnt_depctr 0xfff
	v_mul_f32_e32 v13, 0x5f7ffffc, v13
	v_mul_f32_e32 v14, 0x2f800000, v13
	s_delay_alu instid0(VALU_DEP_1) | instskip(NEXT) | instid1(VALU_DEP_1)
	v_trunc_f32_e32 v14, v14
	v_fmac_f32_e32 v13, 0xcf800000, v14
	v_cvt_u32_f32_e32 v54, v14
	s_delay_alu instid0(VALU_DEP_2) | instskip(NEXT) | instid1(VALU_DEP_2)
	v_cvt_u32_f32_e32 v55, v13
	v_mul_lo_u32 v15, v52, v54
	s_delay_alu instid0(VALU_DEP_2) | instskip(SKIP_1) | instid1(VALU_DEP_1)
	v_mul_lo_u32 v16, v53, v55
	v_mad_u64_u32 v[13:14], null, v52, v55, 0
	v_add3_u32 v56, v14, v15, v16
	s_delay_alu instid0(VALU_DEP_2) | instskip(SKIP_1) | instid1(VALU_DEP_3)
	v_mul_hi_u32 v57, v55, v13
	v_mad_u64_u32 v[16:17], null, v54, v13, 0
	v_mad_u64_u32 v[14:15], null, v55, v56, 0
	;; [unrolled: 1-line block ×3, first 2 shown]
	s_delay_alu instid0(VALU_DEP_2) | instskip(NEXT) | instid1(VALU_DEP_3)
	v_add_co_u32 v13, vcc_lo, v57, v14
	v_add_co_ci_u32_e32 v14, vcc_lo, 0, v15, vcc_lo
	s_delay_alu instid0(VALU_DEP_2) | instskip(NEXT) | instid1(VALU_DEP_2)
	v_add_co_u32 v13, vcc_lo, v13, v16
	v_add_co_ci_u32_e32 v13, vcc_lo, v14, v17, vcc_lo
	v_add_co_ci_u32_e32 v14, vcc_lo, 0, v19, vcc_lo
	s_delay_alu instid0(VALU_DEP_2) | instskip(NEXT) | instid1(VALU_DEP_2)
	v_add_co_u32 v13, vcc_lo, v13, v18
	v_add_co_ci_u32_e32 v14, vcc_lo, 0, v14, vcc_lo
	s_delay_alu instid0(VALU_DEP_2) | instskip(NEXT) | instid1(VALU_DEP_2)
	v_add_co_u32 v55, vcc_lo, v55, v13
	v_add_co_ci_u32_e32 v54, vcc_lo, v54, v14, vcc_lo
	s_delay_alu instid0(VALU_DEP_2) | instskip(SKIP_1) | instid1(VALU_DEP_3)
	v_mul_lo_u32 v15, v53, v55
	v_mad_u64_u32 v[13:14], null, v52, v55, 0
	v_mul_lo_u32 v16, v52, v54
	s_delay_alu instid0(VALU_DEP_2) | instskip(NEXT) | instid1(VALU_DEP_2)
	v_mul_hi_u32 v53, v55, v13
	v_add3_u32 v52, v14, v16, v15
	v_mad_u64_u32 v[16:17], null, v54, v13, 0
	s_delay_alu instid0(VALU_DEP_2) | instskip(SKIP_2) | instid1(VALU_DEP_3)
	v_mad_u64_u32 v[14:15], null, v55, v52, 0
	v_mad_u64_u32 v[18:19], null, v54, v52, 0
	v_ashrrev_i32_e32 v52, 31, v10
	v_add_co_u32 v13, vcc_lo, v53, v14
	s_delay_alu instid0(VALU_DEP_4) | instskip(NEXT) | instid1(VALU_DEP_3)
	v_add_co_ci_u32_e32 v14, vcc_lo, 0, v15, vcc_lo
	v_xor_b32_e32 v2, v52, v2
	s_delay_alu instid0(VALU_DEP_3) | instskip(NEXT) | instid1(VALU_DEP_3)
	v_add_co_u32 v13, vcc_lo, v13, v16
	v_add_co_ci_u32_e32 v13, vcc_lo, v14, v17, vcc_lo
	v_add_co_ci_u32_e32 v14, vcc_lo, 0, v19, vcc_lo
	v_add_co_u32 v9, vcc_lo, v9, v52
	v_add_co_ci_u32_e32 v10, vcc_lo, v10, v52, vcc_lo
	s_delay_alu instid0(VALU_DEP_4) | instskip(NEXT) | instid1(VALU_DEP_4)
	v_add_co_u32 v13, vcc_lo, v13, v18
	v_add_co_ci_u32_e32 v14, vcc_lo, 0, v14, vcc_lo
	s_delay_alu instid0(VALU_DEP_4) | instskip(NEXT) | instid1(VALU_DEP_3)
	v_xor_b32_e32 v17, v9, v52
	v_add_co_u32 v15, vcc_lo, v55, v13
	s_delay_alu instid0(VALU_DEP_3) | instskip(SKIP_1) | instid1(VALU_DEP_3)
	v_add_co_ci_u32_e32 v18, vcc_lo, v54, v14, vcc_lo
	v_xor_b32_e32 v19, v10, v52
	v_mul_hi_u32 v53, v17, v15
	s_delay_alu instid0(VALU_DEP_3) | instskip(NEXT) | instid1(VALU_DEP_3)
	v_mad_u64_u32 v[9:10], null, v17, v18, 0
	v_mad_u64_u32 v[13:14], null, v19, v15, 0
	v_mad_u64_u32 v[15:16], null, v19, v18, 0
	s_delay_alu instid0(VALU_DEP_3) | instskip(NEXT) | instid1(VALU_DEP_4)
	v_add_co_u32 v9, vcc_lo, v53, v9
	v_add_co_ci_u32_e32 v10, vcc_lo, 0, v10, vcc_lo
	s_delay_alu instid0(VALU_DEP_2) | instskip(NEXT) | instid1(VALU_DEP_2)
	v_add_co_u32 v9, vcc_lo, v9, v13
	v_add_co_ci_u32_e32 v9, vcc_lo, v10, v14, vcc_lo
	v_add_co_ci_u32_e32 v10, vcc_lo, 0, v16, vcc_lo
	s_delay_alu instid0(VALU_DEP_2) | instskip(NEXT) | instid1(VALU_DEP_2)
	v_add_co_u32 v13, vcc_lo, v9, v15
	v_add_co_ci_u32_e32 v14, vcc_lo, 0, v10, vcc_lo
	s_delay_alu instid0(VALU_DEP_2) | instskip(SKIP_1) | instid1(VALU_DEP_3)
	v_mul_lo_u32 v15, v51, v13
	v_mad_u64_u32 v[9:10], null, v20, v13, 0
	v_mul_lo_u32 v16, v20, v14
	s_delay_alu instid0(VALU_DEP_2) | instskip(NEXT) | instid1(VALU_DEP_2)
	v_sub_co_u32 v9, vcc_lo, v17, v9
	v_add3_u32 v10, v10, v16, v15
	s_delay_alu instid0(VALU_DEP_1) | instskip(NEXT) | instid1(VALU_DEP_1)
	v_sub_nc_u32_e32 v15, v19, v10
	v_sub_co_ci_u32_e64 v15, s4, v15, v51, vcc_lo
	v_add_co_u32 v16, s4, v13, 2
	s_delay_alu instid0(VALU_DEP_1) | instskip(SKIP_3) | instid1(VALU_DEP_3)
	v_add_co_ci_u32_e64 v17, s4, 0, v14, s4
	v_sub_co_u32 v18, s4, v9, v20
	v_sub_co_ci_u32_e32 v10, vcc_lo, v19, v10, vcc_lo
	v_subrev_co_ci_u32_e64 v15, s4, 0, v15, s4
	v_cmp_ge_u32_e32 vcc_lo, v18, v20
	s_delay_alu instid0(VALU_DEP_3) | instskip(SKIP_1) | instid1(VALU_DEP_4)
	v_cmp_eq_u32_e64 s4, v10, v51
	v_cndmask_b32_e64 v18, 0, -1, vcc_lo
	v_cmp_ge_u32_e32 vcc_lo, v15, v51
	v_cndmask_b32_e64 v19, 0, -1, vcc_lo
	v_cmp_ge_u32_e32 vcc_lo, v9, v20
	;; [unrolled: 2-line block ×3, first 2 shown]
	v_cndmask_b32_e64 v20, 0, -1, vcc_lo
	v_cmp_eq_u32_e32 vcc_lo, v15, v51
	s_delay_alu instid0(VALU_DEP_2) | instskip(SKIP_3) | instid1(VALU_DEP_3)
	v_cndmask_b32_e64 v9, v20, v9, s4
	v_cndmask_b32_e32 v15, v19, v18, vcc_lo
	v_add_co_u32 v18, vcc_lo, v13, 1
	v_add_co_ci_u32_e32 v19, vcc_lo, 0, v14, vcc_lo
	v_cmp_ne_u32_e32 vcc_lo, 0, v15
	s_delay_alu instid0(VALU_DEP_2) | instskip(SKIP_1) | instid1(VALU_DEP_2)
	v_dual_cndmask_b32 v10, v19, v17 :: v_dual_cndmask_b32 v15, v18, v16
	v_cmp_ne_u32_e32 vcc_lo, 0, v9
	v_dual_cndmask_b32 v9, v14, v10 :: v_dual_cndmask_b32 v10, v13, v15
                                        ; implicit-def: $vgpr15_vgpr16
	s_delay_alu instid0(VALU_DEP_1) | instskip(NEXT) | instid1(VALU_DEP_2)
	v_xor_b32_e32 v9, v9, v2
	v_xor_b32_e32 v10, v10, v2
	s_delay_alu instid0(VALU_DEP_1) | instskip(NEXT) | instid1(VALU_DEP_3)
	v_sub_co_u32 v13, vcc_lo, v10, v2
	v_sub_co_ci_u32_e32 v14, vcc_lo, v9, v2, vcc_lo
                                        ; implicit-def: $vgpr9_vgpr10
	s_and_not1_saveexec_b32 s4, s17
	s_cbranch_execz .LBB87_43
.LBB87_48:                              ;   in Loop: Header=BB87_25 Depth=1
	v_cvt_f32_u32_e32 v2, v15
	v_sub_nc_u32_e32 v10, 0, v15
	v_mov_b32_e32 v14, v1
	s_delay_alu instid0(VALU_DEP_3) | instskip(SKIP_2) | instid1(VALU_DEP_1)
	v_rcp_iflag_f32_e32 v2, v2
	s_waitcnt_depctr 0xfff
	v_mul_f32_e32 v2, 0x4f7ffffe, v2
	v_cvt_u32_f32_e32 v2, v2
	s_delay_alu instid0(VALU_DEP_1) | instskip(NEXT) | instid1(VALU_DEP_1)
	v_mul_lo_u32 v10, v10, v2
	v_mul_hi_u32 v10, v2, v10
	s_delay_alu instid0(VALU_DEP_1) | instskip(NEXT) | instid1(VALU_DEP_1)
	v_add_nc_u32_e32 v2, v2, v10
	v_mul_hi_u32 v2, v9, v2
	s_delay_alu instid0(VALU_DEP_1) | instskip(NEXT) | instid1(VALU_DEP_1)
	v_mul_lo_u32 v10, v2, v15
	v_sub_nc_u32_e32 v9, v9, v10
	v_add_nc_u32_e32 v10, 1, v2
	s_delay_alu instid0(VALU_DEP_2) | instskip(SKIP_1) | instid1(VALU_DEP_2)
	v_sub_nc_u32_e32 v13, v9, v15
	v_cmp_ge_u32_e32 vcc_lo, v9, v15
	v_dual_cndmask_b32 v9, v9, v13 :: v_dual_cndmask_b32 v2, v2, v10
	s_delay_alu instid0(VALU_DEP_1) | instskip(NEXT) | instid1(VALU_DEP_2)
	v_cmp_ge_u32_e32 vcc_lo, v9, v15
	v_add_nc_u32_e32 v10, 1, v2
	s_delay_alu instid0(VALU_DEP_1)
	v_cndmask_b32_e32 v13, v2, v10, vcc_lo
	s_or_b32 exec_lo, exec_lo, s4
	s_and_saveexec_b32 s4, s3
	s_cbranch_execz .LBB87_44
.LBB87_49:                              ;   in Loop: Header=BB87_25 Depth=1
	v_mul_lo_u32 v2, v6, s10
	v_mul_lo_u32 v6, v5, s11
	v_mad_u64_u32 v[9:10], null, v5, s10, 0
	s_mov_b32 s3, exec_lo
	s_delay_alu instid0(VALU_DEP_1) | instskip(NEXT) | instid1(VALU_DEP_1)
	v_add3_u32 v10, v10, v6, v2
                                        ; implicit-def: $vgpr5_vgpr6
	v_or_b32_e32 v2, v4, v10
	s_delay_alu instid0(VALU_DEP_1)
	v_cmpx_ne_u64_e32 0, v[1:2]
	s_xor_b32 s17, exec_lo, s3
	s_cbranch_execz .LBB87_51
; %bb.50:                               ;   in Loop: Header=BB87_25 Depth=1
	v_ashrrev_i32_e32 v17, 31, v10
	s_delay_alu instid0(VALU_DEP_1) | instskip(SKIP_1) | instid1(VALU_DEP_2)
	v_add_co_u32 v2, vcc_lo, v9, v17
	v_add_co_ci_u32_e32 v5, vcc_lo, v10, v17, vcc_lo
	v_xor_b32_e32 v18, v2, v17
	s_delay_alu instid0(VALU_DEP_2) | instskip(NEXT) | instid1(VALU_DEP_2)
	v_xor_b32_e32 v19, v5, v17
	v_cvt_f32_u32_e32 v2, v18
	v_sub_co_u32 v20, vcc_lo, 0, v18
	s_delay_alu instid0(VALU_DEP_3) | instskip(SKIP_1) | instid1(VALU_DEP_2)
	v_cvt_f32_u32_e32 v5, v19
	v_sub_co_ci_u32_e32 v51, vcc_lo, 0, v19, vcc_lo
	v_fmac_f32_e32 v2, 0x4f800000, v5
	s_delay_alu instid0(VALU_DEP_1) | instskip(SKIP_2) | instid1(VALU_DEP_1)
	v_rcp_f32_e32 v2, v2
	s_waitcnt_depctr 0xfff
	v_mul_f32_e32 v2, 0x5f7ffffc, v2
	v_mul_f32_e32 v5, 0x2f800000, v2
	s_delay_alu instid0(VALU_DEP_1) | instskip(NEXT) | instid1(VALU_DEP_1)
	v_trunc_f32_e32 v5, v5
	v_fmac_f32_e32 v2, 0xcf800000, v5
	v_cvt_u32_f32_e32 v52, v5
	s_delay_alu instid0(VALU_DEP_2) | instskip(NEXT) | instid1(VALU_DEP_2)
	v_cvt_u32_f32_e32 v2, v2
	v_mul_lo_u32 v9, v20, v52
	s_delay_alu instid0(VALU_DEP_2) | instskip(SKIP_1) | instid1(VALU_DEP_1)
	v_mul_lo_u32 v10, v51, v2
	v_mad_u64_u32 v[5:6], null, v20, v2, 0
	v_add3_u32 v53, v6, v9, v10
	s_delay_alu instid0(VALU_DEP_2) | instskip(SKIP_1) | instid1(VALU_DEP_3)
	v_mul_hi_u32 v54, v2, v5
	v_mad_u64_u32 v[15:16], null, v52, v5, 0
	v_mad_u64_u32 v[9:10], null, v2, v53, 0
	;; [unrolled: 1-line block ×3, first 2 shown]
	s_delay_alu instid0(VALU_DEP_2) | instskip(NEXT) | instid1(VALU_DEP_3)
	v_add_co_u32 v9, vcc_lo, v54, v9
	v_add_co_ci_u32_e32 v10, vcc_lo, 0, v10, vcc_lo
	s_delay_alu instid0(VALU_DEP_2) | instskip(NEXT) | instid1(VALU_DEP_2)
	v_add_co_u32 v9, vcc_lo, v9, v15
	v_add_co_ci_u32_e32 v9, vcc_lo, v10, v16, vcc_lo
	v_add_co_ci_u32_e32 v6, vcc_lo, 0, v6, vcc_lo
	s_delay_alu instid0(VALU_DEP_2) | instskip(NEXT) | instid1(VALU_DEP_2)
	v_add_co_u32 v5, vcc_lo, v9, v5
	v_add_co_ci_u32_e32 v6, vcc_lo, 0, v6, vcc_lo
	s_delay_alu instid0(VALU_DEP_2) | instskip(NEXT) | instid1(VALU_DEP_2)
	v_add_co_u32 v2, vcc_lo, v2, v5
	v_add_co_ci_u32_e32 v52, vcc_lo, v52, v6, vcc_lo
	s_delay_alu instid0(VALU_DEP_2) | instskip(SKIP_1) | instid1(VALU_DEP_3)
	v_mul_lo_u32 v9, v51, v2
	v_mad_u64_u32 v[5:6], null, v20, v2, 0
	v_mul_lo_u32 v10, v20, v52
	s_delay_alu instid0(VALU_DEP_2) | instskip(SKIP_1) | instid1(VALU_DEP_3)
	v_mul_hi_u32 v51, v2, v5
	v_mad_u64_u32 v[15:16], null, v52, v5, 0
	v_add3_u32 v20, v6, v10, v9
	s_delay_alu instid0(VALU_DEP_1) | instskip(SKIP_2) | instid1(VALU_DEP_3)
	v_mad_u64_u32 v[9:10], null, v2, v20, 0
	v_mad_u64_u32 v[5:6], null, v52, v20, 0
	v_ashrrev_i32_e32 v20, 31, v4
	v_add_co_u32 v9, vcc_lo, v51, v9
	s_delay_alu instid0(VALU_DEP_4) | instskip(NEXT) | instid1(VALU_DEP_2)
	v_add_co_ci_u32_e32 v10, vcc_lo, 0, v10, vcc_lo
	v_add_co_u32 v9, vcc_lo, v9, v15
	s_delay_alu instid0(VALU_DEP_2) | instskip(SKIP_3) | instid1(VALU_DEP_4)
	v_add_co_ci_u32_e32 v9, vcc_lo, v10, v16, vcc_lo
	v_add_co_ci_u32_e32 v6, vcc_lo, 0, v6, vcc_lo
	v_add_co_u32 v3, vcc_lo, v3, v20
	v_add_co_ci_u32_e32 v4, vcc_lo, v4, v20, vcc_lo
	v_add_co_u32 v5, vcc_lo, v9, v5
	s_delay_alu instid0(VALU_DEP_4) | instskip(NEXT) | instid1(VALU_DEP_4)
	v_add_co_ci_u32_e32 v6, vcc_lo, 0, v6, vcc_lo
	v_xor_b32_e32 v15, v3, v20
	s_delay_alu instid0(VALU_DEP_3) | instskip(NEXT) | instid1(VALU_DEP_3)
	v_add_co_u32 v9, vcc_lo, v2, v5
	v_add_co_ci_u32_e32 v6, vcc_lo, v52, v6, vcc_lo
	v_xor_b32_e32 v16, v4, v20
	s_delay_alu instid0(VALU_DEP_3) | instskip(NEXT) | instid1(VALU_DEP_3)
	v_mul_hi_u32 v51, v15, v9
	v_mad_u64_u32 v[2:3], null, v15, v6, 0
	s_delay_alu instid0(VALU_DEP_3) | instskip(SKIP_1) | instid1(VALU_DEP_3)
	v_mad_u64_u32 v[4:5], null, v16, v9, 0
	v_mad_u64_u32 v[9:10], null, v16, v6, 0
	v_add_co_u32 v2, vcc_lo, v51, v2
	s_delay_alu instid0(VALU_DEP_4) | instskip(NEXT) | instid1(VALU_DEP_2)
	v_add_co_ci_u32_e32 v3, vcc_lo, 0, v3, vcc_lo
	v_add_co_u32 v2, vcc_lo, v2, v4
	s_delay_alu instid0(VALU_DEP_2) | instskip(SKIP_1) | instid1(VALU_DEP_2)
	v_add_co_ci_u32_e32 v2, vcc_lo, v3, v5, vcc_lo
	v_add_co_ci_u32_e32 v3, vcc_lo, 0, v10, vcc_lo
	v_add_co_u32 v4, vcc_lo, v2, v9
	s_delay_alu instid0(VALU_DEP_2) | instskip(NEXT) | instid1(VALU_DEP_2)
	v_add_co_ci_u32_e32 v5, vcc_lo, 0, v3, vcc_lo
	v_mul_lo_u32 v6, v19, v4
	v_mad_u64_u32 v[2:3], null, v18, v4, 0
	s_delay_alu instid0(VALU_DEP_3) | instskip(NEXT) | instid1(VALU_DEP_2)
	v_mul_lo_u32 v9, v18, v5
	v_sub_co_u32 v2, vcc_lo, v15, v2
	s_delay_alu instid0(VALU_DEP_2) | instskip(NEXT) | instid1(VALU_DEP_1)
	v_add3_u32 v3, v3, v9, v6
	v_sub_nc_u32_e32 v6, v16, v3
	s_delay_alu instid0(VALU_DEP_1) | instskip(SKIP_1) | instid1(VALU_DEP_1)
	v_sub_co_ci_u32_e64 v6, s3, v6, v19, vcc_lo
	v_add_co_u32 v9, s3, v4, 2
	v_add_co_ci_u32_e64 v10, s3, 0, v5, s3
	v_sub_co_u32 v15, s3, v2, v18
	v_sub_co_ci_u32_e32 v3, vcc_lo, v16, v3, vcc_lo
	v_subrev_co_ci_u32_e64 v6, s3, 0, v6, s3
	s_delay_alu instid0(VALU_DEP_3) | instskip(NEXT) | instid1(VALU_DEP_3)
	v_cmp_ge_u32_e32 vcc_lo, v15, v18
	v_cmp_eq_u32_e64 s3, v3, v19
	v_cndmask_b32_e64 v15, 0, -1, vcc_lo
	s_delay_alu instid0(VALU_DEP_4)
	v_cmp_ge_u32_e32 vcc_lo, v6, v19
	v_cndmask_b32_e64 v16, 0, -1, vcc_lo
	v_cmp_ge_u32_e32 vcc_lo, v2, v18
	v_cndmask_b32_e64 v2, 0, -1, vcc_lo
	;; [unrolled: 2-line block ×3, first 2 shown]
	v_cmp_eq_u32_e32 vcc_lo, v6, v19
	s_delay_alu instid0(VALU_DEP_2) | instskip(SKIP_3) | instid1(VALU_DEP_3)
	v_cndmask_b32_e64 v2, v18, v2, s3
	v_cndmask_b32_e32 v6, v16, v15, vcc_lo
	v_add_co_u32 v15, vcc_lo, v4, 1
	v_add_co_ci_u32_e32 v16, vcc_lo, 0, v5, vcc_lo
	v_cmp_ne_u32_e32 vcc_lo, 0, v6
	s_delay_alu instid0(VALU_DEP_2) | instskip(SKIP_2) | instid1(VALU_DEP_3)
	v_dual_cndmask_b32 v3, v16, v10 :: v_dual_cndmask_b32 v6, v15, v9
	v_cmp_ne_u32_e32 vcc_lo, 0, v2
	v_xor_b32_e32 v2, v20, v17
                                        ; implicit-def: $vgpr9_vgpr10
	v_dual_cndmask_b32 v4, v4, v6 :: v_dual_cndmask_b32 v3, v5, v3
	s_delay_alu instid0(VALU_DEP_1) | instskip(NEXT) | instid1(VALU_DEP_2)
	v_xor_b32_e32 v4, v4, v2
	v_xor_b32_e32 v3, v3, v2
	s_delay_alu instid0(VALU_DEP_2) | instskip(NEXT) | instid1(VALU_DEP_2)
	v_sub_co_u32 v5, vcc_lo, v4, v2
	v_sub_co_ci_u32_e32 v6, vcc_lo, v3, v2, vcc_lo
                                        ; implicit-def: $vgpr3_vgpr4
.LBB87_51:                              ;   in Loop: Header=BB87_25 Depth=1
	s_and_not1_saveexec_b32 s3, s17
	s_cbranch_execz .LBB87_53
; %bb.52:                               ;   in Loop: Header=BB87_25 Depth=1
	v_cvt_f32_u32_e32 v2, v9
	v_sub_nc_u32_e32 v4, 0, v9
	v_mov_b32_e32 v6, v1
	s_delay_alu instid0(VALU_DEP_3) | instskip(SKIP_2) | instid1(VALU_DEP_1)
	v_rcp_iflag_f32_e32 v2, v2
	s_waitcnt_depctr 0xfff
	v_mul_f32_e32 v2, 0x4f7ffffe, v2
	v_cvt_u32_f32_e32 v2, v2
	s_delay_alu instid0(VALU_DEP_1) | instskip(NEXT) | instid1(VALU_DEP_1)
	v_mul_lo_u32 v4, v4, v2
	v_mul_hi_u32 v4, v2, v4
	s_delay_alu instid0(VALU_DEP_1) | instskip(NEXT) | instid1(VALU_DEP_1)
	v_add_nc_u32_e32 v2, v2, v4
	v_mul_hi_u32 v2, v3, v2
	s_delay_alu instid0(VALU_DEP_1) | instskip(NEXT) | instid1(VALU_DEP_1)
	v_mul_lo_u32 v4, v2, v9
	v_sub_nc_u32_e32 v3, v3, v4
	v_add_nc_u32_e32 v4, 1, v2
	s_delay_alu instid0(VALU_DEP_2) | instskip(SKIP_1) | instid1(VALU_DEP_2)
	v_sub_nc_u32_e32 v5, v3, v9
	v_cmp_ge_u32_e32 vcc_lo, v3, v9
	v_dual_cndmask_b32 v3, v3, v5 :: v_dual_cndmask_b32 v2, v2, v4
	s_delay_alu instid0(VALU_DEP_1) | instskip(NEXT) | instid1(VALU_DEP_2)
	v_cmp_ge_u32_e32 vcc_lo, v3, v9
	v_add_nc_u32_e32 v4, 1, v2
	s_delay_alu instid0(VALU_DEP_1)
	v_cndmask_b32_e32 v5, v2, v4, vcc_lo
.LBB87_53:                              ;   in Loop: Header=BB87_25 Depth=1
	s_or_b32 exec_lo, exec_lo, s3
	v_add_co_u32 v2, vcc_lo, v25, s6
	v_add_co_ci_u32_e32 v3, vcc_lo, s7, v26, vcc_lo
	global_store_b64 v[2:3], v[5:6], off
	s_or_b32 exec_lo, exec_lo, s4
	s_and_saveexec_b32 s3, s0
	s_cbranch_execz .LBB87_45
.LBB87_54:                              ;   in Loop: Header=BB87_25 Depth=1
	v_add_co_u32 v2, vcc_lo, v49, s6
	v_add_co_ci_u32_e32 v3, vcc_lo, s7, v50, vcc_lo
	global_store_b64 v[2:3], v[7:8], off
	s_or_b32 exec_lo, exec_lo, s3
	s_and_saveexec_b32 s0, s1
	s_cbranch_execz .LBB87_46
.LBB87_55:                              ;   in Loop: Header=BB87_25 Depth=1
	v_add_co_u32 v2, vcc_lo, v40, s6
	v_add_co_ci_u32_e32 v3, vcc_lo, s7, v41, vcc_lo
	global_store_b64 v[2:3], v[11:12], off
	s_or_b32 exec_lo, exec_lo, s0
	s_and_saveexec_b32 s0, s2
	s_cbranch_execz .LBB87_24
.LBB87_56:                              ;   in Loop: Header=BB87_25 Depth=1
	v_add_co_u32 v2, vcc_lo, v31, s6
	v_add_co_ci_u32_e32 v3, vcc_lo, s7, v32, vcc_lo
	global_store_b64 v[2:3], v[13:14], off
	s_branch .LBB87_24
.LBB87_57:
	s_nop 0
	s_sendmsg sendmsg(MSG_DEALLOC_VGPRS)
	s_endpgm
	.section	.rodata,"a",@progbits
	.p2align	6, 0x0
	.amdhsa_kernel _ZN2at6native12_GLOBAL__N_125multi_tensor_apply_kernelINS1_18TensorListMetadataILi3EEENS1_24BinaryOpListAlphaFunctorIlLi3ELi2ELi2EEEJSt7dividesIlElEEEvT_T0_DpT1_
		.amdhsa_group_segment_fixed_size 0
		.amdhsa_private_segment_fixed_size 0
		.amdhsa_kernarg_size 3416
		.amdhsa_user_sgpr_count 15
		.amdhsa_user_sgpr_dispatch_ptr 0
		.amdhsa_user_sgpr_queue_ptr 0
		.amdhsa_user_sgpr_kernarg_segment_ptr 1
		.amdhsa_user_sgpr_dispatch_id 0
		.amdhsa_user_sgpr_private_segment_size 0
		.amdhsa_wavefront_size32 1
		.amdhsa_uses_dynamic_stack 0
		.amdhsa_enable_private_segment 0
		.amdhsa_system_sgpr_workgroup_id_x 1
		.amdhsa_system_sgpr_workgroup_id_y 0
		.amdhsa_system_sgpr_workgroup_id_z 0
		.amdhsa_system_sgpr_workgroup_info 0
		.amdhsa_system_vgpr_workitem_id 0
		.amdhsa_next_free_vgpr 61
		.amdhsa_next_free_sgpr 26
		.amdhsa_reserve_vcc 1
		.amdhsa_float_round_mode_32 0
		.amdhsa_float_round_mode_16_64 0
		.amdhsa_float_denorm_mode_32 3
		.amdhsa_float_denorm_mode_16_64 3
		.amdhsa_dx10_clamp 1
		.amdhsa_ieee_mode 1
		.amdhsa_fp16_overflow 0
		.amdhsa_workgroup_processor_mode 1
		.amdhsa_memory_ordered 1
		.amdhsa_forward_progress 0
		.amdhsa_shared_vgpr_count 0
		.amdhsa_exception_fp_ieee_invalid_op 0
		.amdhsa_exception_fp_denorm_src 0
		.amdhsa_exception_fp_ieee_div_zero 0
		.amdhsa_exception_fp_ieee_overflow 0
		.amdhsa_exception_fp_ieee_underflow 0
		.amdhsa_exception_fp_ieee_inexact 0
		.amdhsa_exception_int_div_zero 0
	.end_amdhsa_kernel
	.section	.text._ZN2at6native12_GLOBAL__N_125multi_tensor_apply_kernelINS1_18TensorListMetadataILi3EEENS1_24BinaryOpListAlphaFunctorIlLi3ELi2ELi2EEEJSt7dividesIlElEEEvT_T0_DpT1_,"axG",@progbits,_ZN2at6native12_GLOBAL__N_125multi_tensor_apply_kernelINS1_18TensorListMetadataILi3EEENS1_24BinaryOpListAlphaFunctorIlLi3ELi2ELi2EEEJSt7dividesIlElEEEvT_T0_DpT1_,comdat
.Lfunc_end87:
	.size	_ZN2at6native12_GLOBAL__N_125multi_tensor_apply_kernelINS1_18TensorListMetadataILi3EEENS1_24BinaryOpListAlphaFunctorIlLi3ELi2ELi2EEEJSt7dividesIlElEEEvT_T0_DpT1_, .Lfunc_end87-_ZN2at6native12_GLOBAL__N_125multi_tensor_apply_kernelINS1_18TensorListMetadataILi3EEENS1_24BinaryOpListAlphaFunctorIlLi3ELi2ELi2EEEJSt7dividesIlElEEEvT_T0_DpT1_
                                        ; -- End function
	.section	.AMDGPU.csdata,"",@progbits
; Kernel info:
; codeLenInByte = 9548
; NumSgprs: 28
; NumVgprs: 61
; ScratchSize: 0
; MemoryBound: 1
; FloatMode: 240
; IeeeMode: 1
; LDSByteSize: 0 bytes/workgroup (compile time only)
; SGPRBlocks: 3
; VGPRBlocks: 7
; NumSGPRsForWavesPerEU: 28
; NumVGPRsForWavesPerEU: 61
; Occupancy: 16
; WaveLimiterHint : 0
; COMPUTE_PGM_RSRC2:SCRATCH_EN: 0
; COMPUTE_PGM_RSRC2:USER_SGPR: 15
; COMPUTE_PGM_RSRC2:TRAP_HANDLER: 0
; COMPUTE_PGM_RSRC2:TGID_X_EN: 1
; COMPUTE_PGM_RSRC2:TGID_Y_EN: 0
; COMPUTE_PGM_RSRC2:TGID_Z_EN: 0
; COMPUTE_PGM_RSRC2:TIDIG_COMP_CNT: 0
	.section	.text._ZN2at6native12_GLOBAL__N_125multi_tensor_apply_kernelINS1_18TensorListMetadataILi3EEENS1_24BinaryOpListAlphaFunctorIsLi3ELi2ELi2EEEJSt7dividesIsEsEEEvT_T0_DpT1_,"axG",@progbits,_ZN2at6native12_GLOBAL__N_125multi_tensor_apply_kernelINS1_18TensorListMetadataILi3EEENS1_24BinaryOpListAlphaFunctorIsLi3ELi2ELi2EEEJSt7dividesIsEsEEEvT_T0_DpT1_,comdat
	.globl	_ZN2at6native12_GLOBAL__N_125multi_tensor_apply_kernelINS1_18TensorListMetadataILi3EEENS1_24BinaryOpListAlphaFunctorIsLi3ELi2ELi2EEEJSt7dividesIsEsEEEvT_T0_DpT1_ ; -- Begin function _ZN2at6native12_GLOBAL__N_125multi_tensor_apply_kernelINS1_18TensorListMetadataILi3EEENS1_24BinaryOpListAlphaFunctorIsLi3ELi2ELi2EEEJSt7dividesIsEsEEEvT_T0_DpT1_
	.p2align	8
	.type	_ZN2at6native12_GLOBAL__N_125multi_tensor_apply_kernelINS1_18TensorListMetadataILi3EEENS1_24BinaryOpListAlphaFunctorIsLi3ELi2ELi2EEEJSt7dividesIsEsEEEvT_T0_DpT1_,@function
_ZN2at6native12_GLOBAL__N_125multi_tensor_apply_kernelINS1_18TensorListMetadataILi3EEENS1_24BinaryOpListAlphaFunctorIsLi3ELi2ELi2EEEJSt7dividesIsEsEEEvT_T0_DpT1_: ; @_ZN2at6native12_GLOBAL__N_125multi_tensor_apply_kernelINS1_18TensorListMetadataILi3EEENS1_24BinaryOpListAlphaFunctorIsLi3ELi2ELi2EEEJSt7dividesIsEsEEEvT_T0_DpT1_
; %bb.0:
	v_mov_b32_e32 v1, s15
	s_mul_i32 s4, s15, 3
	s_mul_hi_u32 s3, s15, 3
	s_mov_b32 s19, 0
	s_load_b32 s2, s[0:1], 0xc48
	global_load_u8 v1, v1, s[0:1] offset:1536
	s_mov_b32 s21, s19
	s_waitcnt lgkmcnt(0)
	s_lshr_b32 s16, s2, 16
	s_add_u32 s2, s0, s15
	s_addc_u32 s5, s1, 0
	s_add_u32 s2, s2, s4
	s_addc_u32 s3, s5, s3
	s_load_b32 s2, s[2:3], 0x740
	s_waitcnt vmcnt(0)
	v_readfirstlane_b32 s4, v1
	s_delay_alu instid0(VALU_DEP_1)
	s_lshl_b32 s3, s4, 3
	s_clause 0x3
	s_load_b64 s[12:13], s[0:1], s3 offset:0x180
	s_load_b64 s[10:11], s[0:1], s3 offset:0x300
	;; [unrolled: 1-line block ×4, first 2 shown]
	s_waitcnt lgkmcnt(0)
	s_ashr_i32 s3, s2, 31
	s_delay_alu instid0(SALU_CYCLE_1) | instskip(NEXT) | instid1(SALU_CYCLE_1)
	s_lshl_b64 s[4:5], s[2:3], 17
	s_add_u32 s6, s12, s4
	s_delay_alu instid0(SALU_CYCLE_1) | instskip(SKIP_2) | instid1(SALU_CYCLE_1)
	s_or_b32 s6, s10, s6
	s_and_b32 s18, s14, 7
	s_and_b32 s6, s6, 7
	s_cmp_lg_u32 s6, 0
	s_cselect_b32 s17, -1, 0
	s_lshl_b64 s[2:3], s[2:3], 16
	s_delay_alu instid0(SALU_CYCLE_1) | instskip(SKIP_2) | instid1(SALU_CYCLE_1)
	s_sub_u32 s6, s8, s2
	s_subb_u32 s7, s9, s3
	s_and_b32 s20, s8, 3
	s_or_b64 s[2:3], s[18:19], s[20:21]
	s_delay_alu instid0(SALU_CYCLE_1) | instskip(SKIP_1) | instid1(SALU_CYCLE_1)
	s_cmp_lg_u64 s[2:3], 0
	s_cselect_b32 s2, -1, 0
	s_or_b32 s2, s17, s2
	s_delay_alu instid0(SALU_CYCLE_1)
	s_and_not1_b32 vcc_lo, exec_lo, s2
	s_mov_b32 s2, -1
	s_cbranch_vccz .LBB88_5
; %bb.1:
	v_dual_mov_b32 v2, 0 :: v_dual_lshlrev_b32 v1, 2, v0
	s_mov_b32 s8, exec_lo
	s_delay_alu instid0(VALU_DEP_1)
	v_cmpx_gt_i64_e64 s[6:7], v[1:2]
	s_cbranch_execz .LBB88_4
; %bb.2:
	s_load_b32 s2, s[0:1], 0xc5c
	v_lshlrev_b32_e32 v1, 3, v0
	s_mov_b32 s9, 0
	s_delay_alu instid0(VALU_DEP_1) | instskip(NEXT) | instid1(VALU_DEP_1)
	v_add_co_u32 v3, s3, s4, v1
	v_add_co_ci_u32_e64 v4, null, s5, 0, s3
	s_waitcnt lgkmcnt(0)
	s_and_b32 s2, s2, 0xffff
	s_delay_alu instid0(SALU_CYCLE_1)
	v_add_lshl_u32 v1, v0, s2, 2
	s_lshl_b32 s17, s2, 3
	s_lshl_b32 s18, s2, 2
.LBB88_3:                               ; =>This Inner Loop Header: Depth=1
	v_add_co_u32 v5, vcc_lo, s12, v3
	v_add_co_ci_u32_e32 v6, vcc_lo, s13, v4, vcc_lo
	v_add_co_u32 v7, vcc_lo, s14, v3
	v_add_co_ci_u32_e32 v8, vcc_lo, s15, v4, vcc_lo
	v_add_co_u32 v9, vcc_lo, s10, v3
	global_load_b64 v[5:6], v[5:6], off
	global_load_b64 v[7:8], v[7:8], off
	v_add_co_u32 v3, s3, v3, s17
	v_add_co_ci_u32_e32 v10, vcc_lo, s11, v4, vcc_lo
	v_add_co_ci_u32_e64 v4, s3, 0, v4, s3
	v_cmp_le_i64_e32 vcc_lo, s[6:7], v[1:2]
	v_cmp_lt_u64_e64 s2, 0xffff, v[1:2]
	s_delay_alu instid0(VALU_DEP_1) | instskip(NEXT) | instid1(SALU_CYCLE_1)
	s_or_b32 s2, vcc_lo, s2
	s_and_b32 s2, exec_lo, s2
	s_delay_alu instid0(SALU_CYCLE_1)
	s_or_b32 s9, s2, s9
	s_waitcnt vmcnt(1)
	v_mul_lo_u16 v11, v5, s16
	v_mul_lo_u16 v14, v6, s16
	v_lshrrev_b32_e32 v6, 16, v6
	s_waitcnt vmcnt(0)
	v_bfe_i32 v12, v7, 0, 16
	v_lshrrev_b32_e32 v5, 16, v5
	v_ashrrev_i32_e32 v13, 16, v7
	v_alignbit_b32 v7, v8, v7, 16
	v_bfe_i32 v11, v11, 0, 16
	v_mul_lo_u16 v6, v6, s16
	v_ashrrev_i32_e32 v8, 16, v8
	v_cvt_f32_i32_e32 v15, v12
	v_mul_lo_u16 v5, v5, s16
	v_ashrrev_i32_e32 v7, 16, v7
	v_bfe_i32 v14, v14, 0, 16
	v_xor_b32_e32 v12, v12, v11
	v_cvt_f32_i32_e32 v11, v11
	v_bfe_i32 v6, v6, 0, 16
	v_cvt_f32_i32_e32 v17, v8
	v_bfe_i32 v5, v5, 0, 16
	v_xor_b32_e32 v18, v7, v14
	v_cvt_f32_i32_e32 v14, v14
	v_rcp_iflag_f32_e32 v19, v11
	v_xor_b32_e32 v8, v8, v6
	v_cvt_f32_i32_e32 v6, v6
	v_cvt_f32_i32_e32 v16, v13
	v_xor_b32_e32 v13, v13, v5
	v_cvt_f32_i32_e32 v5, v5
	v_rcp_iflag_f32_e32 v20, v14
	v_rcp_iflag_f32_e32 v22, v6
	v_cvt_f32_i32_e32 v7, v7
	v_ashrrev_i32_e32 v12, 30, v12
	v_rcp_iflag_f32_e32 v21, v5
	v_mul_f32_e32 v19, v15, v19
	v_ashrrev_i32_e32 v18, 30, v18
	v_ashrrev_i32_e32 v13, 30, v13
	v_or_b32_e32 v12, 1, v12
	v_ashrrev_i32_e32 v8, 30, v8
	v_mul_f32_e32 v20, v7, v20
	v_mul_f32_e32 v22, v17, v22
	v_trunc_f32_e32 v19, v19
	v_or_b32_e32 v18, 1, v18
	v_mul_f32_e32 v21, v16, v21
	v_trunc_f32_e32 v20, v20
	v_trunc_f32_e32 v22, v22
	v_fma_f32 v15, -v19, v11, v15
	v_or_b32_e32 v13, 1, v13
	v_trunc_f32_e32 v21, v21
	v_fma_f32 v7, -v20, v14, v7
	v_or_b32_e32 v8, 1, v8
	v_cmp_ge_f32_e64 s3, |v15|, |v11|
	v_cvt_i32_f32_e32 v19, v19
	v_cvt_i32_f32_e32 v20, v20
	;; [unrolled: 1-line block ×3, first 2 shown]
	s_delay_alu instid0(VALU_DEP_4)
	v_cndmask_b32_e64 v11, 0, v12, s3
	v_fma_f32 v12, -v21, v5, v16
	v_cmp_ge_f32_e64 s3, |v7|, |v14|
	v_fma_f32 v14, -v22, v6, v17
	v_cvt_i32_f32_e32 v16, v22
	v_add_nc_u32_e32 v11, v19, v11
	s_delay_alu instid0(VALU_DEP_4) | instskip(SKIP_1) | instid1(VALU_DEP_2)
	v_cndmask_b32_e64 v7, 0, v18, s3
	v_cmp_ge_f32_e64 s3, |v12|, |v5|
	v_add_nc_u32_e32 v7, v20, v7
	s_delay_alu instid0(VALU_DEP_2) | instskip(SKIP_1) | instid1(VALU_DEP_3)
	v_cndmask_b32_e64 v5, 0, v13, s3
	v_cmp_ge_f32_e64 s3, |v14|, |v6|
	v_and_b32_e32 v7, 0xffff, v7
	s_delay_alu instid0(VALU_DEP_3) | instskip(NEXT) | instid1(VALU_DEP_3)
	v_add_nc_u32_e32 v5, v15, v5
	v_cndmask_b32_e64 v6, 0, v8, s3
	v_and_b32_e32 v8, 0xffff, v11
	v_add_co_u32 v1, s3, v1, s18
	s_delay_alu instid0(VALU_DEP_1) | instskip(NEXT) | instid1(VALU_DEP_4)
	v_add_co_ci_u32_e64 v2, s3, 0, v2, s3
	v_add_lshl_u32 v6, v16, v6, 16
	s_delay_alu instid0(VALU_DEP_4) | instskip(NEXT) | instid1(VALU_DEP_2)
	v_lshl_or_b32 v5, v5, 16, v8
	v_or_b32_e32 v6, v7, v6
	global_store_b64 v[9:10], v[5:6], off
	s_and_not1_b32 exec_lo, exec_lo, s9
	s_cbranch_execnz .LBB88_3
.LBB88_4:
	s_or_b32 exec_lo, exec_lo, s8
	s_mov_b32 s2, 0
.LBB88_5:
	s_delay_alu instid0(SALU_CYCLE_1)
	s_and_not1_b32 vcc_lo, exec_lo, s2
	s_cbranch_vccnz .LBB88_25
; %bb.6:
	v_cmp_lt_i64_e64 s2, s[6:7], 1
	s_delay_alu instid0(VALU_DEP_1)
	s_and_b32 vcc_lo, exec_lo, s2
	s_cbranch_vccnz .LBB88_25
; %bb.7:
	s_load_b32 s0, s[0:1], 0xc5c
	v_dual_mov_b32 v2, 0 :: v_dual_lshlrev_b32 v1, 1, v0
	v_cmp_gt_u64_e64 s1, 0x10000, s[6:7]
	s_delay_alu instid0(VALU_DEP_2) | instskip(NEXT) | instid1(VALU_DEP_1)
	v_add_co_u32 v3, s2, s14, v1
	v_add_co_ci_u32_e64 v4, null, s15, 0, s2
	v_add_co_u32 v5, s2, s12, v1
	s_delay_alu instid0(VALU_DEP_1) | instskip(SKIP_1) | instid1(VALU_DEP_1)
	v_add_co_ci_u32_e64 v6, null, s13, 0, s2
	v_add_co_u32 v7, s2, s10, v1
	v_add_co_ci_u32_e64 v8, null, s11, 0, s2
	s_waitcnt lgkmcnt(0)
	s_and_b32 s0, s0, 0xffff
	s_and_b32 s1, s1, exec_lo
	v_mad_u64_u32 v[13:14], null, s0, 6, v[1:2]
	s_cselect_b32 s9, s7, 0
	s_cselect_b32 s8, s6, 0x10000
	s_lshl_b32 s17, s0, 2
	s_mul_i32 s2, s0, 3
	v_add_co_u32 v1, s3, s17, v1
	s_delay_alu instid0(VALU_DEP_2) | instskip(NEXT) | instid1(VALU_DEP_3)
	v_add_co_u32 v9, vcc_lo, s14, v13
	v_add_co_ci_u32_e32 v10, vcc_lo, s15, v14, vcc_lo
	v_add_co_u32 v11, vcc_lo, s12, v13
	v_add_co_ci_u32_e32 v12, vcc_lo, s13, v14, vcc_lo
	v_add_co_u32 v13, vcc_lo, s10, v13
	v_add_co_ci_u32_e64 v2, null, 0, 0, s3
	v_add_co_ci_u32_e32 v14, vcc_lo, s11, v14, vcc_lo
	v_add_co_u32 v15, s2, s2, v0
	v_add_co_u32 v17, vcc_lo, s14, v1
	v_add_co_ci_u32_e64 v16, null, 0, 0, s2
	v_add_co_u32 v21, s2, v0, s0
	v_add_co_ci_u32_e32 v18, vcc_lo, s15, v2, vcc_lo
	v_add_co_u32 v19, vcc_lo, s12, v1
	v_add_co_ci_u32_e32 v20, vcc_lo, s13, v2, vcc_lo
	v_add_co_u32 v22, vcc_lo, s10, v1
	v_lshlrev_b32_e32 v1, 1, v21
	s_lshl_b32 s1, s0, 1
	v_add_co_ci_u32_e32 v23, vcc_lo, s11, v2, vcc_lo
	v_add_co_u32 v25, s1, s1, v0
	s_delay_alu instid0(VALU_DEP_1) | instskip(SKIP_1) | instid1(VALU_DEP_1)
	v_add_co_ci_u32_e64 v26, null, 0, 0, s1
	v_add_co_u32 v27, s1, s14, v1
	v_add_co_ci_u32_e64 v28, null, s15, 0, s1
	v_add_co_u32 v29, s1, s12, v1
	s_delay_alu instid0(VALU_DEP_1)
	v_add_co_ci_u32_e64 v30, null, s13, 0, s1
	v_add_co_u32 v31, s1, s10, v1
	v_add_co_ci_u32_e64 v24, null, 0, 0, s2
	v_add_co_ci_u32_e64 v32, null, s11, 0, s1
	s_mov_b32 s12, 0
	s_lshl_b32 s13, s0, 3
	s_mov_b64 s[10:11], 0
	s_branch .LBB88_9
.LBB88_8:                               ;   in Loop: Header=BB88_9 Depth=1
	s_or_b32 exec_lo, exec_lo, s0
	v_add_co_u32 v3, vcc_lo, v3, s13
	v_add_co_ci_u32_e32 v4, vcc_lo, 0, v4, vcc_lo
	v_add_co_u32 v5, vcc_lo, v5, s13
	v_add_co_ci_u32_e32 v6, vcc_lo, 0, v6, vcc_lo
	;; [unrolled: 2-line block ×9, first 2 shown]
	s_add_u32 s10, s10, s17
	v_add_co_u32 v27, vcc_lo, v27, s13
	s_addc_u32 s11, s11, 0
	v_add_co_ci_u32_e32 v28, vcc_lo, 0, v28, vcc_lo
	v_cmp_ge_i64_e64 s0, s[10:11], s[6:7]
	v_cmp_lt_u64_e64 s1, 0xffff, s[10:11]
	v_add_co_u32 v29, vcc_lo, v29, s13
	v_add_co_ci_u32_e32 v30, vcc_lo, 0, v30, vcc_lo
	v_add_co_u32 v31, vcc_lo, v31, s13
	v_add_co_ci_u32_e32 v32, vcc_lo, 0, v32, vcc_lo
	s_or_b32 s0, s0, s1
	s_delay_alu instid0(SALU_CYCLE_1)
	s_and_b32 vcc_lo, exec_lo, s0
	s_cbranch_vccnz .LBB88_25
.LBB88_9:                               ; =>This Inner Loop Header: Depth=1
	v_add_co_u32 v1, s0, v0, s10
	s_delay_alu instid0(VALU_DEP_1) | instskip(SKIP_2) | instid1(VALU_DEP_2)
	v_add_co_ci_u32_e64 v2, null, 0, s11, s0
	s_waitcnt vmcnt(0)
	v_mov_b32_e32 v34, 0
	v_cmp_gt_u64_e32 vcc_lo, s[8:9], v[1:2]
	v_mov_b32_e32 v1, 0
	v_mov_b32_e32 v2, 0
	s_and_saveexec_b32 s1, vcc_lo
	s_cbranch_execz .LBB88_11
; %bb.10:                               ;   in Loop: Header=BB88_9 Depth=1
	v_add_co_u32 v1, s0, v3, s4
	s_delay_alu instid0(VALU_DEP_1) | instskip(SKIP_2) | instid1(VALU_DEP_1)
	v_add_co_ci_u32_e64 v2, s0, s5, v4, s0
	global_load_u16 v33, v[1:2], off
	v_add_co_u32 v1, s0, v5, s4
	v_add_co_ci_u32_e64 v2, s0, s5, v6, s0
	global_load_u16 v34, v[1:2], off
	s_waitcnt vmcnt(1)
	v_dual_mov_b32 v2, s12 :: v_dual_and_b32 v1, 0xffff, v33
.LBB88_11:                              ;   in Loop: Header=BB88_9 Depth=1
	s_or_b32 exec_lo, exec_lo, s1
	v_add_co_u32 v35, s0, v21, s10
	s_delay_alu instid0(VALU_DEP_1) | instskip(SKIP_1) | instid1(VALU_DEP_2)
	v_add_co_ci_u32_e64 v36, s0, s11, v24, s0
	v_mov_b32_e32 v33, 0
	v_cmp_gt_u64_e64 s0, s[8:9], v[35:36]
	v_mov_b32_e32 v35, 0
	s_delay_alu instid0(VALU_DEP_2)
	s_and_saveexec_b32 s2, s0
	s_cbranch_execz .LBB88_13
; %bb.12:                               ;   in Loop: Header=BB88_9 Depth=1
	v_add_co_u32 v35, s1, v27, s4
	s_delay_alu instid0(VALU_DEP_1) | instskip(SKIP_2) | instid1(VALU_DEP_1)
	v_add_co_ci_u32_e64 v36, s1, s5, v28, s1
	global_load_u16 v37, v[35:36], off
	v_add_co_u32 v35, s1, v29, s4
	v_add_co_ci_u32_e64 v36, s1, s5, v30, s1
	global_load_u16 v35, v[35:36], off
	s_waitcnt vmcnt(1)
	v_lshl_or_b32 v1, v37, 16, v1
.LBB88_13:                              ;   in Loop: Header=BB88_9 Depth=1
	s_or_b32 exec_lo, exec_lo, s2
	v_add_co_u32 v36, s1, v25, s10
	s_delay_alu instid0(VALU_DEP_1) | instskip(NEXT) | instid1(VALU_DEP_1)
	v_add_co_ci_u32_e64 v37, s1, s11, v26, s1
	v_cmp_gt_u64_e64 s2, s[8:9], v[36:37]
	s_delay_alu instid0(VALU_DEP_1)
	s_and_saveexec_b32 s3, s2
	s_cbranch_execz .LBB88_15
; %bb.14:                               ;   in Loop: Header=BB88_9 Depth=1
	v_add_co_u32 v36, s1, v17, s4
	s_delay_alu instid0(VALU_DEP_1) | instskip(SKIP_2) | instid1(VALU_DEP_1)
	v_add_co_ci_u32_e64 v37, s1, s5, v18, s1
	global_load_u16 v38, v[36:37], off
	v_add_co_u32 v36, s1, v19, s4
	v_add_co_ci_u32_e64 v37, s1, s5, v20, s1
	global_load_u16 v33, v[36:37], off
	s_waitcnt vmcnt(1)
	v_or_b32_e32 v2, v38, v2
.LBB88_15:                              ;   in Loop: Header=BB88_9 Depth=1
	s_or_b32 exec_lo, exec_lo, s3
	v_add_co_u32 v36, s1, v15, s10
	s_delay_alu instid0(VALU_DEP_1) | instskip(NEXT) | instid1(VALU_DEP_1)
	v_add_co_ci_u32_e64 v37, s1, s11, v16, s1
	v_cmp_gt_u64_e64 s1, s[8:9], v[36:37]
	v_mov_b32_e32 v36, 0
	s_delay_alu instid0(VALU_DEP_2)
	s_and_saveexec_b32 s14, s1
	s_cbranch_execnz .LBB88_20
; %bb.16:                               ;   in Loop: Header=BB88_9 Depth=1
	s_or_b32 exec_lo, exec_lo, s14
	s_and_saveexec_b32 s3, vcc_lo
	s_cbranch_execnz .LBB88_21
.LBB88_17:                              ;   in Loop: Header=BB88_9 Depth=1
	s_or_b32 exec_lo, exec_lo, s3
	s_and_saveexec_b32 s3, s0
	s_cbranch_execnz .LBB88_22
.LBB88_18:                              ;   in Loop: Header=BB88_9 Depth=1
	s_or_b32 exec_lo, exec_lo, s3
	s_and_saveexec_b32 s0, s2
	s_cbranch_execnz .LBB88_23
.LBB88_19:                              ;   in Loop: Header=BB88_9 Depth=1
	s_or_b32 exec_lo, exec_lo, s0
	s_and_saveexec_b32 s0, s1
	s_cbranch_execz .LBB88_8
	s_branch .LBB88_24
.LBB88_20:                              ;   in Loop: Header=BB88_9 Depth=1
	v_add_co_u32 v36, s3, v9, s4
	s_delay_alu instid0(VALU_DEP_1) | instskip(SKIP_3) | instid1(VALU_DEP_1)
	v_add_co_ci_u32_e64 v37, s3, s5, v10, s3
	v_mov_b32_e32 v38, 0
	global_load_d16_hi_b16 v38, v[36:37], off
	v_add_co_u32 v36, s3, v11, s4
	v_add_co_ci_u32_e64 v37, s3, s5, v12, s3
	global_load_u16 v36, v[36:37], off
	s_waitcnt vmcnt(1)
	v_or_b32_e32 v2, v38, v2
	s_or_b32 exec_lo, exec_lo, s14
	s_and_saveexec_b32 s3, vcc_lo
	s_cbranch_execz .LBB88_17
.LBB88_21:                              ;   in Loop: Header=BB88_9 Depth=1
	s_waitcnt vmcnt(0)
	v_mul_lo_u16 v34, v34, s16
	v_bfe_i32 v38, v1, 0, 16
	s_delay_alu instid0(VALU_DEP_2) | instskip(NEXT) | instid1(VALU_DEP_2)
	v_bfe_i32 v34, v34, 0, 16
	v_cvt_f32_i32_e32 v40, v38
	s_delay_alu instid0(VALU_DEP_2) | instskip(SKIP_1) | instid1(VALU_DEP_2)
	v_cvt_f32_i32_e32 v37, v34
	v_xor_b32_e32 v34, v38, v34
	v_rcp_iflag_f32_e32 v39, v37
	s_delay_alu instid0(VALU_DEP_1) | instskip(NEXT) | instid1(VALU_DEP_1)
	v_ashrrev_i32_e32 v34, 30, v34
	v_or_b32_e32 v34, 1, v34
	s_waitcnt_depctr 0xfff
	v_mul_f32_e32 v39, v40, v39
	s_delay_alu instid0(VALU_DEP_1) | instskip(NEXT) | instid1(VALU_DEP_1)
	v_trunc_f32_e32 v38, v39
	v_fma_f32 v39, -v38, v37, v40
	v_cvt_i32_f32_e32 v38, v38
	s_delay_alu instid0(VALU_DEP_2) | instskip(SKIP_2) | instid1(VALU_DEP_2)
	v_cmp_ge_f32_e64 vcc_lo, |v39|, |v37|
	v_cndmask_b32_e32 v34, 0, v34, vcc_lo
	v_add_co_u32 v37, vcc_lo, v7, s4
	v_add_nc_u32_e32 v34, v38, v34
	v_add_co_ci_u32_e32 v38, vcc_lo, s5, v8, vcc_lo
	global_store_b16 v[37:38], v34, off
	s_or_b32 exec_lo, exec_lo, s3
	s_and_saveexec_b32 s3, s0
	s_cbranch_execz .LBB88_18
.LBB88_22:                              ;   in Loop: Header=BB88_9 Depth=1
	s_waitcnt vmcnt(0)
	v_mul_lo_u16 v34, v35, s16
	v_ashrrev_i32_e32 v37, 16, v1
	s_delay_alu instid0(VALU_DEP_2) | instskip(NEXT) | instid1(VALU_DEP_2)
	v_bfe_i32 v34, v34, 0, 16
	v_cvt_f32_i32_e32 v39, v37
	s_delay_alu instid0(VALU_DEP_2) | instskip(SKIP_1) | instid1(VALU_DEP_2)
	v_cvt_f32_i32_e32 v35, v34
	v_xor_b32_e32 v34, v37, v34
	v_rcp_iflag_f32_e32 v38, v35
	s_delay_alu instid0(VALU_DEP_1) | instskip(NEXT) | instid1(VALU_DEP_1)
	v_ashrrev_i32_e32 v34, 30, v34
	v_or_b32_e32 v34, 1, v34
	s_waitcnt_depctr 0xfff
	v_mul_f32_e32 v38, v39, v38
	s_delay_alu instid0(VALU_DEP_1) | instskip(NEXT) | instid1(VALU_DEP_1)
	v_trunc_f32_e32 v37, v38
	v_fma_f32 v38, -v37, v35, v39
	v_cvt_i32_f32_e32 v37, v37
	s_delay_alu instid0(VALU_DEP_2) | instskip(SKIP_1) | instid1(VALU_DEP_1)
	v_cmp_ge_f32_e64 vcc_lo, |v38|, |v35|
	v_cndmask_b32_e32 v34, 0, v34, vcc_lo
	v_add_nc_u32_e32 v37, v37, v34
	v_add_co_u32 v34, vcc_lo, v31, s4
	v_add_co_ci_u32_e32 v35, vcc_lo, s5, v32, vcc_lo
	global_store_b16 v[34:35], v37, off
	s_or_b32 exec_lo, exec_lo, s3
	s_and_saveexec_b32 s0, s2
	s_cbranch_execz .LBB88_19
.LBB88_23:                              ;   in Loop: Header=BB88_9 Depth=1
	s_waitcnt vmcnt(0)
	v_mul_lo_u16 v33, v33, s16
	v_alignbit_b32 v34, v2, v1, 16
	s_delay_alu instid0(VALU_DEP_2) | instskip(NEXT) | instid1(VALU_DEP_2)
	v_bfe_i32 v33, v33, 0, 16
	v_ashrrev_i32_e32 v34, 16, v34
	s_delay_alu instid0(VALU_DEP_2) | instskip(NEXT) | instid1(VALU_DEP_2)
	v_cvt_f32_i32_e32 v35, v33
	v_cvt_f32_i32_e32 v38, v34
	v_xor_b32_e32 v33, v34, v33
	s_delay_alu instid0(VALU_DEP_3) | instskip(NEXT) | instid1(VALU_DEP_1)
	v_rcp_iflag_f32_e32 v37, v35
	v_ashrrev_i32_e32 v33, 30, v33
	s_delay_alu instid0(VALU_DEP_1) | instskip(SKIP_2) | instid1(VALU_DEP_1)
	v_or_b32_e32 v33, 1, v33
	s_waitcnt_depctr 0xfff
	v_mul_f32_e32 v37, v38, v37
	v_trunc_f32_e32 v34, v37
	s_delay_alu instid0(VALU_DEP_1) | instskip(SKIP_1) | instid1(VALU_DEP_2)
	v_fma_f32 v37, -v34, v35, v38
	v_cvt_i32_f32_e32 v34, v34
	v_cmp_ge_f32_e64 vcc_lo, |v37|, |v35|
	v_cndmask_b32_e32 v33, 0, v33, vcc_lo
	s_delay_alu instid0(VALU_DEP_1)
	v_add_nc_u32_e32 v35, v34, v33
	v_add_co_u32 v33, vcc_lo, v22, s4
	v_add_co_ci_u32_e32 v34, vcc_lo, s5, v23, vcc_lo
	global_store_b16 v[33:34], v35, off
	s_or_b32 exec_lo, exec_lo, s0
	s_and_saveexec_b32 s0, s1
	s_cbranch_execz .LBB88_8
.LBB88_24:                              ;   in Loop: Header=BB88_9 Depth=1
	s_waitcnt vmcnt(0)
	v_mul_lo_u16 v33, v36, s16
	v_ashrrev_i64 v[1:2], 48, v[1:2]
	s_delay_alu instid0(VALU_DEP_2) | instskip(NEXT) | instid1(VALU_DEP_2)
	v_bfe_i32 v33, v33, 0, 16
	v_cvt_f32_i32_e32 v35, v1
	s_delay_alu instid0(VALU_DEP_2) | instskip(SKIP_1) | instid1(VALU_DEP_2)
	v_cvt_f32_i32_e32 v34, v33
	v_xor_b32_e32 v1, v1, v33
	v_rcp_iflag_f32_e32 v2, v34
	s_delay_alu instid0(VALU_DEP_1) | instskip(NEXT) | instid1(VALU_DEP_1)
	v_ashrrev_i32_e32 v1, 30, v1
	v_or_b32_e32 v1, 1, v1
	s_waitcnt_depctr 0xfff
	v_mul_f32_e32 v2, v35, v2
	s_delay_alu instid0(VALU_DEP_1) | instskip(NEXT) | instid1(VALU_DEP_1)
	v_trunc_f32_e32 v2, v2
	v_fma_f32 v33, -v2, v34, v35
	v_cvt_i32_f32_e32 v2, v2
	s_delay_alu instid0(VALU_DEP_2) | instskip(SKIP_1) | instid1(VALU_DEP_1)
	v_cmp_ge_f32_e64 vcc_lo, |v33|, |v34|
	v_cndmask_b32_e32 v1, 0, v1, vcc_lo
	v_add_nc_u32_e32 v33, v2, v1
	v_add_co_u32 v1, vcc_lo, v13, s4
	v_add_co_ci_u32_e32 v2, vcc_lo, s5, v14, vcc_lo
	global_store_b16 v[1:2], v33, off
	s_branch .LBB88_8
.LBB88_25:
	s_nop 0
	s_sendmsg sendmsg(MSG_DEALLOC_VGPRS)
	s_endpgm
	.section	.rodata,"a",@progbits
	.p2align	6, 0x0
	.amdhsa_kernel _ZN2at6native12_GLOBAL__N_125multi_tensor_apply_kernelINS1_18TensorListMetadataILi3EEENS1_24BinaryOpListAlphaFunctorIsLi3ELi2ELi2EEEJSt7dividesIsEsEEEvT_T0_DpT1_
		.amdhsa_group_segment_fixed_size 0
		.amdhsa_private_segment_fixed_size 0
		.amdhsa_kernarg_size 3408
		.amdhsa_user_sgpr_count 15
		.amdhsa_user_sgpr_dispatch_ptr 0
		.amdhsa_user_sgpr_queue_ptr 0
		.amdhsa_user_sgpr_kernarg_segment_ptr 1
		.amdhsa_user_sgpr_dispatch_id 0
		.amdhsa_user_sgpr_private_segment_size 0
		.amdhsa_wavefront_size32 1
		.amdhsa_uses_dynamic_stack 0
		.amdhsa_enable_private_segment 0
		.amdhsa_system_sgpr_workgroup_id_x 1
		.amdhsa_system_sgpr_workgroup_id_y 0
		.amdhsa_system_sgpr_workgroup_id_z 0
		.amdhsa_system_sgpr_workgroup_info 0
		.amdhsa_system_vgpr_workitem_id 0
		.amdhsa_next_free_vgpr 41
		.amdhsa_next_free_sgpr 22
		.amdhsa_reserve_vcc 1
		.amdhsa_float_round_mode_32 0
		.amdhsa_float_round_mode_16_64 0
		.amdhsa_float_denorm_mode_32 3
		.amdhsa_float_denorm_mode_16_64 3
		.amdhsa_dx10_clamp 1
		.amdhsa_ieee_mode 1
		.amdhsa_fp16_overflow 0
		.amdhsa_workgroup_processor_mode 1
		.amdhsa_memory_ordered 1
		.amdhsa_forward_progress 0
		.amdhsa_shared_vgpr_count 0
		.amdhsa_exception_fp_ieee_invalid_op 0
		.amdhsa_exception_fp_denorm_src 0
		.amdhsa_exception_fp_ieee_div_zero 0
		.amdhsa_exception_fp_ieee_overflow 0
		.amdhsa_exception_fp_ieee_underflow 0
		.amdhsa_exception_fp_ieee_inexact 0
		.amdhsa_exception_int_div_zero 0
	.end_amdhsa_kernel
	.section	.text._ZN2at6native12_GLOBAL__N_125multi_tensor_apply_kernelINS1_18TensorListMetadataILi3EEENS1_24BinaryOpListAlphaFunctorIsLi3ELi2ELi2EEEJSt7dividesIsEsEEEvT_T0_DpT1_,"axG",@progbits,_ZN2at6native12_GLOBAL__N_125multi_tensor_apply_kernelINS1_18TensorListMetadataILi3EEENS1_24BinaryOpListAlphaFunctorIsLi3ELi2ELi2EEEJSt7dividesIsEsEEEvT_T0_DpT1_,comdat
.Lfunc_end88:
	.size	_ZN2at6native12_GLOBAL__N_125multi_tensor_apply_kernelINS1_18TensorListMetadataILi3EEENS1_24BinaryOpListAlphaFunctorIsLi3ELi2ELi2EEEJSt7dividesIsEsEEEvT_T0_DpT1_, .Lfunc_end88-_ZN2at6native12_GLOBAL__N_125multi_tensor_apply_kernelINS1_18TensorListMetadataILi3EEENS1_24BinaryOpListAlphaFunctorIsLi3ELi2ELi2EEEJSt7dividesIsEsEEEvT_T0_DpT1_
                                        ; -- End function
	.section	.AMDGPU.csdata,"",@progbits
; Kernel info:
; codeLenInByte = 2548
; NumSgprs: 24
; NumVgprs: 41
; ScratchSize: 0
; MemoryBound: 0
; FloatMode: 240
; IeeeMode: 1
; LDSByteSize: 0 bytes/workgroup (compile time only)
; SGPRBlocks: 2
; VGPRBlocks: 5
; NumSGPRsForWavesPerEU: 24
; NumVGPRsForWavesPerEU: 41
; Occupancy: 16
; WaveLimiterHint : 0
; COMPUTE_PGM_RSRC2:SCRATCH_EN: 0
; COMPUTE_PGM_RSRC2:USER_SGPR: 15
; COMPUTE_PGM_RSRC2:TRAP_HANDLER: 0
; COMPUTE_PGM_RSRC2:TGID_X_EN: 1
; COMPUTE_PGM_RSRC2:TGID_Y_EN: 0
; COMPUTE_PGM_RSRC2:TGID_Z_EN: 0
; COMPUTE_PGM_RSRC2:TIDIG_COMP_CNT: 0
	.section	.text._ZN2at6native12_GLOBAL__N_125multi_tensor_apply_kernelINS1_18TensorListMetadataILi3EEENS1_24BinaryOpListAlphaFunctorIdLi3ELi2ELi2EEEJSt7dividesIdEdEEEvT_T0_DpT1_,"axG",@progbits,_ZN2at6native12_GLOBAL__N_125multi_tensor_apply_kernelINS1_18TensorListMetadataILi3EEENS1_24BinaryOpListAlphaFunctorIdLi3ELi2ELi2EEEJSt7dividesIdEdEEEvT_T0_DpT1_,comdat
	.globl	_ZN2at6native12_GLOBAL__N_125multi_tensor_apply_kernelINS1_18TensorListMetadataILi3EEENS1_24BinaryOpListAlphaFunctorIdLi3ELi2ELi2EEEJSt7dividesIdEdEEEvT_T0_DpT1_ ; -- Begin function _ZN2at6native12_GLOBAL__N_125multi_tensor_apply_kernelINS1_18TensorListMetadataILi3EEENS1_24BinaryOpListAlphaFunctorIdLi3ELi2ELi2EEEJSt7dividesIdEdEEEvT_T0_DpT1_
	.p2align	8
	.type	_ZN2at6native12_GLOBAL__N_125multi_tensor_apply_kernelINS1_18TensorListMetadataILi3EEENS1_24BinaryOpListAlphaFunctorIdLi3ELi2ELi2EEEJSt7dividesIdEdEEEvT_T0_DpT1_,@function
_ZN2at6native12_GLOBAL__N_125multi_tensor_apply_kernelINS1_18TensorListMetadataILi3EEENS1_24BinaryOpListAlphaFunctorIdLi3ELi2ELi2EEEJSt7dividesIdEdEEEvT_T0_DpT1_: ; @_ZN2at6native12_GLOBAL__N_125multi_tensor_apply_kernelINS1_18TensorListMetadataILi3EEENS1_24BinaryOpListAlphaFunctorIdLi3ELi2ELi2EEEJSt7dividesIdEdEEEvT_T0_DpT1_
; %bb.0:
	v_mov_b32_e32 v1, s15
	s_add_u32 s2, s0, s15
	s_mul_hi_u32 s3, s15, 3
	s_mul_i32 s15, s15, 3
	s_addc_u32 s4, s1, 0
	global_load_u8 v1, v1, s[0:1] offset:1536
	s_add_u32 s2, s2, s15
	s_addc_u32 s3, s4, s3
	s_mov_b32 s25, 0
	s_load_b32 s2, s[2:3], 0x740
	s_mov_b32 s27, s25
	s_waitcnt vmcnt(0)
	v_readfirstlane_b32 s3, v1
	s_delay_alu instid0(VALU_DEP_1)
	s_lshl_b32 s3, s3, 3
	s_clause 0x3
	s_load_b64 s[12:13], s[0:1], s3 offset:0x0
	s_load_b64 s[14:15], s[0:1], s3 offset:0x180
	;; [unrolled: 1-line block ×4, first 2 shown]
	s_waitcnt lgkmcnt(0)
	s_ashr_i32 s3, s2, 31
	s_delay_alu instid0(SALU_CYCLE_1) | instskip(NEXT) | instid1(SALU_CYCLE_1)
	s_lshl_b64 s[6:7], s[2:3], 19
	s_add_u32 s5, s12, s6
	s_addc_u32 s18, s13, s7
	s_and_b32 s24, s5, 31
	s_add_u32 s19, s14, s6
	s_addc_u32 s20, s15, s7
	s_add_u32 s21, s16, s6
	s_addc_u32 s22, s17, s7
	s_or_b32 s4, s21, s19
	s_delay_alu instid0(SALU_CYCLE_1) | instskip(NEXT) | instid1(SALU_CYCLE_1)
	s_and_b32 s4, s4, 31
	s_cmp_lg_u32 s4, 0
	s_cselect_b32 s4, -1, 0
	s_lshl_b64 s[2:3], s[2:3], 16
	s_delay_alu instid0(SALU_CYCLE_1) | instskip(SKIP_4) | instid1(SALU_CYCLE_1)
	s_sub_u32 s8, s10, s2
	s_subb_u32 s9, s11, s3
	s_and_b32 s26, s10, 3
	s_load_b64 s[10:11], s[0:1], 0xc50
	s_or_b64 s[2:3], s[24:25], s[26:27]
	s_cmp_lg_u64 s[2:3], 0
	s_cselect_b32 s2, -1, 0
	s_delay_alu instid0(SALU_CYCLE_1) | instskip(NEXT) | instid1(SALU_CYCLE_1)
	s_or_b32 s2, s4, s2
	s_and_not1_b32 vcc_lo, exec_lo, s2
	s_mov_b32 s2, -1
	s_cbranch_vccz .LBB89_5
; %bb.1:
	v_dual_mov_b32 v2, 0 :: v_dual_lshlrev_b32 v1, 2, v0
	s_mov_b32 s23, exec_lo
	s_delay_alu instid0(VALU_DEP_1)
	v_cmpx_gt_i64_e64 s[8:9], v[1:2]
	s_cbranch_execz .LBB89_4
; %bb.2:
	s_load_b32 s2, s[0:1], 0xc64
	v_lshlrev_b32_e32 v3, 5, v0
	s_mov_b32 s24, 0
	s_waitcnt lgkmcnt(0)
	s_and_b32 s2, s2, 0xffff
	s_delay_alu instid0(SALU_CYCLE_1)
	v_add_lshl_u32 v1, v0, s2, 2
	s_lshl_b32 s25, s2, 2
	s_lshl_b32 s26, s2, 5
.LBB89_3:                               ; =>This Inner Loop Header: Depth=1
	v_add_co_u32 v8, s2, s19, v3
	s_delay_alu instid0(VALU_DEP_1) | instskip(SKIP_1) | instid1(VALU_DEP_1)
	v_add_co_ci_u32_e64 v9, null, s20, 0, s2
	v_add_co_u32 v16, s2, s5, v3
	v_add_co_ci_u32_e64 v17, null, s18, 0, s2
	s_clause 0x1
	global_load_b128 v[4:7], v[8:9], off
	global_load_b128 v[8:11], v[8:9], off offset:16
	s_clause 0x1
	global_load_b128 v[12:15], v[16:17], off
	global_load_b128 v[16:19], v[16:17], off offset:16
	s_waitcnt vmcnt(3)
	v_mul_f64 v[4:5], v[4:5], s[10:11]
	v_mul_f64 v[6:7], v[6:7], s[10:11]
	s_waitcnt vmcnt(2)
	v_mul_f64 v[8:9], v[8:9], s[10:11]
	v_mul_f64 v[10:11], v[10:11], s[10:11]
	s_waitcnt vmcnt(1)
	s_delay_alu instid0(VALU_DEP_4) | instskip(NEXT) | instid1(VALU_DEP_4)
	v_div_scale_f64 v[20:21], null, v[4:5], v[4:5], v[12:13]
	v_div_scale_f64 v[22:23], null, v[6:7], v[6:7], v[14:15]
	s_waitcnt vmcnt(0)
	s_delay_alu instid0(VALU_DEP_4) | instskip(NEXT) | instid1(VALU_DEP_4)
	v_div_scale_f64 v[24:25], null, v[8:9], v[8:9], v[16:17]
	v_div_scale_f64 v[26:27], null, v[10:11], v[10:11], v[18:19]
	v_div_scale_f64 v[44:45], vcc_lo, v[12:13], v[4:5], v[12:13]
	v_div_scale_f64 v[46:47], s2, v[14:15], v[6:7], v[14:15]
	v_div_scale_f64 v[48:49], s3, v[16:17], v[8:9], v[16:17]
	v_rcp_f64_e32 v[28:29], v[20:21]
	v_rcp_f64_e32 v[30:31], v[22:23]
	;; [unrolled: 1-line block ×3, first 2 shown]
	s_delay_alu instid0(VALU_DEP_4) | instskip(SKIP_1) | instid1(TRANS32_DEP_3)
	v_rcp_f64_e32 v[34:35], v[26:27]
	v_fma_f64 v[36:37], -v[20:21], v[28:29], 1.0
	v_fma_f64 v[38:39], -v[22:23], v[30:31], 1.0
	s_waitcnt_depctr 0xfff
	v_fma_f64 v[40:41], -v[24:25], v[32:33], 1.0
	v_fma_f64 v[42:43], -v[26:27], v[34:35], 1.0
	v_fma_f64 v[28:29], v[28:29], v[36:37], v[28:29]
	v_fma_f64 v[30:31], v[30:31], v[38:39], v[30:31]
	s_delay_alu instid0(VALU_DEP_4) | instskip(NEXT) | instid1(VALU_DEP_4)
	v_fma_f64 v[32:33], v[32:33], v[40:41], v[32:33]
	v_fma_f64 v[34:35], v[34:35], v[42:43], v[34:35]
	s_delay_alu instid0(VALU_DEP_4) | instskip(NEXT) | instid1(VALU_DEP_4)
	v_fma_f64 v[36:37], -v[20:21], v[28:29], 1.0
	v_fma_f64 v[38:39], -v[22:23], v[30:31], 1.0
	s_delay_alu instid0(VALU_DEP_4) | instskip(NEXT) | instid1(VALU_DEP_4)
	v_fma_f64 v[40:41], -v[24:25], v[32:33], 1.0
	v_fma_f64 v[42:43], -v[26:27], v[34:35], 1.0
	s_delay_alu instid0(VALU_DEP_4)
	v_fma_f64 v[28:29], v[28:29], v[36:37], v[28:29]
	v_div_scale_f64 v[36:37], s4, v[18:19], v[10:11], v[18:19]
	v_fma_f64 v[30:31], v[30:31], v[38:39], v[30:31]
	v_fma_f64 v[32:33], v[32:33], v[40:41], v[32:33]
	;; [unrolled: 1-line block ×3, first 2 shown]
	v_mul_f64 v[38:39], v[44:45], v[28:29]
	s_delay_alu instid0(VALU_DEP_4) | instskip(NEXT) | instid1(VALU_DEP_4)
	v_mul_f64 v[40:41], v[46:47], v[30:31]
	v_mul_f64 v[42:43], v[48:49], v[32:33]
	s_delay_alu instid0(VALU_DEP_4) | instskip(NEXT) | instid1(VALU_DEP_4)
	v_mul_f64 v[50:51], v[36:37], v[34:35]
	v_fma_f64 v[20:21], -v[20:21], v[38:39], v[44:45]
	s_delay_alu instid0(VALU_DEP_4) | instskip(NEXT) | instid1(VALU_DEP_4)
	v_fma_f64 v[22:23], -v[22:23], v[40:41], v[46:47]
	v_fma_f64 v[24:25], -v[24:25], v[42:43], v[48:49]
	s_delay_alu instid0(VALU_DEP_4) | instskip(NEXT) | instid1(VALU_DEP_4)
	v_fma_f64 v[26:27], -v[26:27], v[50:51], v[36:37]
	v_div_fmas_f64 v[20:21], v[20:21], v[28:29], v[38:39]
	s_mov_b32 vcc_lo, s2
	v_cmp_lt_u64_e64 s2, 0xffff, v[1:2]
	v_div_fmas_f64 v[22:23], v[22:23], v[30:31], v[40:41]
	s_mov_b32 vcc_lo, s3
	v_div_fmas_f64 v[24:25], v[24:25], v[32:33], v[42:43]
	s_mov_b32 vcc_lo, s4
	v_div_fmas_f64 v[26:27], v[26:27], v[34:35], v[50:51]
	v_cmp_le_i64_e32 vcc_lo, s[8:9], v[1:2]
	s_or_b32 s2, vcc_lo, s2
	s_add_u32 s5, s5, s26
	s_addc_u32 s18, s18, 0
	v_div_fixup_f64 v[4:5], v[20:21], v[4:5], v[12:13]
	v_add_co_u32 v12, s3, s21, v3
	v_div_fixup_f64 v[6:7], v[22:23], v[6:7], v[14:15]
	s_add_u32 s21, s21, s26
	v_add_co_ci_u32_e64 v13, null, s22, 0, s3
	v_div_fixup_f64 v[8:9], v[24:25], v[8:9], v[16:17]
	v_add_co_u32 v1, s3, v1, s25
	v_div_fixup_f64 v[10:11], v[26:27], v[10:11], v[18:19]
	s_addc_u32 s22, s22, 0
	s_add_u32 s19, s19, s26
	v_add_co_ci_u32_e64 v2, s3, 0, v2, s3
	s_addc_u32 s20, s20, 0
	s_and_b32 s2, exec_lo, s2
	s_clause 0x1
	global_store_b128 v[12:13], v[4:7], off
	global_store_b128 v[12:13], v[8:11], off offset:16
	s_or_b32 s24, s2, s24
	s_delay_alu instid0(SALU_CYCLE_1)
	s_and_not1_b32 exec_lo, exec_lo, s24
	s_cbranch_execnz .LBB89_3
.LBB89_4:
	s_or_b32 exec_lo, exec_lo, s23
	s_mov_b32 s2, 0
.LBB89_5:
	s_delay_alu instid0(SALU_CYCLE_1)
	s_and_not1_b32 vcc_lo, exec_lo, s2
	s_cbranch_vccnz .LBB89_25
; %bb.6:
	v_cmp_lt_i64_e64 s2, s[8:9], 1
	s_delay_alu instid0(VALU_DEP_1)
	s_and_b32 vcc_lo, exec_lo, s2
	s_cbranch_vccnz .LBB89_25
; %bb.7:
	s_load_b32 s0, s[0:1], 0xc64
	v_dual_mov_b32 v2, 0 :: v_dual_lshlrev_b32 v1, 3, v0
	v_cmp_gt_u64_e64 s1, 0x10000, s[8:9]
	s_delay_alu instid0(VALU_DEP_2) | instskip(NEXT) | instid1(VALU_DEP_1)
	v_add_co_u32 v17, s2, s12, v1
	v_add_co_ci_u32_e64 v18, null, s13, 0, s2
	v_add_co_u32 v19, s2, s14, v1
	s_delay_alu instid0(VALU_DEP_1) | instskip(SKIP_1) | instid1(VALU_DEP_1)
	v_add_co_ci_u32_e64 v20, null, s15, 0, s2
	v_add_co_u32 v21, s2, s16, v1
	v_add_co_ci_u32_e64 v22, null, s17, 0, s2
	s_waitcnt lgkmcnt(0)
	s_and_b32 s0, s0, 0xffff
	s_and_b32 s1, s1, exec_lo
	v_mad_u64_u32 v[3:4], null, s0, 24, v[1:2]
	s_cselect_b32 s5, s9, 0
	s_cselect_b32 s4, s8, 0x10000
	s_lshl_b32 s3, s0, 4
	s_mul_i32 s2, s0, 3
	v_add_co_u32 v1, s3, s3, v1
	s_delay_alu instid0(VALU_DEP_2) | instskip(NEXT) | instid1(VALU_DEP_3)
	v_add_co_u32 v23, vcc_lo, s12, v3
	v_add_co_ci_u32_e32 v24, vcc_lo, s13, v4, vcc_lo
	v_add_co_u32 v25, vcc_lo, s14, v3
	v_add_co_ci_u32_e32 v26, vcc_lo, s15, v4, vcc_lo
	v_add_co_u32 v27, vcc_lo, s16, v3
	v_add_co_ci_u32_e64 v2, null, 0, 0, s3
	v_add_co_ci_u32_e32 v28, vcc_lo, s17, v4, vcc_lo
	v_add_co_u32 v29, s2, s2, v0
	v_add_co_u32 v31, vcc_lo, s12, v1
	v_add_co_ci_u32_e64 v30, null, 0, 0, s2
	v_add_co_u32 v35, s2, v0, s0
	v_add_co_ci_u32_e32 v32, vcc_lo, s13, v2, vcc_lo
	v_add_co_u32 v33, vcc_lo, s14, v1
	v_add_co_ci_u32_e32 v34, vcc_lo, s15, v2, vcc_lo
	v_add_co_u32 v36, vcc_lo, s16, v1
	v_lshlrev_b32_e32 v1, 3, v35
	s_lshl_b32 s1, s0, 1
	v_add_co_ci_u32_e32 v37, vcc_lo, s17, v2, vcc_lo
	v_add_co_u32 v39, s1, s1, v0
	s_delay_alu instid0(VALU_DEP_1) | instskip(SKIP_1) | instid1(VALU_DEP_1)
	v_add_co_ci_u32_e64 v40, null, 0, 0, s1
	v_add_co_u32 v41, s1, s12, v1
	v_add_co_ci_u32_e64 v42, null, s13, 0, s1
	v_add_co_u32 v43, s1, s14, v1
	s_delay_alu instid0(VALU_DEP_1)
	v_add_co_ci_u32_e64 v44, null, s15, 0, s1
	v_add_co_u32 v45, s1, s16, v1
	v_add_co_ci_u32_e64 v38, null, 0, 0, s2
	v_add_co_ci_u32_e64 v46, null, s17, 0, s1
	s_lshl_b32 s14, s0, 2
	s_lshl_b32 s15, s0, 5
	s_mov_b64 s[12:13], 0
	s_branch .LBB89_9
.LBB89_8:                               ;   in Loop: Header=BB89_9 Depth=1
	s_or_b32 exec_lo, exec_lo, s0
	v_add_co_u32 v17, vcc_lo, v17, s15
	v_add_co_ci_u32_e32 v18, vcc_lo, 0, v18, vcc_lo
	v_add_co_u32 v19, vcc_lo, v19, s15
	v_add_co_ci_u32_e32 v20, vcc_lo, 0, v20, vcc_lo
	;; [unrolled: 2-line block ×9, first 2 shown]
	s_add_u32 s12, s12, s14
	v_add_co_u32 v41, vcc_lo, v41, s15
	s_addc_u32 s13, s13, 0
	v_add_co_ci_u32_e32 v42, vcc_lo, 0, v42, vcc_lo
	v_cmp_ge_i64_e64 s0, s[12:13], s[8:9]
	v_cmp_lt_u64_e64 s1, 0xffff, s[12:13]
	v_add_co_u32 v43, vcc_lo, v43, s15
	v_add_co_ci_u32_e32 v44, vcc_lo, 0, v44, vcc_lo
	v_add_co_u32 v45, vcc_lo, v45, s15
	v_add_co_ci_u32_e32 v46, vcc_lo, 0, v46, vcc_lo
	s_or_b32 s0, s0, s1
	s_delay_alu instid0(SALU_CYCLE_1)
	s_and_b32 vcc_lo, exec_lo, s0
	s_cbranch_vccnz .LBB89_25
.LBB89_9:                               ; =>This Inner Loop Header: Depth=1
	s_waitcnt vmcnt(1)
	v_add_co_u32 v3, s0, v0, s12
	s_delay_alu instid0(VALU_DEP_1) | instskip(SKIP_2) | instid1(VALU_DEP_3)
	v_add_co_ci_u32_e64 v4, null, 0, s13, s0
	v_mov_b32_e32 v1, 0
	v_mov_b32_e32 v2, 0
	v_cmp_gt_u64_e32 vcc_lo, s[4:5], v[3:4]
	s_delay_alu instid0(VALU_DEP_2)
	v_dual_mov_b32 v6, v2 :: v_dual_mov_b32 v5, v1
	s_waitcnt vmcnt(0)
	v_dual_mov_b32 v10, v2 :: v_dual_mov_b32 v9, v1
	s_and_saveexec_b32 s1, vcc_lo
	s_cbranch_execz .LBB89_11
; %bb.10:                               ;   in Loop: Header=BB89_9 Depth=1
	v_add_co_u32 v3, s0, v17, s6
	s_delay_alu instid0(VALU_DEP_1) | instskip(SKIP_1) | instid1(VALU_DEP_1)
	v_add_co_ci_u32_e64 v4, s0, s7, v18, s0
	v_add_co_u32 v7, s0, v19, s6
	v_add_co_ci_u32_e64 v8, s0, s7, v20, s0
	global_load_b64 v[5:6], v[3:4], off
	global_load_b64 v[9:10], v[7:8], off
.LBB89_11:                              ;   in Loop: Header=BB89_9 Depth=1
	s_or_b32 exec_lo, exec_lo, s1
	v_add_co_u32 v3, s0, v35, s12
	s_delay_alu instid0(VALU_DEP_1) | instskip(SKIP_1) | instid1(VALU_DEP_2)
	v_add_co_ci_u32_e64 v4, s0, s13, v38, s0
	v_dual_mov_b32 v12, v2 :: v_dual_mov_b32 v11, v1
	v_cmp_gt_u64_e64 s0, s[4:5], v[3:4]
	s_delay_alu instid0(VALU_DEP_1)
	s_and_saveexec_b32 s2, s0
	s_cbranch_execz .LBB89_13
; %bb.12:                               ;   in Loop: Header=BB89_9 Depth=1
	v_add_co_u32 v1, s1, v41, s6
	s_delay_alu instid0(VALU_DEP_1) | instskip(SKIP_1) | instid1(VALU_DEP_1)
	v_add_co_ci_u32_e64 v2, s1, s7, v42, s1
	v_add_co_u32 v3, s1, v43, s6
	v_add_co_ci_u32_e64 v4, s1, s7, v44, s1
	global_load_b64 v[1:2], v[1:2], off
	global_load_b64 v[11:12], v[3:4], off
.LBB89_13:                              ;   in Loop: Header=BB89_9 Depth=1
	s_or_b32 exec_lo, exec_lo, s2
	v_add_co_u32 v7, s1, v39, s12
	s_delay_alu instid0(VALU_DEP_1) | instskip(SKIP_2) | instid1(VALU_DEP_3)
	v_add_co_ci_u32_e64 v8, s1, s13, v40, s1
	v_mov_b32_e32 v3, 0
	v_mov_b32_e32 v4, 0
	v_cmp_gt_u64_e64 s1, s[4:5], v[7:8]
	s_delay_alu instid0(VALU_DEP_2) | instskip(SKIP_1) | instid1(VALU_DEP_3)
	v_dual_mov_b32 v8, v4 :: v_dual_mov_b32 v7, v3
	v_dual_mov_b32 v14, v4 :: v_dual_mov_b32 v13, v3
	s_and_saveexec_b32 s3, s1
	s_cbranch_execz .LBB89_15
; %bb.14:                               ;   in Loop: Header=BB89_9 Depth=1
	v_add_co_u32 v7, s2, v31, s6
	s_delay_alu instid0(VALU_DEP_1) | instskip(SKIP_1) | instid1(VALU_DEP_1)
	v_add_co_ci_u32_e64 v8, s2, s7, v32, s2
	v_add_co_u32 v13, s2, v33, s6
	v_add_co_ci_u32_e64 v14, s2, s7, v34, s2
	global_load_b64 v[7:8], v[7:8], off
	global_load_b64 v[13:14], v[13:14], off
.LBB89_15:                              ;   in Loop: Header=BB89_9 Depth=1
	s_or_b32 exec_lo, exec_lo, s3
	v_add_co_u32 v15, s2, v29, s12
	s_delay_alu instid0(VALU_DEP_1) | instskip(NEXT) | instid1(VALU_DEP_1)
	v_add_co_ci_u32_e64 v16, s2, s13, v30, s2
	v_cmp_gt_u64_e64 s2, s[4:5], v[15:16]
	v_dual_mov_b32 v16, v4 :: v_dual_mov_b32 v15, v3
	s_delay_alu instid0(VALU_DEP_2)
	s_and_saveexec_b32 s16, s2
	s_cbranch_execnz .LBB89_20
; %bb.16:                               ;   in Loop: Header=BB89_9 Depth=1
	s_or_b32 exec_lo, exec_lo, s16
	s_and_saveexec_b32 s3, vcc_lo
	s_cbranch_execnz .LBB89_21
.LBB89_17:                              ;   in Loop: Header=BB89_9 Depth=1
	s_or_b32 exec_lo, exec_lo, s3
	s_and_saveexec_b32 s3, s0
	s_cbranch_execnz .LBB89_22
.LBB89_18:                              ;   in Loop: Header=BB89_9 Depth=1
	s_or_b32 exec_lo, exec_lo, s3
	s_and_saveexec_b32 s0, s1
	s_cbranch_execnz .LBB89_23
.LBB89_19:                              ;   in Loop: Header=BB89_9 Depth=1
	s_or_b32 exec_lo, exec_lo, s0
	s_and_saveexec_b32 s0, s2
	s_cbranch_execz .LBB89_8
	s_branch .LBB89_24
.LBB89_20:                              ;   in Loop: Header=BB89_9 Depth=1
	v_add_co_u32 v3, s3, v23, s6
	s_delay_alu instid0(VALU_DEP_1) | instskip(SKIP_1) | instid1(VALU_DEP_1)
	v_add_co_ci_u32_e64 v4, s3, s7, v24, s3
	v_add_co_u32 v15, s3, v25, s6
	v_add_co_ci_u32_e64 v16, s3, s7, v26, s3
	global_load_b64 v[3:4], v[3:4], off
	global_load_b64 v[15:16], v[15:16], off
	s_or_b32 exec_lo, exec_lo, s16
	s_and_saveexec_b32 s3, vcc_lo
	s_cbranch_execz .LBB89_17
.LBB89_21:                              ;   in Loop: Header=BB89_9 Depth=1
	s_waitcnt vmcnt(0)
	v_mul_f64 v[9:10], v[9:10], s[10:11]
	s_delay_alu instid0(VALU_DEP_1) | instskip(NEXT) | instid1(VALU_DEP_1)
	v_div_scale_f64 v[47:48], null, v[9:10], v[9:10], v[5:6]
	v_rcp_f64_e32 v[49:50], v[47:48]
	s_waitcnt_depctr 0xfff
	v_fma_f64 v[51:52], -v[47:48], v[49:50], 1.0
	s_delay_alu instid0(VALU_DEP_1) | instskip(NEXT) | instid1(VALU_DEP_1)
	v_fma_f64 v[49:50], v[49:50], v[51:52], v[49:50]
	v_fma_f64 v[51:52], -v[47:48], v[49:50], 1.0
	s_delay_alu instid0(VALU_DEP_1) | instskip(SKIP_1) | instid1(VALU_DEP_1)
	v_fma_f64 v[49:50], v[49:50], v[51:52], v[49:50]
	v_div_scale_f64 v[51:52], vcc_lo, v[5:6], v[9:10], v[5:6]
	v_mul_f64 v[53:54], v[51:52], v[49:50]
	s_delay_alu instid0(VALU_DEP_1) | instskip(NEXT) | instid1(VALU_DEP_1)
	v_fma_f64 v[47:48], -v[47:48], v[53:54], v[51:52]
	v_div_fmas_f64 v[47:48], v[47:48], v[49:50], v[53:54]
	s_delay_alu instid0(VALU_DEP_1)
	v_div_fixup_f64 v[5:6], v[47:48], v[9:10], v[5:6]
	v_add_co_u32 v9, vcc_lo, v21, s6
	v_add_co_ci_u32_e32 v10, vcc_lo, s7, v22, vcc_lo
	global_store_b64 v[9:10], v[5:6], off
	s_or_b32 exec_lo, exec_lo, s3
	s_and_saveexec_b32 s3, s0
	s_cbranch_execz .LBB89_18
.LBB89_22:                              ;   in Loop: Header=BB89_9 Depth=1
	s_waitcnt vmcnt(0)
	v_mul_f64 v[5:6], v[11:12], s[10:11]
	s_delay_alu instid0(VALU_DEP_1) | instskip(NEXT) | instid1(VALU_DEP_1)
	v_div_scale_f64 v[9:10], null, v[5:6], v[5:6], v[1:2]
	v_rcp_f64_e32 v[11:12], v[9:10]
	s_waitcnt_depctr 0xfff
	v_fma_f64 v[47:48], -v[9:10], v[11:12], 1.0
	s_delay_alu instid0(VALU_DEP_1) | instskip(NEXT) | instid1(VALU_DEP_1)
	v_fma_f64 v[11:12], v[11:12], v[47:48], v[11:12]
	v_fma_f64 v[47:48], -v[9:10], v[11:12], 1.0
	s_delay_alu instid0(VALU_DEP_1) | instskip(SKIP_1) | instid1(VALU_DEP_1)
	v_fma_f64 v[11:12], v[11:12], v[47:48], v[11:12]
	v_div_scale_f64 v[47:48], vcc_lo, v[1:2], v[5:6], v[1:2]
	v_mul_f64 v[49:50], v[47:48], v[11:12]
	s_delay_alu instid0(VALU_DEP_1) | instskip(NEXT) | instid1(VALU_DEP_1)
	v_fma_f64 v[9:10], -v[9:10], v[49:50], v[47:48]
	v_div_fmas_f64 v[9:10], v[9:10], v[11:12], v[49:50]
	s_delay_alu instid0(VALU_DEP_1)
	v_div_fixup_f64 v[1:2], v[9:10], v[5:6], v[1:2]
	v_add_co_u32 v5, vcc_lo, v45, s6
	v_add_co_ci_u32_e32 v6, vcc_lo, s7, v46, vcc_lo
	global_store_b64 v[5:6], v[1:2], off
	s_or_b32 exec_lo, exec_lo, s3
	s_and_saveexec_b32 s0, s1
	s_cbranch_execz .LBB89_19
.LBB89_23:                              ;   in Loop: Header=BB89_9 Depth=1
	s_waitcnt vmcnt(0)
	v_mul_f64 v[1:2], v[13:14], s[10:11]
	s_delay_alu instid0(VALU_DEP_1) | instskip(NEXT) | instid1(VALU_DEP_1)
	v_div_scale_f64 v[5:6], null, v[1:2], v[1:2], v[7:8]
	v_rcp_f64_e32 v[9:10], v[5:6]
	s_waitcnt_depctr 0xfff
	v_fma_f64 v[11:12], -v[5:6], v[9:10], 1.0
	s_delay_alu instid0(VALU_DEP_1) | instskip(NEXT) | instid1(VALU_DEP_1)
	v_fma_f64 v[9:10], v[9:10], v[11:12], v[9:10]
	v_fma_f64 v[11:12], -v[5:6], v[9:10], 1.0
	s_delay_alu instid0(VALU_DEP_1) | instskip(SKIP_1) | instid1(VALU_DEP_1)
	v_fma_f64 v[9:10], v[9:10], v[11:12], v[9:10]
	v_div_scale_f64 v[11:12], vcc_lo, v[7:8], v[1:2], v[7:8]
	v_mul_f64 v[13:14], v[11:12], v[9:10]
	s_delay_alu instid0(VALU_DEP_1) | instskip(NEXT) | instid1(VALU_DEP_1)
	v_fma_f64 v[5:6], -v[5:6], v[13:14], v[11:12]
	v_div_fmas_f64 v[5:6], v[5:6], v[9:10], v[13:14]
	s_delay_alu instid0(VALU_DEP_1)
	v_div_fixup_f64 v[1:2], v[5:6], v[1:2], v[7:8]
	v_add_co_u32 v5, vcc_lo, v36, s6
	v_add_co_ci_u32_e32 v6, vcc_lo, s7, v37, vcc_lo
	global_store_b64 v[5:6], v[1:2], off
	s_or_b32 exec_lo, exec_lo, s0
	s_and_saveexec_b32 s0, s2
	s_cbranch_execz .LBB89_8
.LBB89_24:                              ;   in Loop: Header=BB89_9 Depth=1
	s_waitcnt vmcnt(0)
	v_mul_f64 v[1:2], v[15:16], s[10:11]
	s_delay_alu instid0(VALU_DEP_1) | instskip(NEXT) | instid1(VALU_DEP_1)
	v_div_scale_f64 v[5:6], null, v[1:2], v[1:2], v[3:4]
	v_rcp_f64_e32 v[7:8], v[5:6]
	s_waitcnt_depctr 0xfff
	v_fma_f64 v[9:10], -v[5:6], v[7:8], 1.0
	s_delay_alu instid0(VALU_DEP_1) | instskip(NEXT) | instid1(VALU_DEP_1)
	v_fma_f64 v[7:8], v[7:8], v[9:10], v[7:8]
	v_fma_f64 v[9:10], -v[5:6], v[7:8], 1.0
	s_delay_alu instid0(VALU_DEP_1) | instskip(SKIP_1) | instid1(VALU_DEP_1)
	v_fma_f64 v[7:8], v[7:8], v[9:10], v[7:8]
	v_div_scale_f64 v[9:10], vcc_lo, v[3:4], v[1:2], v[3:4]
	v_mul_f64 v[11:12], v[9:10], v[7:8]
	s_delay_alu instid0(VALU_DEP_1) | instskip(NEXT) | instid1(VALU_DEP_1)
	v_fma_f64 v[5:6], -v[5:6], v[11:12], v[9:10]
	v_div_fmas_f64 v[5:6], v[5:6], v[7:8], v[11:12]
	s_delay_alu instid0(VALU_DEP_1)
	v_div_fixup_f64 v[1:2], v[5:6], v[1:2], v[3:4]
	v_add_co_u32 v3, vcc_lo, v27, s6
	v_add_co_ci_u32_e32 v4, vcc_lo, s7, v28, vcc_lo
	global_store_b64 v[3:4], v[1:2], off
	s_branch .LBB89_8
.LBB89_25:
	s_nop 0
	s_sendmsg sendmsg(MSG_DEALLOC_VGPRS)
	s_endpgm
	.section	.rodata,"a",@progbits
	.p2align	6, 0x0
	.amdhsa_kernel _ZN2at6native12_GLOBAL__N_125multi_tensor_apply_kernelINS1_18TensorListMetadataILi3EEENS1_24BinaryOpListAlphaFunctorIdLi3ELi2ELi2EEEJSt7dividesIdEdEEEvT_T0_DpT1_
		.amdhsa_group_segment_fixed_size 0
		.amdhsa_private_segment_fixed_size 0
		.amdhsa_kernarg_size 3416
		.amdhsa_user_sgpr_count 15
		.amdhsa_user_sgpr_dispatch_ptr 0
		.amdhsa_user_sgpr_queue_ptr 0
		.amdhsa_user_sgpr_kernarg_segment_ptr 1
		.amdhsa_user_sgpr_dispatch_id 0
		.amdhsa_user_sgpr_private_segment_size 0
		.amdhsa_wavefront_size32 1
		.amdhsa_uses_dynamic_stack 0
		.amdhsa_enable_private_segment 0
		.amdhsa_system_sgpr_workgroup_id_x 1
		.amdhsa_system_sgpr_workgroup_id_y 0
		.amdhsa_system_sgpr_workgroup_id_z 0
		.amdhsa_system_sgpr_workgroup_info 0
		.amdhsa_system_vgpr_workitem_id 0
		.amdhsa_next_free_vgpr 55
		.amdhsa_next_free_sgpr 28
		.amdhsa_reserve_vcc 1
		.amdhsa_float_round_mode_32 0
		.amdhsa_float_round_mode_16_64 0
		.amdhsa_float_denorm_mode_32 3
		.amdhsa_float_denorm_mode_16_64 3
		.amdhsa_dx10_clamp 1
		.amdhsa_ieee_mode 1
		.amdhsa_fp16_overflow 0
		.amdhsa_workgroup_processor_mode 1
		.amdhsa_memory_ordered 1
		.amdhsa_forward_progress 0
		.amdhsa_shared_vgpr_count 0
		.amdhsa_exception_fp_ieee_invalid_op 0
		.amdhsa_exception_fp_denorm_src 0
		.amdhsa_exception_fp_ieee_div_zero 0
		.amdhsa_exception_fp_ieee_overflow 0
		.amdhsa_exception_fp_ieee_underflow 0
		.amdhsa_exception_fp_ieee_inexact 0
		.amdhsa_exception_int_div_zero 0
	.end_amdhsa_kernel
	.section	.text._ZN2at6native12_GLOBAL__N_125multi_tensor_apply_kernelINS1_18TensorListMetadataILi3EEENS1_24BinaryOpListAlphaFunctorIdLi3ELi2ELi2EEEJSt7dividesIdEdEEEvT_T0_DpT1_,"axG",@progbits,_ZN2at6native12_GLOBAL__N_125multi_tensor_apply_kernelINS1_18TensorListMetadataILi3EEENS1_24BinaryOpListAlphaFunctorIdLi3ELi2ELi2EEEJSt7dividesIdEdEEEvT_T0_DpT1_,comdat
.Lfunc_end89:
	.size	_ZN2at6native12_GLOBAL__N_125multi_tensor_apply_kernelINS1_18TensorListMetadataILi3EEENS1_24BinaryOpListAlphaFunctorIdLi3ELi2ELi2EEEJSt7dividesIdEdEEEvT_T0_DpT1_, .Lfunc_end89-_ZN2at6native12_GLOBAL__N_125multi_tensor_apply_kernelINS1_18TensorListMetadataILi3EEENS1_24BinaryOpListAlphaFunctorIdLi3ELi2ELi2EEEJSt7dividesIdEdEEEvT_T0_DpT1_
                                        ; -- End function
	.section	.AMDGPU.csdata,"",@progbits
; Kernel info:
; codeLenInByte = 2644
; NumSgprs: 30
; NumVgprs: 55
; ScratchSize: 0
; MemoryBound: 0
; FloatMode: 240
; IeeeMode: 1
; LDSByteSize: 0 bytes/workgroup (compile time only)
; SGPRBlocks: 3
; VGPRBlocks: 6
; NumSGPRsForWavesPerEU: 30
; NumVGPRsForWavesPerEU: 55
; Occupancy: 16
; WaveLimiterHint : 0
; COMPUTE_PGM_RSRC2:SCRATCH_EN: 0
; COMPUTE_PGM_RSRC2:USER_SGPR: 15
; COMPUTE_PGM_RSRC2:TRAP_HANDLER: 0
; COMPUTE_PGM_RSRC2:TGID_X_EN: 1
; COMPUTE_PGM_RSRC2:TGID_Y_EN: 0
; COMPUTE_PGM_RSRC2:TGID_Z_EN: 0
; COMPUTE_PGM_RSRC2:TIDIG_COMP_CNT: 0
	.section	.text._ZN2at6native12_GLOBAL__N_125multi_tensor_apply_kernelINS1_18TensorListMetadataILi3EEENS1_24BinaryOpListAlphaFunctorIfLi3ELi2ELi2EEEJSt7dividesIfEfEEEvT_T0_DpT1_,"axG",@progbits,_ZN2at6native12_GLOBAL__N_125multi_tensor_apply_kernelINS1_18TensorListMetadataILi3EEENS1_24BinaryOpListAlphaFunctorIfLi3ELi2ELi2EEEJSt7dividesIfEfEEEvT_T0_DpT1_,comdat
	.globl	_ZN2at6native12_GLOBAL__N_125multi_tensor_apply_kernelINS1_18TensorListMetadataILi3EEENS1_24BinaryOpListAlphaFunctorIfLi3ELi2ELi2EEEJSt7dividesIfEfEEEvT_T0_DpT1_ ; -- Begin function _ZN2at6native12_GLOBAL__N_125multi_tensor_apply_kernelINS1_18TensorListMetadataILi3EEENS1_24BinaryOpListAlphaFunctorIfLi3ELi2ELi2EEEJSt7dividesIfEfEEEvT_T0_DpT1_
	.p2align	8
	.type	_ZN2at6native12_GLOBAL__N_125multi_tensor_apply_kernelINS1_18TensorListMetadataILi3EEENS1_24BinaryOpListAlphaFunctorIfLi3ELi2ELi2EEEJSt7dividesIfEfEEEvT_T0_DpT1_,@function
_ZN2at6native12_GLOBAL__N_125multi_tensor_apply_kernelINS1_18TensorListMetadataILi3EEENS1_24BinaryOpListAlphaFunctorIfLi3ELi2ELi2EEEJSt7dividesIfEfEEEvT_T0_DpT1_: ; @_ZN2at6native12_GLOBAL__N_125multi_tensor_apply_kernelINS1_18TensorListMetadataILi3EEENS1_24BinaryOpListAlphaFunctorIfLi3ELi2ELi2EEEJSt7dividesIfEfEEEvT_T0_DpT1_
; %bb.0:
	v_mov_b32_e32 v1, s15
	s_add_u32 s2, s0, s15
	s_mul_hi_u32 s3, s15, 3
	s_mul_i32 s15, s15, 3
	s_addc_u32 s4, s1, 0
	global_load_u8 v1, v1, s[0:1] offset:1536
	s_load_b32 s16, s[0:1], 0xc4c
	s_add_u32 s2, s2, s15
	s_addc_u32 s3, s4, s3
	s_mov_b32 s25, 0
	s_load_b32 s2, s[2:3], 0x740
	s_mov_b32 s27, s25
	s_waitcnt vmcnt(0)
	v_readfirstlane_b32 s3, v1
	s_delay_alu instid0(VALU_DEP_1)
	s_lshl_b32 s3, s3, 3
	s_clause 0x3
	s_load_b64 s[10:11], s[0:1], s3 offset:0x0
	s_load_b64 s[12:13], s[0:1], s3 offset:0x180
	s_load_b64 s[14:15], s[0:1], s3 offset:0x300
	s_load_b64 s[22:23], s[0:1], s3 offset:0x480
	s_waitcnt lgkmcnt(0)
	s_ashr_i32 s3, s2, 31
	s_delay_alu instid0(SALU_CYCLE_1) | instskip(NEXT) | instid1(SALU_CYCLE_1)
	s_lshl_b64 s[6:7], s[2:3], 18
	s_add_u32 s5, s10, s6
	s_addc_u32 s17, s11, s7
	s_and_b32 s24, s5, 15
	s_add_u32 s18, s12, s6
	s_addc_u32 s19, s13, s7
	s_add_u32 s20, s14, s6
	s_addc_u32 s21, s15, s7
	s_or_b32 s4, s20, s18
	s_delay_alu instid0(SALU_CYCLE_1) | instskip(NEXT) | instid1(SALU_CYCLE_1)
	s_and_b32 s4, s4, 15
	s_cmp_lg_u32 s4, 0
	s_cselect_b32 s4, -1, 0
	s_lshl_b64 s[2:3], s[2:3], 16
	s_delay_alu instid0(SALU_CYCLE_1) | instskip(SKIP_2) | instid1(SALU_CYCLE_1)
	s_sub_u32 s8, s22, s2
	s_subb_u32 s9, s23, s3
	s_and_b32 s26, s22, 3
	s_or_b64 s[2:3], s[24:25], s[26:27]
	s_delay_alu instid0(SALU_CYCLE_1) | instskip(SKIP_1) | instid1(SALU_CYCLE_1)
	s_cmp_lg_u64 s[2:3], 0
	s_cselect_b32 s2, -1, 0
	s_or_b32 s2, s4, s2
	s_delay_alu instid0(SALU_CYCLE_1)
	s_and_not1_b32 vcc_lo, exec_lo, s2
	s_mov_b32 s2, -1
	s_cbranch_vccz .LBB90_5
; %bb.1:
	v_dual_mov_b32 v2, 0 :: v_dual_lshlrev_b32 v1, 2, v0
	s_mov_b32 s22, exec_lo
	s_delay_alu instid0(VALU_DEP_1)
	v_cmpx_gt_i64_e64 s[8:9], v[1:2]
	s_cbranch_execz .LBB90_4
; %bb.2:
	s_load_b32 s2, s[0:1], 0xc5c
	v_lshlrev_b32_e32 v3, 4, v0
	s_mov_b32 s23, 0
	s_waitcnt lgkmcnt(0)
	s_and_b32 s2, s2, 0xffff
	s_delay_alu instid0(SALU_CYCLE_1)
	v_add_lshl_u32 v1, v0, s2, 2
	s_lshl_b32 s24, s2, 2
	s_lshl_b32 s25, s2, 4
.LBB90_3:                               ; =>This Inner Loop Header: Depth=1
	v_add_co_u32 v4, s2, s18, v3
	s_delay_alu instid0(VALU_DEP_1) | instskip(SKIP_1) | instid1(VALU_DEP_1)
	v_add_co_ci_u32_e64 v5, null, s19, 0, s2
	v_add_co_u32 v8, s2, s5, v3
	v_add_co_ci_u32_e64 v9, null, s17, 0, s2
	global_load_b128 v[4:7], v[4:5], off
	global_load_b128 v[8:11], v[8:9], off
	v_cmp_le_i64_e32 vcc_lo, s[8:9], v[1:2]
	v_cmp_lt_u64_e64 s2, 0xffff, v[1:2]
	v_add_co_u32 v12, s3, s20, v3
	s_delay_alu instid0(VALU_DEP_1) | instskip(SKIP_1) | instid1(VALU_DEP_4)
	v_add_co_ci_u32_e64 v13, null, s21, 0, s3
	v_add_co_u32 v1, s3, v1, s24
	s_or_b32 s26, vcc_lo, s2
	v_add_co_ci_u32_e64 v2, s3, 0, v2, s3
	s_add_u32 s5, s5, s25
	s_addc_u32 s17, s17, 0
	s_add_u32 s20, s20, s25
	s_addc_u32 s21, s21, 0
	;; [unrolled: 2-line block ×3, first 2 shown]
	s_waitcnt vmcnt(1)
	v_dual_mul_f32 v4, s16, v4 :: v_dual_mul_f32 v5, s16, v5
	v_dual_mul_f32 v6, s16, v6 :: v_dual_mul_f32 v7, s16, v7
	s_waitcnt vmcnt(0)
	s_delay_alu instid0(VALU_DEP_2) | instskip(NEXT) | instid1(VALU_DEP_3)
	v_div_scale_f32 v14, null, v4, v4, v8
	v_div_scale_f32 v16, null, v5, v5, v9
	s_delay_alu instid0(VALU_DEP_3) | instskip(NEXT) | instid1(VALU_DEP_3)
	v_div_scale_f32 v18, null, v6, v6, v10
	v_rcp_f32_e32 v22, v14
	v_div_scale_f32 v20, null, v7, v7, v11
	s_delay_alu instid0(VALU_DEP_3) | instskip(NEXT) | instid1(VALU_DEP_2)
	v_rcp_f32_e32 v23, v16
	v_rcp_f32_e32 v24, v18
	v_div_scale_f32 v15, vcc_lo, v8, v4, v8
	s_delay_alu instid0(VALU_DEP_2) | instskip(SKIP_3) | instid1(TRANS32_DEP_3)
	v_rcp_f32_e32 v25, v20
	v_div_scale_f32 v17, s2, v9, v5, v9
	v_fma_f32 v26, -v14, v22, 1.0
	v_div_scale_f32 v19, s3, v10, v6, v10
	v_fma_f32 v27, -v16, v23, 1.0
	s_delay_alu instid0(TRANS32_DEP_2) | instskip(NEXT) | instid1(VALU_DEP_4)
	v_fma_f32 v28, -v18, v24, 1.0
	v_fmac_f32_e32 v22, v26, v22
	v_div_scale_f32 v21, s4, v11, v7, v11
	s_delay_alu instid0(VALU_DEP_4) | instskip(NEXT) | instid1(TRANS32_DEP_1)
	v_fmac_f32_e32 v23, v27, v23
	v_fma_f32 v29, -v20, v25, 1.0
	v_fmac_f32_e32 v24, v28, v24
	s_delay_alu instid0(VALU_DEP_3) | instskip(NEXT) | instid1(VALU_DEP_2)
	v_dual_mul_f32 v26, v15, v22 :: v_dual_mul_f32 v27, v17, v23
	v_dual_fmac_f32 v25, v29, v25 :: v_dual_mul_f32 v28, v19, v24
	s_delay_alu instid0(VALU_DEP_2) | instskip(NEXT) | instid1(VALU_DEP_3)
	v_fma_f32 v30, -v14, v26, v15
	v_fma_f32 v31, -v16, v27, v17
	s_delay_alu instid0(VALU_DEP_3) | instskip(NEXT) | instid1(VALU_DEP_4)
	v_mul_f32_e32 v29, v21, v25
	v_fma_f32 v32, -v18, v28, v19
	s_delay_alu instid0(VALU_DEP_3) | instskip(NEXT) | instid1(VALU_DEP_3)
	v_dual_fmac_f32 v26, v30, v22 :: v_dual_fmac_f32 v27, v31, v23
	v_fma_f32 v33, -v20, v29, v21
	s_delay_alu instid0(VALU_DEP_3) | instskip(NEXT) | instid1(VALU_DEP_3)
	v_fmac_f32_e32 v28, v32, v24
	v_fma_f32 v14, -v14, v26, v15
	s_delay_alu instid0(VALU_DEP_4) | instskip(NEXT) | instid1(VALU_DEP_4)
	v_fma_f32 v15, -v16, v27, v17
	v_fmac_f32_e32 v29, v33, v25
	s_delay_alu instid0(VALU_DEP_4) | instskip(NEXT) | instid1(VALU_DEP_4)
	v_fma_f32 v16, -v18, v28, v19
	v_div_fmas_f32 v14, v14, v22, v26
	s_mov_b32 vcc_lo, s2
	s_and_b32 s2, exec_lo, s26
	v_fma_f32 v17, -v20, v29, v21
	v_div_fmas_f32 v15, v15, v23, v27
	s_mov_b32 vcc_lo, s3
	v_div_fixup_f32 v4, v14, v4, v8
	v_div_fmas_f32 v16, v16, v24, v28
	s_mov_b32 vcc_lo, s4
	v_div_fixup_f32 v5, v15, v5, v9
	v_div_fmas_f32 v17, v17, v25, v29
	s_or_b32 s23, s2, s23
	v_div_fixup_f32 v6, v16, v6, v10
	s_delay_alu instid0(VALU_DEP_2)
	v_div_fixup_f32 v7, v17, v7, v11
	global_store_b128 v[12:13], v[4:7], off
	s_and_not1_b32 exec_lo, exec_lo, s23
	s_cbranch_execnz .LBB90_3
.LBB90_4:
	s_or_b32 exec_lo, exec_lo, s22
	s_mov_b32 s2, 0
.LBB90_5:
	s_delay_alu instid0(SALU_CYCLE_1)
	s_and_not1_b32 vcc_lo, exec_lo, s2
	s_cbranch_vccnz .LBB90_25
; %bb.6:
	v_cmp_lt_i64_e64 s2, s[8:9], 1
	s_delay_alu instid0(VALU_DEP_1)
	s_and_b32 vcc_lo, exec_lo, s2
	s_cbranch_vccnz .LBB90_25
; %bb.7:
	s_load_b32 s0, s[0:1], 0xc5c
	v_dual_mov_b32 v14, 0 :: v_dual_lshlrev_b32 v13, 2, v0
	v_cmp_gt_u64_e64 s1, 0x10000, s[8:9]
	s_delay_alu instid0(VALU_DEP_2) | instskip(NEXT) | instid1(VALU_DEP_1)
	v_add_co_u32 v1, s2, s10, v13
	v_add_co_ci_u32_e64 v2, null, s11, 0, s2
	v_add_co_u32 v3, s2, s12, v13
	s_delay_alu instid0(VALU_DEP_1) | instskip(SKIP_1) | instid1(VALU_DEP_1)
	v_add_co_ci_u32_e64 v4, null, s13, 0, s2
	v_add_co_u32 v5, s2, s14, v13
	v_add_co_ci_u32_e64 v6, null, s15, 0, s2
	s_waitcnt lgkmcnt(0)
	s_and_b32 s0, s0, 0xffff
	s_and_b32 s1, s1, exec_lo
	v_mad_u64_u32 v[11:12], null, s0, 12, v[13:14]
	s_cselect_b32 s5, s9, 0
	s_cselect_b32 s4, s8, 0x10000
	s_mul_i32 s2, s0, 3
	s_lshl_b32 s3, s0, 3
	s_lshl_b32 s1, s0, 1
	v_add_co_u32 v20, s3, s3, v13
	v_add_co_u32 v13, s2, s2, v0
	v_add_co_u32 v7, vcc_lo, s10, v11
	v_add_co_ci_u32_e64 v14, null, 0, 0, s2
	v_add_co_u32 v19, s2, v0, s0
	v_add_co_ci_u32_e32 v8, vcc_lo, s11, v12, vcc_lo
	v_add_co_u32 v9, vcc_lo, s12, v11
	v_add_co_ci_u32_e32 v10, vcc_lo, s13, v12, vcc_lo
	v_add_co_u32 v11, vcc_lo, s14, v11
	v_add_co_ci_u32_e64 v21, null, 0, 0, s3
	v_lshlrev_b32_e32 v29, 2, v19
	v_add_co_ci_u32_e32 v12, vcc_lo, s15, v12, vcc_lo
	v_add_co_u32 v15, vcc_lo, s10, v20
	v_add_co_u32 v23, s1, s1, v0
	v_add_co_ci_u32_e32 v16, vcc_lo, s11, v21, vcc_lo
	v_add_co_ci_u32_e64 v24, null, 0, 0, s1
	v_add_co_u32 v25, s1, s10, v29
	v_add_co_u32 v17, vcc_lo, s12, v20
	v_add_co_ci_u32_e64 v26, null, s11, 0, s1
	v_add_co_u32 v27, s1, s12, v29
	v_add_co_ci_u32_e32 v18, vcc_lo, s13, v21, vcc_lo
	v_add_co_u32 v20, vcc_lo, s14, v20
	v_add_co_ci_u32_e64 v28, null, s13, 0, s1
	v_add_co_u32 v29, s1, s14, v29
	v_add_co_ci_u32_e32 v21, vcc_lo, s15, v21, vcc_lo
	v_add_co_ci_u32_e64 v22, null, 0, 0, s2
	v_add_co_ci_u32_e64 v30, null, s15, 0, s1
	s_lshl_b32 s12, s0, 2
	s_lshl_b32 s13, s0, 4
	s_mov_b64 s[10:11], 0
	s_branch .LBB90_9
.LBB90_8:                               ;   in Loop: Header=BB90_9 Depth=1
	s_or_b32 exec_lo, exec_lo, s0
	v_add_co_u32 v1, vcc_lo, v1, s13
	v_add_co_ci_u32_e32 v2, vcc_lo, 0, v2, vcc_lo
	v_add_co_u32 v3, vcc_lo, v3, s13
	v_add_co_ci_u32_e32 v4, vcc_lo, 0, v4, vcc_lo
	;; [unrolled: 2-line block ×9, first 2 shown]
	s_add_u32 s10, s10, s12
	v_add_co_u32 v25, vcc_lo, v25, s13
	s_addc_u32 s11, s11, 0
	v_add_co_ci_u32_e32 v26, vcc_lo, 0, v26, vcc_lo
	v_cmp_ge_i64_e64 s0, s[10:11], s[8:9]
	v_cmp_lt_u64_e64 s1, 0xffff, s[10:11]
	v_add_co_u32 v27, vcc_lo, v27, s13
	v_add_co_ci_u32_e32 v28, vcc_lo, 0, v28, vcc_lo
	v_add_co_u32 v29, vcc_lo, v29, s13
	v_add_co_ci_u32_e32 v30, vcc_lo, 0, v30, vcc_lo
	s_or_b32 s0, s0, s1
	s_delay_alu instid0(SALU_CYCLE_1)
	s_and_b32 vcc_lo, exec_lo, s0
	s_cbranch_vccnz .LBB90_25
.LBB90_9:                               ; =>This Inner Loop Header: Depth=1
	s_waitcnt vmcnt(1)
	v_add_co_u32 v31, s0, v0, s10
	s_delay_alu instid0(VALU_DEP_1) | instskip(SKIP_2) | instid1(VALU_DEP_2)
	v_add_co_ci_u32_e64 v32, null, 0, s11, s0
	s_waitcnt vmcnt(0)
	v_mov_b32_e32 v35, 0
	v_cmp_gt_u64_e32 vcc_lo, s[4:5], v[31:32]
	v_mov_b32_e32 v32, 0
	s_and_saveexec_b32 s1, vcc_lo
	s_cbranch_execz .LBB90_11
; %bb.10:                               ;   in Loop: Header=BB90_9 Depth=1
	v_add_co_u32 v31, s0, v1, s6
	s_delay_alu instid0(VALU_DEP_1) | instskip(SKIP_1) | instid1(VALU_DEP_1)
	v_add_co_ci_u32_e64 v32, s0, s7, v2, s0
	v_add_co_u32 v33, s0, v3, s6
	v_add_co_ci_u32_e64 v34, s0, s7, v4, s0
	global_load_b32 v32, v[31:32], off
	global_load_b32 v35, v[33:34], off
.LBB90_11:                              ;   in Loop: Header=BB90_9 Depth=1
	s_or_b32 exec_lo, exec_lo, s1
	v_add_co_u32 v33, s0, v19, s10
	s_delay_alu instid0(VALU_DEP_1) | instskip(SKIP_1) | instid1(VALU_DEP_2)
	v_add_co_ci_u32_e64 v34, s0, s11, v22, s0
	v_dual_mov_b32 v31, 0 :: v_dual_mov_b32 v36, 0
	v_cmp_gt_u64_e64 s0, s[4:5], v[33:34]
	v_mov_b32_e32 v33, 0
	s_delay_alu instid0(VALU_DEP_2)
	s_and_saveexec_b32 s2, s0
	s_cbranch_execz .LBB90_13
; %bb.12:                               ;   in Loop: Header=BB90_9 Depth=1
	v_add_co_u32 v33, s1, v25, s6
	s_delay_alu instid0(VALU_DEP_1) | instskip(SKIP_1) | instid1(VALU_DEP_1)
	v_add_co_ci_u32_e64 v34, s1, s7, v26, s1
	v_add_co_u32 v36, s1, v27, s6
	v_add_co_ci_u32_e64 v37, s1, s7, v28, s1
	global_load_b32 v33, v[33:34], off
	global_load_b32 v36, v[36:37], off
.LBB90_13:                              ;   in Loop: Header=BB90_9 Depth=1
	s_or_b32 exec_lo, exec_lo, s2
	v_add_co_u32 v37, s1, v23, s10
	s_delay_alu instid0(VALU_DEP_1) | instskip(NEXT) | instid1(VALU_DEP_1)
	v_add_co_ci_u32_e64 v38, s1, s11, v24, s1
	v_cmp_gt_u64_e64 s1, s[4:5], v[37:38]
	v_mov_b32_e32 v37, 0
	s_delay_alu instid0(VALU_DEP_2)
	s_and_saveexec_b32 s3, s1
	s_cbranch_execz .LBB90_15
; %bb.14:                               ;   in Loop: Header=BB90_9 Depth=1
	v_add_co_u32 v37, s2, v15, s6
	s_delay_alu instid0(VALU_DEP_1) | instskip(SKIP_1) | instid1(VALU_DEP_1)
	v_add_co_ci_u32_e64 v38, s2, s7, v16, s2
	v_add_co_u32 v39, s2, v17, s6
	v_add_co_ci_u32_e64 v40, s2, s7, v18, s2
	global_load_b32 v31, v[37:38], off
	global_load_b32 v37, v[39:40], off
.LBB90_15:                              ;   in Loop: Header=BB90_9 Depth=1
	s_or_b32 exec_lo, exec_lo, s3
	v_add_co_u32 v38, s2, v13, s10
	s_delay_alu instid0(VALU_DEP_1) | instskip(SKIP_1) | instid1(VALU_DEP_2)
	v_add_co_ci_u32_e64 v39, s2, s11, v14, s2
	v_mov_b32_e32 v34, 0
	v_cmp_gt_u64_e64 s2, s[4:5], v[38:39]
	v_mov_b32_e32 v38, 0
	s_delay_alu instid0(VALU_DEP_2)
	s_and_saveexec_b32 s14, s2
	s_cbranch_execnz .LBB90_20
; %bb.16:                               ;   in Loop: Header=BB90_9 Depth=1
	s_or_b32 exec_lo, exec_lo, s14
	s_and_saveexec_b32 s3, vcc_lo
	s_cbranch_execnz .LBB90_21
.LBB90_17:                              ;   in Loop: Header=BB90_9 Depth=1
	s_or_b32 exec_lo, exec_lo, s3
	s_and_saveexec_b32 s3, s0
	s_cbranch_execnz .LBB90_22
.LBB90_18:                              ;   in Loop: Header=BB90_9 Depth=1
	s_or_b32 exec_lo, exec_lo, s3
	s_and_saveexec_b32 s0, s1
	s_cbranch_execnz .LBB90_23
.LBB90_19:                              ;   in Loop: Header=BB90_9 Depth=1
	s_or_b32 exec_lo, exec_lo, s0
	s_and_saveexec_b32 s0, s2
	s_cbranch_execz .LBB90_8
	s_branch .LBB90_24
.LBB90_20:                              ;   in Loop: Header=BB90_9 Depth=1
	v_add_co_u32 v38, s3, v7, s6
	s_delay_alu instid0(VALU_DEP_1) | instskip(SKIP_1) | instid1(VALU_DEP_1)
	v_add_co_ci_u32_e64 v39, s3, s7, v8, s3
	v_add_co_u32 v40, s3, v9, s6
	v_add_co_ci_u32_e64 v41, s3, s7, v10, s3
	global_load_b32 v34, v[38:39], off
	global_load_b32 v38, v[40:41], off
	s_or_b32 exec_lo, exec_lo, s14
	s_and_saveexec_b32 s3, vcc_lo
	s_cbranch_execz .LBB90_17
.LBB90_21:                              ;   in Loop: Header=BB90_9 Depth=1
	s_waitcnt vmcnt(0)
	v_mul_f32_e32 v35, s16, v35
	s_delay_alu instid0(VALU_DEP_1) | instskip(NEXT) | instid1(VALU_DEP_1)
	v_div_scale_f32 v39, null, v35, v35, v32
	v_rcp_f32_e32 v40, v39
	s_waitcnt_depctr 0xfff
	v_fma_f32 v41, -v39, v40, 1.0
	s_delay_alu instid0(VALU_DEP_1) | instskip(SKIP_1) | instid1(VALU_DEP_1)
	v_fmac_f32_e32 v40, v41, v40
	v_div_scale_f32 v42, vcc_lo, v32, v35, v32
	v_mul_f32_e32 v41, v42, v40
	s_delay_alu instid0(VALU_DEP_1) | instskip(NEXT) | instid1(VALU_DEP_1)
	v_fma_f32 v43, -v39, v41, v42
	v_fmac_f32_e32 v41, v43, v40
	s_delay_alu instid0(VALU_DEP_1) | instskip(NEXT) | instid1(VALU_DEP_1)
	v_fma_f32 v39, -v39, v41, v42
	v_div_fmas_f32 v39, v39, v40, v41
	s_delay_alu instid0(VALU_DEP_1)
	v_div_fixup_f32 v32, v39, v35, v32
	v_add_co_u32 v39, vcc_lo, v5, s6
	v_add_co_ci_u32_e32 v40, vcc_lo, s7, v6, vcc_lo
	global_store_b32 v[39:40], v32, off
	s_or_b32 exec_lo, exec_lo, s3
	s_and_saveexec_b32 s3, s0
	s_cbranch_execz .LBB90_18
.LBB90_22:                              ;   in Loop: Header=BB90_9 Depth=1
	s_waitcnt vmcnt(0)
	v_mul_f32_e32 v32, s16, v36
	s_delay_alu instid0(VALU_DEP_1) | instskip(SKIP_1) | instid1(VALU_DEP_2)
	v_div_scale_f32 v35, null, v32, v32, v33
	v_div_scale_f32 v40, vcc_lo, v33, v32, v33
	v_rcp_f32_e32 v36, v35
	s_waitcnt_depctr 0xfff
	v_fma_f32 v39, -v35, v36, 1.0
	s_delay_alu instid0(VALU_DEP_1) | instskip(NEXT) | instid1(VALU_DEP_1)
	v_fmac_f32_e32 v36, v39, v36
	v_mul_f32_e32 v39, v40, v36
	s_delay_alu instid0(VALU_DEP_1) | instskip(NEXT) | instid1(VALU_DEP_1)
	v_fma_f32 v41, -v35, v39, v40
	v_fmac_f32_e32 v39, v41, v36
	s_delay_alu instid0(VALU_DEP_1) | instskip(NEXT) | instid1(VALU_DEP_1)
	v_fma_f32 v35, -v35, v39, v40
	v_div_fmas_f32 v35, v35, v36, v39
	s_delay_alu instid0(VALU_DEP_1)
	v_div_fixup_f32 v35, v35, v32, v33
	v_add_co_u32 v32, vcc_lo, v29, s6
	v_add_co_ci_u32_e32 v33, vcc_lo, s7, v30, vcc_lo
	global_store_b32 v[32:33], v35, off
	s_or_b32 exec_lo, exec_lo, s3
	s_and_saveexec_b32 s0, s1
	s_cbranch_execz .LBB90_19
.LBB90_23:                              ;   in Loop: Header=BB90_9 Depth=1
	s_waitcnt vmcnt(0)
	v_mul_f32_e32 v32, s16, v37
	s_delay_alu instid0(VALU_DEP_1) | instskip(NEXT) | instid1(VALU_DEP_1)
	v_div_scale_f32 v33, null, v32, v32, v31
	v_rcp_f32_e32 v35, v33
	s_waitcnt_depctr 0xfff
	v_fma_f32 v36, -v33, v35, 1.0
	s_delay_alu instid0(VALU_DEP_1) | instskip(SKIP_1) | instid1(VALU_DEP_1)
	v_fmac_f32_e32 v35, v36, v35
	v_div_scale_f32 v37, vcc_lo, v31, v32, v31
	v_mul_f32_e32 v36, v37, v35
	s_delay_alu instid0(VALU_DEP_1) | instskip(NEXT) | instid1(VALU_DEP_1)
	v_fma_f32 v39, -v33, v36, v37
	v_fmac_f32_e32 v36, v39, v35
	s_delay_alu instid0(VALU_DEP_1) | instskip(NEXT) | instid1(VALU_DEP_1)
	v_fma_f32 v33, -v33, v36, v37
	v_div_fmas_f32 v33, v33, v35, v36
	s_delay_alu instid0(VALU_DEP_1)
	v_div_fixup_f32 v33, v33, v32, v31
	v_add_co_u32 v31, vcc_lo, v20, s6
	v_add_co_ci_u32_e32 v32, vcc_lo, s7, v21, vcc_lo
	global_store_b32 v[31:32], v33, off
	s_or_b32 exec_lo, exec_lo, s0
	s_and_saveexec_b32 s0, s2
	s_cbranch_execz .LBB90_8
.LBB90_24:                              ;   in Loop: Header=BB90_9 Depth=1
	s_waitcnt vmcnt(0)
	v_mul_f32_e32 v31, s16, v38
	s_delay_alu instid0(VALU_DEP_1) | instskip(SKIP_1) | instid1(VALU_DEP_2)
	v_div_scale_f32 v32, null, v31, v31, v34
	v_div_scale_f32 v36, vcc_lo, v34, v31, v34
	v_rcp_f32_e32 v33, v32
	s_waitcnt_depctr 0xfff
	v_fma_f32 v35, -v32, v33, 1.0
	s_delay_alu instid0(VALU_DEP_1) | instskip(NEXT) | instid1(VALU_DEP_1)
	v_fmac_f32_e32 v33, v35, v33
	v_mul_f32_e32 v35, v36, v33
	s_delay_alu instid0(VALU_DEP_1) | instskip(NEXT) | instid1(VALU_DEP_1)
	v_fma_f32 v37, -v32, v35, v36
	v_fmac_f32_e32 v35, v37, v33
	s_delay_alu instid0(VALU_DEP_1) | instskip(NEXT) | instid1(VALU_DEP_1)
	v_fma_f32 v32, -v32, v35, v36
	v_div_fmas_f32 v32, v32, v33, v35
	s_delay_alu instid0(VALU_DEP_1)
	v_div_fixup_f32 v33, v32, v31, v34
	v_add_co_u32 v31, vcc_lo, v11, s6
	v_add_co_ci_u32_e32 v32, vcc_lo, s7, v12, vcc_lo
	global_store_b32 v[31:32], v33, off
	s_branch .LBB90_8
.LBB90_25:
	s_nop 0
	s_sendmsg sendmsg(MSG_DEALLOC_VGPRS)
	s_endpgm
	.section	.rodata,"a",@progbits
	.p2align	6, 0x0
	.amdhsa_kernel _ZN2at6native12_GLOBAL__N_125multi_tensor_apply_kernelINS1_18TensorListMetadataILi3EEENS1_24BinaryOpListAlphaFunctorIfLi3ELi2ELi2EEEJSt7dividesIfEfEEEvT_T0_DpT1_
		.amdhsa_group_segment_fixed_size 0
		.amdhsa_private_segment_fixed_size 0
		.amdhsa_kernarg_size 3408
		.amdhsa_user_sgpr_count 15
		.amdhsa_user_sgpr_dispatch_ptr 0
		.amdhsa_user_sgpr_queue_ptr 0
		.amdhsa_user_sgpr_kernarg_segment_ptr 1
		.amdhsa_user_sgpr_dispatch_id 0
		.amdhsa_user_sgpr_private_segment_size 0
		.amdhsa_wavefront_size32 1
		.amdhsa_uses_dynamic_stack 0
		.amdhsa_enable_private_segment 0
		.amdhsa_system_sgpr_workgroup_id_x 1
		.amdhsa_system_sgpr_workgroup_id_y 0
		.amdhsa_system_sgpr_workgroup_id_z 0
		.amdhsa_system_sgpr_workgroup_info 0
		.amdhsa_system_vgpr_workitem_id 0
		.amdhsa_next_free_vgpr 44
		.amdhsa_next_free_sgpr 28
		.amdhsa_reserve_vcc 1
		.amdhsa_float_round_mode_32 0
		.amdhsa_float_round_mode_16_64 0
		.amdhsa_float_denorm_mode_32 3
		.amdhsa_float_denorm_mode_16_64 3
		.amdhsa_dx10_clamp 1
		.amdhsa_ieee_mode 1
		.amdhsa_fp16_overflow 0
		.amdhsa_workgroup_processor_mode 1
		.amdhsa_memory_ordered 1
		.amdhsa_forward_progress 0
		.amdhsa_shared_vgpr_count 0
		.amdhsa_exception_fp_ieee_invalid_op 0
		.amdhsa_exception_fp_denorm_src 0
		.amdhsa_exception_fp_ieee_div_zero 0
		.amdhsa_exception_fp_ieee_overflow 0
		.amdhsa_exception_fp_ieee_underflow 0
		.amdhsa_exception_fp_ieee_inexact 0
		.amdhsa_exception_int_div_zero 0
	.end_amdhsa_kernel
	.section	.text._ZN2at6native12_GLOBAL__N_125multi_tensor_apply_kernelINS1_18TensorListMetadataILi3EEENS1_24BinaryOpListAlphaFunctorIfLi3ELi2ELi2EEEJSt7dividesIfEfEEEvT_T0_DpT1_,"axG",@progbits,_ZN2at6native12_GLOBAL__N_125multi_tensor_apply_kernelINS1_18TensorListMetadataILi3EEENS1_24BinaryOpListAlphaFunctorIfLi3ELi2ELi2EEEJSt7dividesIfEfEEEvT_T0_DpT1_,comdat
.Lfunc_end90:
	.size	_ZN2at6native12_GLOBAL__N_125multi_tensor_apply_kernelINS1_18TensorListMetadataILi3EEENS1_24BinaryOpListAlphaFunctorIfLi3ELi2ELi2EEEJSt7dividesIfEfEEEvT_T0_DpT1_, .Lfunc_end90-_ZN2at6native12_GLOBAL__N_125multi_tensor_apply_kernelINS1_18TensorListMetadataILi3EEENS1_24BinaryOpListAlphaFunctorIfLi3ELi2ELi2EEEJSt7dividesIfEfEEEvT_T0_DpT1_
                                        ; -- End function
	.section	.AMDGPU.csdata,"",@progbits
; Kernel info:
; codeLenInByte = 2436
; NumSgprs: 30
; NumVgprs: 44
; ScratchSize: 0
; MemoryBound: 0
; FloatMode: 240
; IeeeMode: 1
; LDSByteSize: 0 bytes/workgroup (compile time only)
; SGPRBlocks: 3
; VGPRBlocks: 5
; NumSGPRsForWavesPerEU: 30
; NumVGPRsForWavesPerEU: 44
; Occupancy: 16
; WaveLimiterHint : 0
; COMPUTE_PGM_RSRC2:SCRATCH_EN: 0
; COMPUTE_PGM_RSRC2:USER_SGPR: 15
; COMPUTE_PGM_RSRC2:TRAP_HANDLER: 0
; COMPUTE_PGM_RSRC2:TGID_X_EN: 1
; COMPUTE_PGM_RSRC2:TGID_Y_EN: 0
; COMPUTE_PGM_RSRC2:TGID_Z_EN: 0
; COMPUTE_PGM_RSRC2:TIDIG_COMP_CNT: 0
	.section	.text._ZN2at6native12_GLOBAL__N_125multi_tensor_apply_kernelINS1_18TensorListMetadataILi3EEENS1_24BinaryOpListAlphaFunctorIN3c107complexIdEELi3ELi2ELi2EEEJSt7dividesIS8_ES8_EEEvT_T0_DpT1_,"axG",@progbits,_ZN2at6native12_GLOBAL__N_125multi_tensor_apply_kernelINS1_18TensorListMetadataILi3EEENS1_24BinaryOpListAlphaFunctorIN3c107complexIdEELi3ELi2ELi2EEEJSt7dividesIS8_ES8_EEEvT_T0_DpT1_,comdat
	.globl	_ZN2at6native12_GLOBAL__N_125multi_tensor_apply_kernelINS1_18TensorListMetadataILi3EEENS1_24BinaryOpListAlphaFunctorIN3c107complexIdEELi3ELi2ELi2EEEJSt7dividesIS8_ES8_EEEvT_T0_DpT1_ ; -- Begin function _ZN2at6native12_GLOBAL__N_125multi_tensor_apply_kernelINS1_18TensorListMetadataILi3EEENS1_24BinaryOpListAlphaFunctorIN3c107complexIdEELi3ELi2ELi2EEEJSt7dividesIS8_ES8_EEEvT_T0_DpT1_
	.p2align	8
	.type	_ZN2at6native12_GLOBAL__N_125multi_tensor_apply_kernelINS1_18TensorListMetadataILi3EEENS1_24BinaryOpListAlphaFunctorIN3c107complexIdEELi3ELi2ELi2EEEJSt7dividesIS8_ES8_EEEvT_T0_DpT1_,@function
_ZN2at6native12_GLOBAL__N_125multi_tensor_apply_kernelINS1_18TensorListMetadataILi3EEENS1_24BinaryOpListAlphaFunctorIN3c107complexIdEELi3ELi2ELi2EEEJSt7dividesIS8_ES8_EEEvT_T0_DpT1_: ; @_ZN2at6native12_GLOBAL__N_125multi_tensor_apply_kernelINS1_18TensorListMetadataILi3EEENS1_24BinaryOpListAlphaFunctorIN3c107complexIdEELi3ELi2ELi2EEEJSt7dividesIS8_ES8_EEEvT_T0_DpT1_
; %bb.0:
	v_mov_b32_e32 v1, s15
	s_add_u32 s2, s0, s15
	s_mul_hi_u32 s3, s15, 3
	s_mul_i32 s15, s15, 3
	s_addc_u32 s4, s1, 0
	global_load_u8 v1, v1, s[0:1] offset:1536
	s_add_u32 s2, s2, s15
	s_addc_u32 s3, s4, s3
	s_mov_b32 s25, 0
	s_load_b32 s8, s[2:3], 0x740
	s_mov_b32 s27, s25
	s_waitcnt lgkmcnt(0)
	s_ashr_i32 s9, s8, 31
	s_delay_alu instid0(SALU_CYCLE_1) | instskip(SKIP_2) | instid1(VALU_DEP_1)
	s_lshl_b64 s[6:7], s[8:9], 20
	s_waitcnt vmcnt(0)
	v_readfirstlane_b32 s2, v1
	s_lshl_b32 s2, s2, 3
	s_clause 0x3
	s_load_b64 s[4:5], s[0:1], s2 offset:0x0
	s_load_b64 s[18:19], s[0:1], s2 offset:0x180
	;; [unrolled: 1-line block ×4, first 2 shown]
	s_waitcnt lgkmcnt(0)
	s_add_u32 s3, s4, s6
	s_addc_u32 s14, s5, s7
	s_add_u32 s15, s18, s6
	s_addc_u32 s16, s19, s7
	s_add_u32 s17, s20, s6
	s_addc_u32 s22, s21, s7
	s_or_b32 s2, s17, s15
	s_lshl_b64 s[8:9], s[8:9], 16
	s_and_b32 s2, s2, 63
	s_and_b32 s24, s3, 63
	s_cmp_lg_u32 s2, 0
	s_cselect_b32 s2, -1, 0
	s_sub_u32 s12, s10, s8
	s_subb_u32 s13, s11, s9
	s_and_b32 s26, s10, 3
	s_load_b128 s[8:11], s[0:1], 0xc50
	s_or_b64 s[24:25], s[24:25], s[26:27]
	s_delay_alu instid0(SALU_CYCLE_1) | instskip(SKIP_1) | instid1(SALU_CYCLE_1)
	s_cmp_lg_u64 s[24:25], 0
	s_cselect_b32 s23, -1, 0
	s_or_b32 s2, s2, s23
	s_delay_alu instid0(SALU_CYCLE_1)
	s_and_not1_b32 vcc_lo, exec_lo, s2
	s_mov_b32 s2, -1
	s_cbranch_vccz .LBB91_37
; %bb.1:
	v_dual_mov_b32 v34, 0 :: v_dual_lshlrev_b32 v33, 2, v0
	s_mov_b32 s23, exec_lo
	s_delay_alu instid0(VALU_DEP_1)
	v_cmpx_gt_i64_e64 s[12:13], v[33:34]
	s_cbranch_execz .LBB91_36
; %bb.2:
	s_load_b32 s2, s[0:1], 0xc6c
	v_lshlrev_b32_e32 v43, 6, v0
	s_mov_b32 s24, 0
	s_waitcnt lgkmcnt(0)
	s_and_b32 s2, s2, 0xffff
	s_delay_alu instid0(SALU_CYCLE_1)
	v_add_lshl_u32 v33, v0, s2, 2
	s_lshl_b32 s25, s2, 2
	s_lshl_b32 s26, s2, 6
	s_branch .LBB91_4
.LBB91_3:                               ;   in Loop: Header=BB91_4 Depth=1
	s_or_b32 exec_lo, exec_lo, s2
	v_cmp_le_i64_e32 vcc_lo, s[12:13], v[33:34]
	v_cmp_lt_u64_e64 s2, 0xffff, v[33:34]
	v_add_co_u32 v1, s27, s17, v43
	s_delay_alu instid0(VALU_DEP_1)
	v_add_co_ci_u32_e64 v2, null, s22, 0, s27
	s_clause 0x1
	global_store_b128 v[1:2], v[5:8], off
	global_store_b128 v[1:2], v[17:20], off offset:16
	s_or_b32 s2, vcc_lo, s2
	s_add_u32 s3, s3, s26
	s_addc_u32 s14, s14, 0
	s_add_u32 s17, s17, s26
	v_add_co_u32 v33, vcc_lo, v33, s25
	s_addc_u32 s22, s22, 0
	s_add_u32 s15, s15, s26
	v_add_co_ci_u32_e32 v34, vcc_lo, 0, v34, vcc_lo
	s_addc_u32 s16, s16, 0
	s_and_b32 s2, exec_lo, s2
	s_clause 0x1
	global_store_b128 v[1:2], v[21:24], off offset:32
	global_store_b128 v[1:2], v[9:12], off offset:48
	s_or_b32 s24, s2, s24
	s_delay_alu instid0(SALU_CYCLE_1)
	s_and_not1_b32 exec_lo, exec_lo, s24
	s_cbranch_execz .LBB91_36
.LBB91_4:                               ; =>This Inner Loop Header: Depth=1
	v_add_co_u32 v21, s2, s15, v43
	s_delay_alu instid0(VALU_DEP_1) | instskip(SKIP_1) | instid1(VALU_DEP_1)
	v_add_co_ci_u32_e64 v22, null, s16, 0, s2
	v_add_co_u32 v9, s2, s3, v43
	v_add_co_ci_u32_e64 v10, null, s14, 0, s2
	s_clause 0x1
	global_load_b128 v[5:8], v[21:22], off
	global_load_b128 v[17:20], v[21:22], off offset:16
	s_clause 0x3
	global_load_b128 v[1:4], v[9:10], off offset:48
	global_load_b128 v[13:16], v[9:10], off offset:32
	global_load_b128 v[25:28], v[9:10], off offset:16
	global_load_b128 v[29:32], v[9:10], off
	s_clause 0x1
	global_load_b128 v[9:12], v[21:22], off offset:48
	global_load_b128 v[21:24], v[21:22], off offset:32
	s_waitcnt vmcnt(7)
	v_mul_f64 v[35:36], s[10:11], v[7:8]
	v_mul_f64 v[7:8], s[8:9], v[7:8]
	s_delay_alu instid0(VALU_DEP_2) | instskip(NEXT) | instid1(VALU_DEP_2)
	v_fma_f64 v[35:36], s[8:9], v[5:6], -v[35:36]
	v_fma_f64 v[37:38], s[10:11], v[5:6], v[7:8]
                                        ; implicit-def: $vgpr7_vgpr8
	s_delay_alu instid0(VALU_DEP_2) | instskip(NEXT) | instid1(VALU_DEP_2)
	v_cmp_gt_f64_e32 vcc_lo, 0, v[35:36]
	v_cmp_gt_f64_e64 s2, 0, v[37:38]
	v_xor_b32_e32 v5, 0x80000000, v36
	v_xor_b32_e32 v6, 0x80000000, v38
	s_delay_alu instid0(VALU_DEP_2) | instskip(NEXT) | instid1(VALU_DEP_2)
	v_dual_cndmask_b32 v40, v36, v5 :: v_dual_cndmask_b32 v39, v35, v35
	v_cndmask_b32_e64 v42, v38, v6, s2
	v_cndmask_b32_e64 v41, v37, v37, s2
	s_mov_b32 s2, exec_lo
	s_delay_alu instid0(VALU_DEP_1)
	v_cmpx_ge_f64_e32 v[39:40], v[41:42]
	s_xor_b32 s27, exec_lo, s2
	s_cbranch_execz .LBB91_10
; %bb.5:                                ;   in Loop: Header=BB91_4 Depth=1
	v_cmp_neq_f64_e32 vcc_lo, 0, v[35:36]
	v_cmp_neq_f64_e64 s2, 0, v[37:38]
                                        ; implicit-def: $vgpr7_vgpr8
	s_delay_alu instid0(VALU_DEP_1) | instskip(NEXT) | instid1(SALU_CYCLE_1)
	s_or_b32 s2, vcc_lo, s2
	s_and_saveexec_b32 s28, s2
	s_delay_alu instid0(SALU_CYCLE_1)
	s_xor_b32 s2, exec_lo, s28
	s_cbranch_execz .LBB91_7
; %bb.6:                                ;   in Loop: Header=BB91_4 Depth=1
	v_div_scale_f64 v[5:6], null, v[35:36], v[35:36], v[37:38]
	v_div_scale_f64 v[41:42], vcc_lo, v[37:38], v[35:36], v[37:38]
	s_delay_alu instid0(VALU_DEP_2) | instskip(SKIP_2) | instid1(VALU_DEP_1)
	v_rcp_f64_e32 v[7:8], v[5:6]
	s_waitcnt_depctr 0xfff
	v_fma_f64 v[39:40], -v[5:6], v[7:8], 1.0
	v_fma_f64 v[7:8], v[7:8], v[39:40], v[7:8]
	s_delay_alu instid0(VALU_DEP_1) | instskip(NEXT) | instid1(VALU_DEP_1)
	v_fma_f64 v[39:40], -v[5:6], v[7:8], 1.0
	v_fma_f64 v[7:8], v[7:8], v[39:40], v[7:8]
	s_delay_alu instid0(VALU_DEP_1) | instskip(NEXT) | instid1(VALU_DEP_1)
	v_mul_f64 v[39:40], v[41:42], v[7:8]
	v_fma_f64 v[5:6], -v[5:6], v[39:40], v[41:42]
	s_delay_alu instid0(VALU_DEP_1) | instskip(NEXT) | instid1(VALU_DEP_1)
	v_div_fmas_f64 v[5:6], v[5:6], v[7:8], v[39:40]
	v_div_fixup_f64 v[5:6], v[5:6], v[35:36], v[37:38]
	s_delay_alu instid0(VALU_DEP_1) | instskip(NEXT) | instid1(VALU_DEP_1)
	v_fma_f64 v[7:8], v[37:38], v[5:6], v[35:36]
	v_div_scale_f64 v[35:36], null, v[7:8], v[7:8], 1.0
	v_div_scale_f64 v[41:42], vcc_lo, 1.0, v[7:8], 1.0
	s_delay_alu instid0(VALU_DEP_2) | instskip(SKIP_2) | instid1(VALU_DEP_1)
	v_rcp_f64_e32 v[37:38], v[35:36]
	s_waitcnt_depctr 0xfff
	v_fma_f64 v[39:40], -v[35:36], v[37:38], 1.0
	v_fma_f64 v[37:38], v[37:38], v[39:40], v[37:38]
	s_delay_alu instid0(VALU_DEP_1) | instskip(NEXT) | instid1(VALU_DEP_1)
	v_fma_f64 v[39:40], -v[35:36], v[37:38], 1.0
	v_fma_f64 v[37:38], v[37:38], v[39:40], v[37:38]
	s_delay_alu instid0(VALU_DEP_1) | instskip(NEXT) | instid1(VALU_DEP_1)
	v_mul_f64 v[39:40], v[41:42], v[37:38]
	v_fma_f64 v[35:36], -v[35:36], v[39:40], v[41:42]
                                        ; implicit-def: $vgpr41_vgpr42
	s_delay_alu instid0(VALU_DEP_1) | instskip(SKIP_3) | instid1(VALU_DEP_3)
	v_div_fmas_f64 v[35:36], v[35:36], v[37:38], v[39:40]
	s_waitcnt vmcnt(2)
	v_fma_f64 v[37:38], v[31:32], v[5:6], v[29:30]
	v_fma_f64 v[29:30], -v[29:30], v[5:6], v[31:32]
                                        ; implicit-def: $vgpr39_vgpr40
	v_div_fixup_f64 v[7:8], v[35:36], v[7:8], 1.0
	s_delay_alu instid0(VALU_DEP_1) | instskip(NEXT) | instid1(VALU_DEP_3)
	v_mul_f64 v[5:6], v[37:38], v[7:8]
	v_mul_f64 v[7:8], v[29:30], v[7:8]
                                        ; implicit-def: $vgpr29_vgpr30
.LBB91_7:                               ;   in Loop: Header=BB91_4 Depth=1
	s_and_not1_saveexec_b32 s28, s2
	s_cbranch_execz .LBB91_9
; %bb.8:                                ;   in Loop: Header=BB91_4 Depth=1
	s_waitcnt vmcnt(2)
	v_div_scale_f64 v[5:6], null, v[39:40], v[39:40], v[29:30]
	v_div_scale_f64 v[7:8], null, v[41:42], v[41:42], v[31:32]
	v_div_scale_f64 v[48:49], vcc_lo, v[29:30], v[39:40], v[29:30]
	s_delay_alu instid0(VALU_DEP_3) | instskip(NEXT) | instid1(VALU_DEP_2)
	v_rcp_f64_e32 v[35:36], v[5:6]
	v_rcp_f64_e32 v[37:38], v[7:8]
	s_waitcnt_depctr 0xfff
	v_fma_f64 v[44:45], -v[5:6], v[35:36], 1.0
	v_fma_f64 v[46:47], -v[7:8], v[37:38], 1.0
	s_delay_alu instid0(VALU_DEP_2) | instskip(NEXT) | instid1(VALU_DEP_2)
	v_fma_f64 v[35:36], v[35:36], v[44:45], v[35:36]
	v_fma_f64 v[37:38], v[37:38], v[46:47], v[37:38]
	s_delay_alu instid0(VALU_DEP_2) | instskip(NEXT) | instid1(VALU_DEP_2)
	v_fma_f64 v[44:45], -v[5:6], v[35:36], 1.0
	v_fma_f64 v[46:47], -v[7:8], v[37:38], 1.0
	s_delay_alu instid0(VALU_DEP_2) | instskip(SKIP_1) | instid1(VALU_DEP_3)
	v_fma_f64 v[35:36], v[35:36], v[44:45], v[35:36]
	v_div_scale_f64 v[44:45], s2, v[31:32], v[41:42], v[31:32]
	v_fma_f64 v[37:38], v[37:38], v[46:47], v[37:38]
	s_delay_alu instid0(VALU_DEP_3) | instskip(NEXT) | instid1(VALU_DEP_2)
	v_mul_f64 v[46:47], v[48:49], v[35:36]
	v_mul_f64 v[50:51], v[44:45], v[37:38]
	s_delay_alu instid0(VALU_DEP_2) | instskip(NEXT) | instid1(VALU_DEP_2)
	v_fma_f64 v[5:6], -v[5:6], v[46:47], v[48:49]
	v_fma_f64 v[7:8], -v[7:8], v[50:51], v[44:45]
	s_delay_alu instid0(VALU_DEP_2) | instskip(SKIP_1) | instid1(VALU_DEP_2)
	v_div_fmas_f64 v[5:6], v[5:6], v[35:36], v[46:47]
	s_mov_b32 vcc_lo, s2
	v_div_fmas_f64 v[7:8], v[7:8], v[37:38], v[50:51]
	s_delay_alu instid0(VALU_DEP_2) | instskip(NEXT) | instid1(VALU_DEP_2)
	v_div_fixup_f64 v[5:6], v[5:6], v[39:40], v[29:30]
	v_div_fixup_f64 v[7:8], v[7:8], v[41:42], v[31:32]
.LBB91_9:                               ;   in Loop: Header=BB91_4 Depth=1
	s_or_b32 exec_lo, exec_lo, s28
                                        ; implicit-def: $vgpr37_vgpr38
                                        ; implicit-def: $vgpr35_vgpr36
                                        ; implicit-def: $vgpr29_vgpr30
.LBB91_10:                              ;   in Loop: Header=BB91_4 Depth=1
	s_and_not1_saveexec_b32 s2, s27
	s_cbranch_execz .LBB91_12
; %bb.11:                               ;   in Loop: Header=BB91_4 Depth=1
	v_div_scale_f64 v[5:6], null, v[37:38], v[37:38], v[35:36]
	v_div_scale_f64 v[41:42], vcc_lo, v[35:36], v[37:38], v[35:36]
	s_delay_alu instid0(VALU_DEP_2) | instskip(SKIP_2) | instid1(VALU_DEP_1)
	v_rcp_f64_e32 v[7:8], v[5:6]
	s_waitcnt_depctr 0xfff
	v_fma_f64 v[39:40], -v[5:6], v[7:8], 1.0
	v_fma_f64 v[7:8], v[7:8], v[39:40], v[7:8]
	s_delay_alu instid0(VALU_DEP_1) | instskip(NEXT) | instid1(VALU_DEP_1)
	v_fma_f64 v[39:40], -v[5:6], v[7:8], 1.0
	v_fma_f64 v[7:8], v[7:8], v[39:40], v[7:8]
	s_delay_alu instid0(VALU_DEP_1) | instskip(NEXT) | instid1(VALU_DEP_1)
	v_mul_f64 v[39:40], v[41:42], v[7:8]
	v_fma_f64 v[5:6], -v[5:6], v[39:40], v[41:42]
	s_delay_alu instid0(VALU_DEP_1) | instskip(NEXT) | instid1(VALU_DEP_1)
	v_div_fmas_f64 v[5:6], v[5:6], v[7:8], v[39:40]
	v_div_fixup_f64 v[5:6], v[5:6], v[37:38], v[35:36]
	s_delay_alu instid0(VALU_DEP_1) | instskip(NEXT) | instid1(VALU_DEP_1)
	v_fma_f64 v[7:8], v[35:36], v[5:6], v[37:38]
	v_div_scale_f64 v[35:36], null, v[7:8], v[7:8], 1.0
	v_div_scale_f64 v[41:42], vcc_lo, 1.0, v[7:8], 1.0
	s_delay_alu instid0(VALU_DEP_2) | instskip(SKIP_2) | instid1(VALU_DEP_1)
	v_rcp_f64_e32 v[37:38], v[35:36]
	s_waitcnt_depctr 0xfff
	v_fma_f64 v[39:40], -v[35:36], v[37:38], 1.0
	v_fma_f64 v[37:38], v[37:38], v[39:40], v[37:38]
	s_delay_alu instid0(VALU_DEP_1) | instskip(NEXT) | instid1(VALU_DEP_1)
	v_fma_f64 v[39:40], -v[35:36], v[37:38], 1.0
	v_fma_f64 v[37:38], v[37:38], v[39:40], v[37:38]
	s_delay_alu instid0(VALU_DEP_1) | instskip(NEXT) | instid1(VALU_DEP_1)
	v_mul_f64 v[39:40], v[41:42], v[37:38]
	v_fma_f64 v[35:36], -v[35:36], v[39:40], v[41:42]
	s_delay_alu instid0(VALU_DEP_1) | instskip(SKIP_3) | instid1(VALU_DEP_3)
	v_div_fmas_f64 v[35:36], v[35:36], v[37:38], v[39:40]
	s_waitcnt vmcnt(2)
	v_fma_f64 v[37:38], v[29:30], v[5:6], v[31:32]
	v_fma_f64 v[29:30], v[31:32], v[5:6], -v[29:30]
	v_div_fixup_f64 v[7:8], v[35:36], v[7:8], 1.0
	s_delay_alu instid0(VALU_DEP_1) | instskip(NEXT) | instid1(VALU_DEP_3)
	v_mul_f64 v[5:6], v[37:38], v[7:8]
	v_mul_f64 v[7:8], v[29:30], v[7:8]
.LBB91_12:                              ;   in Loop: Header=BB91_4 Depth=1
	s_or_b32 exec_lo, exec_lo, s2
	s_waitcnt vmcnt(2)
	v_mul_f64 v[29:30], s[10:11], v[19:20]
	v_mul_f64 v[19:20], s[8:9], v[19:20]
	s_delay_alu instid0(VALU_DEP_2) | instskip(NEXT) | instid1(VALU_DEP_2)
	v_fma_f64 v[29:30], s[8:9], v[17:18], -v[29:30]
	v_fma_f64 v[31:32], s[10:11], v[17:18], v[19:20]
                                        ; implicit-def: $vgpr19_vgpr20
	s_delay_alu instid0(VALU_DEP_2) | instskip(NEXT) | instid1(VALU_DEP_2)
	v_cmp_gt_f64_e32 vcc_lo, 0, v[29:30]
	v_cmp_gt_f64_e64 s2, 0, v[31:32]
	v_xor_b32_e32 v17, 0x80000000, v30
	v_xor_b32_e32 v18, 0x80000000, v32
	s_delay_alu instid0(VALU_DEP_2) | instskip(NEXT) | instid1(VALU_DEP_2)
	v_cndmask_b32_e32 v36, v30, v17, vcc_lo
	v_cndmask_b32_e64 v38, v32, v18, s2
	v_cndmask_b32_e32 v35, v29, v29, vcc_lo
	v_cndmask_b32_e64 v37, v31, v31, s2
	s_mov_b32 s2, exec_lo
	s_delay_alu instid0(VALU_DEP_1)
	v_cmpx_ge_f64_e32 v[35:36], v[37:38]
	s_xor_b32 s27, exec_lo, s2
	s_cbranch_execz .LBB91_18
; %bb.13:                               ;   in Loop: Header=BB91_4 Depth=1
	v_cmp_neq_f64_e32 vcc_lo, 0, v[29:30]
	v_cmp_neq_f64_e64 s2, 0, v[31:32]
                                        ; implicit-def: $vgpr19_vgpr20
	s_delay_alu instid0(VALU_DEP_1) | instskip(NEXT) | instid1(SALU_CYCLE_1)
	s_or_b32 s2, vcc_lo, s2
	s_and_saveexec_b32 s28, s2
	s_delay_alu instid0(SALU_CYCLE_1)
	s_xor_b32 s2, exec_lo, s28
	s_cbranch_execz .LBB91_15
; %bb.14:                               ;   in Loop: Header=BB91_4 Depth=1
	v_div_scale_f64 v[17:18], null, v[29:30], v[29:30], v[31:32]
	v_div_scale_f64 v[37:38], vcc_lo, v[31:32], v[29:30], v[31:32]
	s_delay_alu instid0(VALU_DEP_2) | instskip(SKIP_2) | instid1(VALU_DEP_1)
	v_rcp_f64_e32 v[19:20], v[17:18]
	s_waitcnt_depctr 0xfff
	v_fma_f64 v[35:36], -v[17:18], v[19:20], 1.0
	v_fma_f64 v[19:20], v[19:20], v[35:36], v[19:20]
	s_delay_alu instid0(VALU_DEP_1) | instskip(NEXT) | instid1(VALU_DEP_1)
	v_fma_f64 v[35:36], -v[17:18], v[19:20], 1.0
	v_fma_f64 v[19:20], v[19:20], v[35:36], v[19:20]
	s_delay_alu instid0(VALU_DEP_1) | instskip(NEXT) | instid1(VALU_DEP_1)
	v_mul_f64 v[35:36], v[37:38], v[19:20]
	v_fma_f64 v[17:18], -v[17:18], v[35:36], v[37:38]
	s_delay_alu instid0(VALU_DEP_1) | instskip(NEXT) | instid1(VALU_DEP_1)
	v_div_fmas_f64 v[17:18], v[17:18], v[19:20], v[35:36]
	v_div_fixup_f64 v[17:18], v[17:18], v[29:30], v[31:32]
	s_delay_alu instid0(VALU_DEP_1) | instskip(NEXT) | instid1(VALU_DEP_1)
	v_fma_f64 v[19:20], v[31:32], v[17:18], v[29:30]
	v_div_scale_f64 v[29:30], null, v[19:20], v[19:20], 1.0
	v_div_scale_f64 v[37:38], vcc_lo, 1.0, v[19:20], 1.0
	s_delay_alu instid0(VALU_DEP_2) | instskip(SKIP_2) | instid1(VALU_DEP_1)
	v_rcp_f64_e32 v[31:32], v[29:30]
	s_waitcnt_depctr 0xfff
	v_fma_f64 v[35:36], -v[29:30], v[31:32], 1.0
	v_fma_f64 v[31:32], v[31:32], v[35:36], v[31:32]
	s_delay_alu instid0(VALU_DEP_1) | instskip(NEXT) | instid1(VALU_DEP_1)
	v_fma_f64 v[35:36], -v[29:30], v[31:32], 1.0
	v_fma_f64 v[31:32], v[31:32], v[35:36], v[31:32]
	s_delay_alu instid0(VALU_DEP_1) | instskip(NEXT) | instid1(VALU_DEP_1)
	v_mul_f64 v[35:36], v[37:38], v[31:32]
	v_fma_f64 v[29:30], -v[29:30], v[35:36], v[37:38]
                                        ; implicit-def: $vgpr37_vgpr38
	s_delay_alu instid0(VALU_DEP_1) | instskip(SKIP_2) | instid1(VALU_DEP_3)
	v_div_fmas_f64 v[29:30], v[29:30], v[31:32], v[35:36]
	v_fma_f64 v[31:32], v[27:28], v[17:18], v[25:26]
	v_fma_f64 v[25:26], -v[25:26], v[17:18], v[27:28]
                                        ; implicit-def: $vgpr35_vgpr36
	v_div_fixup_f64 v[19:20], v[29:30], v[19:20], 1.0
	s_delay_alu instid0(VALU_DEP_1) | instskip(NEXT) | instid1(VALU_DEP_3)
	v_mul_f64 v[17:18], v[31:32], v[19:20]
	v_mul_f64 v[19:20], v[25:26], v[19:20]
                                        ; implicit-def: $vgpr25_vgpr26
.LBB91_15:                              ;   in Loop: Header=BB91_4 Depth=1
	s_and_not1_saveexec_b32 s28, s2
	s_cbranch_execz .LBB91_17
; %bb.16:                               ;   in Loop: Header=BB91_4 Depth=1
	v_div_scale_f64 v[17:18], null, v[35:36], v[35:36], v[25:26]
	v_div_scale_f64 v[19:20], null, v[37:38], v[37:38], v[27:28]
	v_div_scale_f64 v[44:45], vcc_lo, v[25:26], v[35:36], v[25:26]
	s_delay_alu instid0(VALU_DEP_3) | instskip(NEXT) | instid1(VALU_DEP_2)
	v_rcp_f64_e32 v[29:30], v[17:18]
	v_rcp_f64_e32 v[31:32], v[19:20]
	s_waitcnt_depctr 0xfff
	v_fma_f64 v[39:40], -v[17:18], v[29:30], 1.0
	v_fma_f64 v[41:42], -v[19:20], v[31:32], 1.0
	s_delay_alu instid0(VALU_DEP_2) | instskip(NEXT) | instid1(VALU_DEP_2)
	v_fma_f64 v[29:30], v[29:30], v[39:40], v[29:30]
	v_fma_f64 v[31:32], v[31:32], v[41:42], v[31:32]
	s_delay_alu instid0(VALU_DEP_2) | instskip(NEXT) | instid1(VALU_DEP_2)
	v_fma_f64 v[39:40], -v[17:18], v[29:30], 1.0
	v_fma_f64 v[41:42], -v[19:20], v[31:32], 1.0
	s_delay_alu instid0(VALU_DEP_2) | instskip(SKIP_1) | instid1(VALU_DEP_3)
	v_fma_f64 v[29:30], v[29:30], v[39:40], v[29:30]
	v_div_scale_f64 v[39:40], s2, v[27:28], v[37:38], v[27:28]
	v_fma_f64 v[31:32], v[31:32], v[41:42], v[31:32]
	s_delay_alu instid0(VALU_DEP_3) | instskip(NEXT) | instid1(VALU_DEP_2)
	v_mul_f64 v[41:42], v[44:45], v[29:30]
	v_mul_f64 v[46:47], v[39:40], v[31:32]
	s_delay_alu instid0(VALU_DEP_2) | instskip(NEXT) | instid1(VALU_DEP_2)
	v_fma_f64 v[17:18], -v[17:18], v[41:42], v[44:45]
	v_fma_f64 v[19:20], -v[19:20], v[46:47], v[39:40]
	s_delay_alu instid0(VALU_DEP_2) | instskip(SKIP_1) | instid1(VALU_DEP_2)
	v_div_fmas_f64 v[17:18], v[17:18], v[29:30], v[41:42]
	s_mov_b32 vcc_lo, s2
	v_div_fmas_f64 v[19:20], v[19:20], v[31:32], v[46:47]
	s_delay_alu instid0(VALU_DEP_2) | instskip(NEXT) | instid1(VALU_DEP_2)
	v_div_fixup_f64 v[17:18], v[17:18], v[35:36], v[25:26]
	v_div_fixup_f64 v[19:20], v[19:20], v[37:38], v[27:28]
.LBB91_17:                              ;   in Loop: Header=BB91_4 Depth=1
	s_or_b32 exec_lo, exec_lo, s28
                                        ; implicit-def: $vgpr31_vgpr32
                                        ; implicit-def: $vgpr29_vgpr30
                                        ; implicit-def: $vgpr25_vgpr26
.LBB91_18:                              ;   in Loop: Header=BB91_4 Depth=1
	s_and_not1_saveexec_b32 s2, s27
	s_cbranch_execz .LBB91_20
; %bb.19:                               ;   in Loop: Header=BB91_4 Depth=1
	v_div_scale_f64 v[17:18], null, v[31:32], v[31:32], v[29:30]
	v_div_scale_f64 v[37:38], vcc_lo, v[29:30], v[31:32], v[29:30]
	s_delay_alu instid0(VALU_DEP_2) | instskip(SKIP_2) | instid1(VALU_DEP_1)
	v_rcp_f64_e32 v[19:20], v[17:18]
	s_waitcnt_depctr 0xfff
	v_fma_f64 v[35:36], -v[17:18], v[19:20], 1.0
	v_fma_f64 v[19:20], v[19:20], v[35:36], v[19:20]
	s_delay_alu instid0(VALU_DEP_1) | instskip(NEXT) | instid1(VALU_DEP_1)
	v_fma_f64 v[35:36], -v[17:18], v[19:20], 1.0
	v_fma_f64 v[19:20], v[19:20], v[35:36], v[19:20]
	s_delay_alu instid0(VALU_DEP_1) | instskip(NEXT) | instid1(VALU_DEP_1)
	v_mul_f64 v[35:36], v[37:38], v[19:20]
	v_fma_f64 v[17:18], -v[17:18], v[35:36], v[37:38]
	s_delay_alu instid0(VALU_DEP_1) | instskip(NEXT) | instid1(VALU_DEP_1)
	v_div_fmas_f64 v[17:18], v[17:18], v[19:20], v[35:36]
	v_div_fixup_f64 v[17:18], v[17:18], v[31:32], v[29:30]
	s_delay_alu instid0(VALU_DEP_1) | instskip(NEXT) | instid1(VALU_DEP_1)
	v_fma_f64 v[19:20], v[29:30], v[17:18], v[31:32]
	v_div_scale_f64 v[29:30], null, v[19:20], v[19:20], 1.0
	v_div_scale_f64 v[37:38], vcc_lo, 1.0, v[19:20], 1.0
	s_delay_alu instid0(VALU_DEP_2) | instskip(SKIP_2) | instid1(VALU_DEP_1)
	v_rcp_f64_e32 v[31:32], v[29:30]
	s_waitcnt_depctr 0xfff
	v_fma_f64 v[35:36], -v[29:30], v[31:32], 1.0
	v_fma_f64 v[31:32], v[31:32], v[35:36], v[31:32]
	s_delay_alu instid0(VALU_DEP_1) | instskip(NEXT) | instid1(VALU_DEP_1)
	v_fma_f64 v[35:36], -v[29:30], v[31:32], 1.0
	v_fma_f64 v[31:32], v[31:32], v[35:36], v[31:32]
	s_delay_alu instid0(VALU_DEP_1) | instskip(NEXT) | instid1(VALU_DEP_1)
	v_mul_f64 v[35:36], v[37:38], v[31:32]
	v_fma_f64 v[29:30], -v[29:30], v[35:36], v[37:38]
	s_delay_alu instid0(VALU_DEP_1) | instskip(SKIP_2) | instid1(VALU_DEP_3)
	v_div_fmas_f64 v[29:30], v[29:30], v[31:32], v[35:36]
	v_fma_f64 v[31:32], v[25:26], v[17:18], v[27:28]
	v_fma_f64 v[25:26], v[27:28], v[17:18], -v[25:26]
	v_div_fixup_f64 v[19:20], v[29:30], v[19:20], 1.0
	s_delay_alu instid0(VALU_DEP_1) | instskip(NEXT) | instid1(VALU_DEP_3)
	v_mul_f64 v[17:18], v[31:32], v[19:20]
	v_mul_f64 v[19:20], v[25:26], v[19:20]
.LBB91_20:                              ;   in Loop: Header=BB91_4 Depth=1
	s_or_b32 exec_lo, exec_lo, s2
	s_waitcnt vmcnt(0)
	v_mul_f64 v[25:26], s[10:11], v[23:24]
	v_mul_f64 v[23:24], s[8:9], v[23:24]
	s_delay_alu instid0(VALU_DEP_2) | instskip(NEXT) | instid1(VALU_DEP_2)
	v_fma_f64 v[25:26], s[8:9], v[21:22], -v[25:26]
	v_fma_f64 v[27:28], s[10:11], v[21:22], v[23:24]
                                        ; implicit-def: $vgpr23_vgpr24
	s_delay_alu instid0(VALU_DEP_2) | instskip(NEXT) | instid1(VALU_DEP_2)
	v_cmp_gt_f64_e32 vcc_lo, 0, v[25:26]
	v_cmp_gt_f64_e64 s2, 0, v[27:28]
	v_xor_b32_e32 v21, 0x80000000, v26
	v_xor_b32_e32 v22, 0x80000000, v28
	s_delay_alu instid0(VALU_DEP_2) | instskip(NEXT) | instid1(VALU_DEP_2)
	v_cndmask_b32_e32 v30, v26, v21, vcc_lo
	v_cndmask_b32_e64 v32, v28, v22, s2
	v_cndmask_b32_e32 v29, v25, v25, vcc_lo
	v_cndmask_b32_e64 v31, v27, v27, s2
	s_mov_b32 s2, exec_lo
	s_delay_alu instid0(VALU_DEP_1)
	v_cmpx_ge_f64_e32 v[29:30], v[31:32]
	s_xor_b32 s27, exec_lo, s2
	s_cbranch_execz .LBB91_26
; %bb.21:                               ;   in Loop: Header=BB91_4 Depth=1
	v_cmp_neq_f64_e32 vcc_lo, 0, v[25:26]
	v_cmp_neq_f64_e64 s2, 0, v[27:28]
                                        ; implicit-def: $vgpr23_vgpr24
	s_delay_alu instid0(VALU_DEP_1) | instskip(NEXT) | instid1(SALU_CYCLE_1)
	s_or_b32 s2, vcc_lo, s2
	s_and_saveexec_b32 s28, s2
	s_delay_alu instid0(SALU_CYCLE_1)
	s_xor_b32 s2, exec_lo, s28
	s_cbranch_execz .LBB91_23
; %bb.22:                               ;   in Loop: Header=BB91_4 Depth=1
	v_div_scale_f64 v[21:22], null, v[25:26], v[25:26], v[27:28]
	v_div_scale_f64 v[31:32], vcc_lo, v[27:28], v[25:26], v[27:28]
	s_delay_alu instid0(VALU_DEP_2) | instskip(SKIP_2) | instid1(VALU_DEP_1)
	v_rcp_f64_e32 v[23:24], v[21:22]
	s_waitcnt_depctr 0xfff
	v_fma_f64 v[29:30], -v[21:22], v[23:24], 1.0
	v_fma_f64 v[23:24], v[23:24], v[29:30], v[23:24]
	s_delay_alu instid0(VALU_DEP_1) | instskip(NEXT) | instid1(VALU_DEP_1)
	v_fma_f64 v[29:30], -v[21:22], v[23:24], 1.0
	v_fma_f64 v[23:24], v[23:24], v[29:30], v[23:24]
	s_delay_alu instid0(VALU_DEP_1) | instskip(NEXT) | instid1(VALU_DEP_1)
	v_mul_f64 v[29:30], v[31:32], v[23:24]
	v_fma_f64 v[21:22], -v[21:22], v[29:30], v[31:32]
	s_delay_alu instid0(VALU_DEP_1) | instskip(NEXT) | instid1(VALU_DEP_1)
	v_div_fmas_f64 v[21:22], v[21:22], v[23:24], v[29:30]
	v_div_fixup_f64 v[21:22], v[21:22], v[25:26], v[27:28]
	s_delay_alu instid0(VALU_DEP_1) | instskip(NEXT) | instid1(VALU_DEP_1)
	v_fma_f64 v[23:24], v[27:28], v[21:22], v[25:26]
	v_div_scale_f64 v[25:26], null, v[23:24], v[23:24], 1.0
	v_div_scale_f64 v[31:32], vcc_lo, 1.0, v[23:24], 1.0
	s_delay_alu instid0(VALU_DEP_2) | instskip(SKIP_2) | instid1(VALU_DEP_1)
	v_rcp_f64_e32 v[27:28], v[25:26]
	s_waitcnt_depctr 0xfff
	v_fma_f64 v[29:30], -v[25:26], v[27:28], 1.0
	v_fma_f64 v[27:28], v[27:28], v[29:30], v[27:28]
	s_delay_alu instid0(VALU_DEP_1) | instskip(NEXT) | instid1(VALU_DEP_1)
	v_fma_f64 v[29:30], -v[25:26], v[27:28], 1.0
	v_fma_f64 v[27:28], v[27:28], v[29:30], v[27:28]
	s_delay_alu instid0(VALU_DEP_1) | instskip(NEXT) | instid1(VALU_DEP_1)
	v_mul_f64 v[29:30], v[31:32], v[27:28]
	v_fma_f64 v[25:26], -v[25:26], v[29:30], v[31:32]
                                        ; implicit-def: $vgpr31_vgpr32
	s_delay_alu instid0(VALU_DEP_1) | instskip(SKIP_2) | instid1(VALU_DEP_3)
	v_div_fmas_f64 v[25:26], v[25:26], v[27:28], v[29:30]
	v_fma_f64 v[27:28], v[15:16], v[21:22], v[13:14]
	v_fma_f64 v[13:14], -v[13:14], v[21:22], v[15:16]
                                        ; implicit-def: $vgpr29_vgpr30
	v_div_fixup_f64 v[23:24], v[25:26], v[23:24], 1.0
	s_delay_alu instid0(VALU_DEP_1) | instskip(NEXT) | instid1(VALU_DEP_3)
	v_mul_f64 v[21:22], v[27:28], v[23:24]
	v_mul_f64 v[23:24], v[13:14], v[23:24]
                                        ; implicit-def: $vgpr13_vgpr14
.LBB91_23:                              ;   in Loop: Header=BB91_4 Depth=1
	s_and_not1_saveexec_b32 s28, s2
	s_cbranch_execz .LBB91_25
; %bb.24:                               ;   in Loop: Header=BB91_4 Depth=1
	v_div_scale_f64 v[21:22], null, v[29:30], v[29:30], v[13:14]
	v_div_scale_f64 v[23:24], null, v[31:32], v[31:32], v[15:16]
	v_div_scale_f64 v[39:40], vcc_lo, v[13:14], v[29:30], v[13:14]
	s_delay_alu instid0(VALU_DEP_3) | instskip(NEXT) | instid1(VALU_DEP_2)
	v_rcp_f64_e32 v[25:26], v[21:22]
	v_rcp_f64_e32 v[27:28], v[23:24]
	s_waitcnt_depctr 0xfff
	v_fma_f64 v[35:36], -v[21:22], v[25:26], 1.0
	v_fma_f64 v[37:38], -v[23:24], v[27:28], 1.0
	s_delay_alu instid0(VALU_DEP_2) | instskip(NEXT) | instid1(VALU_DEP_2)
	v_fma_f64 v[25:26], v[25:26], v[35:36], v[25:26]
	v_fma_f64 v[27:28], v[27:28], v[37:38], v[27:28]
	s_delay_alu instid0(VALU_DEP_2) | instskip(NEXT) | instid1(VALU_DEP_2)
	v_fma_f64 v[35:36], -v[21:22], v[25:26], 1.0
	v_fma_f64 v[37:38], -v[23:24], v[27:28], 1.0
	s_delay_alu instid0(VALU_DEP_2) | instskip(SKIP_1) | instid1(VALU_DEP_3)
	v_fma_f64 v[25:26], v[25:26], v[35:36], v[25:26]
	v_div_scale_f64 v[35:36], s2, v[15:16], v[31:32], v[15:16]
	v_fma_f64 v[27:28], v[27:28], v[37:38], v[27:28]
	s_delay_alu instid0(VALU_DEP_3) | instskip(NEXT) | instid1(VALU_DEP_2)
	v_mul_f64 v[37:38], v[39:40], v[25:26]
	v_mul_f64 v[41:42], v[35:36], v[27:28]
	s_delay_alu instid0(VALU_DEP_2) | instskip(NEXT) | instid1(VALU_DEP_2)
	v_fma_f64 v[21:22], -v[21:22], v[37:38], v[39:40]
	v_fma_f64 v[23:24], -v[23:24], v[41:42], v[35:36]
	s_delay_alu instid0(VALU_DEP_2) | instskip(SKIP_1) | instid1(VALU_DEP_2)
	v_div_fmas_f64 v[21:22], v[21:22], v[25:26], v[37:38]
	s_mov_b32 vcc_lo, s2
	v_div_fmas_f64 v[23:24], v[23:24], v[27:28], v[41:42]
	s_delay_alu instid0(VALU_DEP_2) | instskip(NEXT) | instid1(VALU_DEP_2)
	v_div_fixup_f64 v[21:22], v[21:22], v[29:30], v[13:14]
	v_div_fixup_f64 v[23:24], v[23:24], v[31:32], v[15:16]
.LBB91_25:                              ;   in Loop: Header=BB91_4 Depth=1
	s_or_b32 exec_lo, exec_lo, s28
                                        ; implicit-def: $vgpr27_vgpr28
                                        ; implicit-def: $vgpr25_vgpr26
                                        ; implicit-def: $vgpr13_vgpr14
.LBB91_26:                              ;   in Loop: Header=BB91_4 Depth=1
	s_and_not1_saveexec_b32 s2, s27
	s_cbranch_execz .LBB91_28
; %bb.27:                               ;   in Loop: Header=BB91_4 Depth=1
	v_div_scale_f64 v[21:22], null, v[27:28], v[27:28], v[25:26]
	v_div_scale_f64 v[31:32], vcc_lo, v[25:26], v[27:28], v[25:26]
	s_delay_alu instid0(VALU_DEP_2) | instskip(SKIP_2) | instid1(VALU_DEP_1)
	v_rcp_f64_e32 v[23:24], v[21:22]
	s_waitcnt_depctr 0xfff
	v_fma_f64 v[29:30], -v[21:22], v[23:24], 1.0
	v_fma_f64 v[23:24], v[23:24], v[29:30], v[23:24]
	s_delay_alu instid0(VALU_DEP_1) | instskip(NEXT) | instid1(VALU_DEP_1)
	v_fma_f64 v[29:30], -v[21:22], v[23:24], 1.0
	v_fma_f64 v[23:24], v[23:24], v[29:30], v[23:24]
	s_delay_alu instid0(VALU_DEP_1) | instskip(NEXT) | instid1(VALU_DEP_1)
	v_mul_f64 v[29:30], v[31:32], v[23:24]
	v_fma_f64 v[21:22], -v[21:22], v[29:30], v[31:32]
	s_delay_alu instid0(VALU_DEP_1) | instskip(NEXT) | instid1(VALU_DEP_1)
	v_div_fmas_f64 v[21:22], v[21:22], v[23:24], v[29:30]
	v_div_fixup_f64 v[21:22], v[21:22], v[27:28], v[25:26]
	s_delay_alu instid0(VALU_DEP_1) | instskip(NEXT) | instid1(VALU_DEP_1)
	v_fma_f64 v[23:24], v[25:26], v[21:22], v[27:28]
	v_div_scale_f64 v[25:26], null, v[23:24], v[23:24], 1.0
	v_div_scale_f64 v[31:32], vcc_lo, 1.0, v[23:24], 1.0
	s_delay_alu instid0(VALU_DEP_2) | instskip(SKIP_2) | instid1(VALU_DEP_1)
	v_rcp_f64_e32 v[27:28], v[25:26]
	s_waitcnt_depctr 0xfff
	v_fma_f64 v[29:30], -v[25:26], v[27:28], 1.0
	v_fma_f64 v[27:28], v[27:28], v[29:30], v[27:28]
	s_delay_alu instid0(VALU_DEP_1) | instskip(NEXT) | instid1(VALU_DEP_1)
	v_fma_f64 v[29:30], -v[25:26], v[27:28], 1.0
	v_fma_f64 v[27:28], v[27:28], v[29:30], v[27:28]
	s_delay_alu instid0(VALU_DEP_1) | instskip(NEXT) | instid1(VALU_DEP_1)
	v_mul_f64 v[29:30], v[31:32], v[27:28]
	v_fma_f64 v[25:26], -v[25:26], v[29:30], v[31:32]
	s_delay_alu instid0(VALU_DEP_1) | instskip(SKIP_2) | instid1(VALU_DEP_3)
	v_div_fmas_f64 v[25:26], v[25:26], v[27:28], v[29:30]
	v_fma_f64 v[27:28], v[13:14], v[21:22], v[15:16]
	v_fma_f64 v[13:14], v[15:16], v[21:22], -v[13:14]
	v_div_fixup_f64 v[23:24], v[25:26], v[23:24], 1.0
	s_delay_alu instid0(VALU_DEP_1) | instskip(NEXT) | instid1(VALU_DEP_3)
	v_mul_f64 v[21:22], v[27:28], v[23:24]
	v_mul_f64 v[23:24], v[13:14], v[23:24]
.LBB91_28:                              ;   in Loop: Header=BB91_4 Depth=1
	s_or_b32 exec_lo, exec_lo, s2
	v_mul_f64 v[13:14], s[10:11], v[11:12]
	v_mul_f64 v[11:12], s[8:9], v[11:12]
	s_delay_alu instid0(VALU_DEP_2) | instskip(NEXT) | instid1(VALU_DEP_2)
	v_fma_f64 v[13:14], s[8:9], v[9:10], -v[13:14]
	v_fma_f64 v[15:16], s[10:11], v[9:10], v[11:12]
                                        ; implicit-def: $vgpr11_vgpr12
	s_delay_alu instid0(VALU_DEP_2) | instskip(NEXT) | instid1(VALU_DEP_2)
	v_cmp_gt_f64_e32 vcc_lo, 0, v[13:14]
	v_cmp_gt_f64_e64 s2, 0, v[15:16]
	v_xor_b32_e32 v9, 0x80000000, v14
	v_xor_b32_e32 v10, 0x80000000, v16
	s_delay_alu instid0(VALU_DEP_2) | instskip(NEXT) | instid1(VALU_DEP_2)
	v_cndmask_b32_e32 v26, v14, v9, vcc_lo
	v_cndmask_b32_e64 v28, v16, v10, s2
	v_cndmask_b32_e32 v25, v13, v13, vcc_lo
	v_cndmask_b32_e64 v27, v15, v15, s2
	s_mov_b32 s2, exec_lo
	s_delay_alu instid0(VALU_DEP_1)
	v_cmpx_ge_f64_e32 v[25:26], v[27:28]
	s_xor_b32 s27, exec_lo, s2
	s_cbranch_execz .LBB91_34
; %bb.29:                               ;   in Loop: Header=BB91_4 Depth=1
	v_cmp_neq_f64_e32 vcc_lo, 0, v[13:14]
	v_cmp_neq_f64_e64 s2, 0, v[15:16]
                                        ; implicit-def: $vgpr11_vgpr12
	s_delay_alu instid0(VALU_DEP_1) | instskip(NEXT) | instid1(SALU_CYCLE_1)
	s_or_b32 s2, vcc_lo, s2
	s_and_saveexec_b32 s28, s2
	s_delay_alu instid0(SALU_CYCLE_1)
	s_xor_b32 s2, exec_lo, s28
	s_cbranch_execz .LBB91_31
; %bb.30:                               ;   in Loop: Header=BB91_4 Depth=1
	v_div_scale_f64 v[9:10], null, v[13:14], v[13:14], v[15:16]
	v_div_scale_f64 v[27:28], vcc_lo, v[15:16], v[13:14], v[15:16]
	s_delay_alu instid0(VALU_DEP_2) | instskip(SKIP_2) | instid1(VALU_DEP_1)
	v_rcp_f64_e32 v[11:12], v[9:10]
	s_waitcnt_depctr 0xfff
	v_fma_f64 v[25:26], -v[9:10], v[11:12], 1.0
	v_fma_f64 v[11:12], v[11:12], v[25:26], v[11:12]
	s_delay_alu instid0(VALU_DEP_1) | instskip(NEXT) | instid1(VALU_DEP_1)
	v_fma_f64 v[25:26], -v[9:10], v[11:12], 1.0
	v_fma_f64 v[11:12], v[11:12], v[25:26], v[11:12]
	s_delay_alu instid0(VALU_DEP_1) | instskip(NEXT) | instid1(VALU_DEP_1)
	v_mul_f64 v[25:26], v[27:28], v[11:12]
	v_fma_f64 v[9:10], -v[9:10], v[25:26], v[27:28]
	s_delay_alu instid0(VALU_DEP_1) | instskip(NEXT) | instid1(VALU_DEP_1)
	v_div_fmas_f64 v[9:10], v[9:10], v[11:12], v[25:26]
	v_div_fixup_f64 v[9:10], v[9:10], v[13:14], v[15:16]
	s_delay_alu instid0(VALU_DEP_1) | instskip(NEXT) | instid1(VALU_DEP_1)
	v_fma_f64 v[11:12], v[15:16], v[9:10], v[13:14]
	v_div_scale_f64 v[13:14], null, v[11:12], v[11:12], 1.0
	v_div_scale_f64 v[27:28], vcc_lo, 1.0, v[11:12], 1.0
	s_delay_alu instid0(VALU_DEP_2) | instskip(SKIP_2) | instid1(VALU_DEP_1)
	v_rcp_f64_e32 v[15:16], v[13:14]
	s_waitcnt_depctr 0xfff
	v_fma_f64 v[25:26], -v[13:14], v[15:16], 1.0
	v_fma_f64 v[15:16], v[15:16], v[25:26], v[15:16]
	s_delay_alu instid0(VALU_DEP_1) | instskip(NEXT) | instid1(VALU_DEP_1)
	v_fma_f64 v[25:26], -v[13:14], v[15:16], 1.0
	v_fma_f64 v[15:16], v[15:16], v[25:26], v[15:16]
	s_delay_alu instid0(VALU_DEP_1) | instskip(NEXT) | instid1(VALU_DEP_1)
	v_mul_f64 v[25:26], v[27:28], v[15:16]
	v_fma_f64 v[13:14], -v[13:14], v[25:26], v[27:28]
                                        ; implicit-def: $vgpr27_vgpr28
	s_delay_alu instid0(VALU_DEP_1) | instskip(SKIP_2) | instid1(VALU_DEP_3)
	v_div_fmas_f64 v[13:14], v[13:14], v[15:16], v[25:26]
	v_fma_f64 v[15:16], v[3:4], v[9:10], v[1:2]
	v_fma_f64 v[1:2], -v[1:2], v[9:10], v[3:4]
                                        ; implicit-def: $vgpr25_vgpr26
	v_div_fixup_f64 v[11:12], v[13:14], v[11:12], 1.0
	s_delay_alu instid0(VALU_DEP_1) | instskip(NEXT) | instid1(VALU_DEP_3)
	v_mul_f64 v[9:10], v[15:16], v[11:12]
	v_mul_f64 v[11:12], v[1:2], v[11:12]
                                        ; implicit-def: $vgpr1_vgpr2
.LBB91_31:                              ;   in Loop: Header=BB91_4 Depth=1
	s_and_not1_saveexec_b32 s28, s2
	s_cbranch_execz .LBB91_33
; %bb.32:                               ;   in Loop: Header=BB91_4 Depth=1
	v_div_scale_f64 v[9:10], null, v[25:26], v[25:26], v[1:2]
	v_div_scale_f64 v[11:12], null, v[27:28], v[27:28], v[3:4]
	v_div_scale_f64 v[35:36], vcc_lo, v[1:2], v[25:26], v[1:2]
	s_delay_alu instid0(VALU_DEP_3) | instskip(NEXT) | instid1(VALU_DEP_2)
	v_rcp_f64_e32 v[13:14], v[9:10]
	v_rcp_f64_e32 v[15:16], v[11:12]
	s_waitcnt_depctr 0xfff
	v_fma_f64 v[29:30], -v[9:10], v[13:14], 1.0
	v_fma_f64 v[31:32], -v[11:12], v[15:16], 1.0
	s_delay_alu instid0(VALU_DEP_2) | instskip(NEXT) | instid1(VALU_DEP_2)
	v_fma_f64 v[13:14], v[13:14], v[29:30], v[13:14]
	v_fma_f64 v[15:16], v[15:16], v[31:32], v[15:16]
	s_delay_alu instid0(VALU_DEP_2) | instskip(NEXT) | instid1(VALU_DEP_2)
	v_fma_f64 v[29:30], -v[9:10], v[13:14], 1.0
	v_fma_f64 v[31:32], -v[11:12], v[15:16], 1.0
	s_delay_alu instid0(VALU_DEP_2) | instskip(SKIP_1) | instid1(VALU_DEP_3)
	v_fma_f64 v[13:14], v[13:14], v[29:30], v[13:14]
	v_div_scale_f64 v[29:30], s2, v[3:4], v[27:28], v[3:4]
	v_fma_f64 v[15:16], v[15:16], v[31:32], v[15:16]
	s_delay_alu instid0(VALU_DEP_3) | instskip(NEXT) | instid1(VALU_DEP_2)
	v_mul_f64 v[31:32], v[35:36], v[13:14]
	v_mul_f64 v[37:38], v[29:30], v[15:16]
	s_delay_alu instid0(VALU_DEP_2) | instskip(NEXT) | instid1(VALU_DEP_2)
	v_fma_f64 v[9:10], -v[9:10], v[31:32], v[35:36]
	v_fma_f64 v[11:12], -v[11:12], v[37:38], v[29:30]
	s_delay_alu instid0(VALU_DEP_2) | instskip(SKIP_1) | instid1(VALU_DEP_2)
	v_div_fmas_f64 v[9:10], v[9:10], v[13:14], v[31:32]
	s_mov_b32 vcc_lo, s2
	v_div_fmas_f64 v[11:12], v[11:12], v[15:16], v[37:38]
	s_delay_alu instid0(VALU_DEP_2) | instskip(NEXT) | instid1(VALU_DEP_2)
	v_div_fixup_f64 v[9:10], v[9:10], v[25:26], v[1:2]
	v_div_fixup_f64 v[11:12], v[11:12], v[27:28], v[3:4]
.LBB91_33:                              ;   in Loop: Header=BB91_4 Depth=1
	s_or_b32 exec_lo, exec_lo, s28
                                        ; implicit-def: $vgpr15_vgpr16
                                        ; implicit-def: $vgpr13_vgpr14
                                        ; implicit-def: $vgpr1_vgpr2
.LBB91_34:                              ;   in Loop: Header=BB91_4 Depth=1
	s_and_not1_saveexec_b32 s2, s27
	s_cbranch_execz .LBB91_3
; %bb.35:                               ;   in Loop: Header=BB91_4 Depth=1
	v_div_scale_f64 v[9:10], null, v[15:16], v[15:16], v[13:14]
	v_div_scale_f64 v[27:28], vcc_lo, v[13:14], v[15:16], v[13:14]
	s_delay_alu instid0(VALU_DEP_2) | instskip(SKIP_2) | instid1(VALU_DEP_1)
	v_rcp_f64_e32 v[11:12], v[9:10]
	s_waitcnt_depctr 0xfff
	v_fma_f64 v[25:26], -v[9:10], v[11:12], 1.0
	v_fma_f64 v[11:12], v[11:12], v[25:26], v[11:12]
	s_delay_alu instid0(VALU_DEP_1) | instskip(NEXT) | instid1(VALU_DEP_1)
	v_fma_f64 v[25:26], -v[9:10], v[11:12], 1.0
	v_fma_f64 v[11:12], v[11:12], v[25:26], v[11:12]
	s_delay_alu instid0(VALU_DEP_1) | instskip(NEXT) | instid1(VALU_DEP_1)
	v_mul_f64 v[25:26], v[27:28], v[11:12]
	v_fma_f64 v[9:10], -v[9:10], v[25:26], v[27:28]
	s_delay_alu instid0(VALU_DEP_1) | instskip(NEXT) | instid1(VALU_DEP_1)
	v_div_fmas_f64 v[9:10], v[9:10], v[11:12], v[25:26]
	v_div_fixup_f64 v[9:10], v[9:10], v[15:16], v[13:14]
	s_delay_alu instid0(VALU_DEP_1) | instskip(NEXT) | instid1(VALU_DEP_1)
	v_fma_f64 v[11:12], v[13:14], v[9:10], v[15:16]
	v_div_scale_f64 v[13:14], null, v[11:12], v[11:12], 1.0
	v_div_scale_f64 v[27:28], vcc_lo, 1.0, v[11:12], 1.0
	s_delay_alu instid0(VALU_DEP_2) | instskip(SKIP_2) | instid1(VALU_DEP_1)
	v_rcp_f64_e32 v[15:16], v[13:14]
	s_waitcnt_depctr 0xfff
	v_fma_f64 v[25:26], -v[13:14], v[15:16], 1.0
	v_fma_f64 v[15:16], v[15:16], v[25:26], v[15:16]
	s_delay_alu instid0(VALU_DEP_1) | instskip(NEXT) | instid1(VALU_DEP_1)
	v_fma_f64 v[25:26], -v[13:14], v[15:16], 1.0
	v_fma_f64 v[15:16], v[15:16], v[25:26], v[15:16]
	s_delay_alu instid0(VALU_DEP_1) | instskip(NEXT) | instid1(VALU_DEP_1)
	v_mul_f64 v[25:26], v[27:28], v[15:16]
	v_fma_f64 v[13:14], -v[13:14], v[25:26], v[27:28]
	s_delay_alu instid0(VALU_DEP_1) | instskip(SKIP_2) | instid1(VALU_DEP_3)
	v_div_fmas_f64 v[13:14], v[13:14], v[15:16], v[25:26]
	v_fma_f64 v[15:16], v[1:2], v[9:10], v[3:4]
	v_fma_f64 v[1:2], v[3:4], v[9:10], -v[1:2]
	v_div_fixup_f64 v[11:12], v[13:14], v[11:12], 1.0
	s_delay_alu instid0(VALU_DEP_1) | instskip(NEXT) | instid1(VALU_DEP_3)
	v_mul_f64 v[9:10], v[15:16], v[11:12]
	v_mul_f64 v[11:12], v[1:2], v[11:12]
	s_branch .LBB91_3
.LBB91_36:
	s_or_b32 exec_lo, exec_lo, s23
	s_mov_b32 s2, 0
.LBB91_37:
	s_delay_alu instid0(SALU_CYCLE_1)
	s_and_not1_b32 vcc_lo, exec_lo, s2
	s_cbranch_vccnz .LBB91_89
; %bb.38:
	v_cmp_lt_i64_e64 s2, s[12:13], 1
	s_delay_alu instid0(VALU_DEP_1)
	s_and_b32 vcc_lo, exec_lo, s2
	s_cbranch_vccnz .LBB91_89
; %bb.39:
	s_load_b32 s0, s[0:1], 0xc6c
	v_dual_mov_b32 v1, 0 :: v_dual_lshlrev_b32 v6, 4, v0
	v_cmp_gt_u64_e64 s1, 0x10000, s[12:13]
	s_mov_b32 s15, 0
	s_delay_alu instid0(VALU_DEP_2) | instskip(NEXT) | instid1(VALU_DEP_3)
	v_or_b32_e32 v2, 8, v6
	v_mov_b32_e32 v3, v1
	s_delay_alu instid0(VALU_DEP_2) | instskip(NEXT) | instid1(VALU_DEP_1)
	v_add_co_u32 v42, s2, s18, v2
	v_add_co_ci_u32_e64 v43, null, s19, 0, s2
	v_add_co_u32 v44, s2, s4, v2
	s_delay_alu instid0(VALU_DEP_1)
	v_add_co_ci_u32_e64 v45, null, s5, 0, s2
	s_waitcnt lgkmcnt(0)
	s_and_b32 s22, s0, 0xffff
	s_and_b32 s0, s1, exec_lo
	v_add_lshl_u32 v7, v0, s22, 4
	v_mad_u64_u32 v[4:5], null, s22, 48, v[2:3]
	s_cselect_b32 s17, s13, 0
	s_cselect_b32 s16, s12, 0x10000
	s_delay_alu instid0(VALU_DEP_2) | instskip(NEXT) | instid1(VALU_DEP_1)
	v_add_co_u32 v46, s0, s20, v7
	v_add_co_ci_u32_e64 v47, null, s21, 0, s0
	v_add_co_u32 v48, s0, s20, v2
	s_delay_alu instid0(VALU_DEP_1) | instskip(SKIP_1) | instid1(VALU_DEP_1)
	v_add_co_ci_u32_e64 v49, null, s21, 0, s0
	v_add_co_u32 v50, s0, s4, v7
	v_add_co_ci_u32_e64 v51, null, s5, 0, s0
	v_add_co_u32 v54, s0, s18, v7
	v_add_co_u32 v52, vcc_lo, s18, v4
	v_add_co_ci_u32_e64 v55, null, s19, 0, s0
	s_lshl_b32 s0, s22, 5
	v_add_co_ci_u32_e32 v53, vcc_lo, s19, v5, vcc_lo
	v_add_co_u32 v2, s0, s0, v6
	v_add_co_u32 v56, vcc_lo, s4, v4
	v_add_co_ci_u32_e32 v57, vcc_lo, s5, v5, vcc_lo
	v_add_co_u32 v58, vcc_lo, s20, v4
	v_add_co_ci_u32_e64 v3, null, 0, 0, s0
	v_or_b32_e32 v4, 8, v2
	v_add_co_ci_u32_e32 v59, vcc_lo, s21, v5, vcc_lo
	v_add_co_u32 v60, vcc_lo, s20, v2
	s_delay_alu instid0(VALU_DEP_4) | instskip(NEXT) | instid1(VALU_DEP_4)
	v_add_co_ci_u32_e32 v61, vcc_lo, s21, v3, vcc_lo
	v_add_co_u32 v62, vcc_lo, s18, v4
	v_add_co_ci_u32_e32 v63, vcc_lo, s19, v3, vcc_lo
	v_add_co_u32 v64, vcc_lo, s4, v4
	v_add_co_ci_u32_e32 v65, vcc_lo, s5, v3, vcc_lo
	s_lshl_b32 s14, s22, 2
	s_lshl_b32 s23, s22, 1
	s_mul_i32 s24, s22, 3
	s_lshl_b32 s5, s22, 6
	s_mov_b64 s[18:19], s[14:15]
	s_branch .LBB91_41
.LBB91_40:                              ;   in Loop: Header=BB91_41 Depth=1
	s_or_b32 exec_lo, exec_lo, s0
	v_add_co_u32 v0, vcc_lo, v0, s14
	v_add_co_ci_u32_e32 v1, vcc_lo, 0, v1, vcc_lo
	v_add_co_u32 v42, vcc_lo, v42, s5
	v_add_co_ci_u32_e32 v43, vcc_lo, 0, v43, vcc_lo
	;; [unrolled: 2-line block ×11, first 2 shown]
	v_cmp_ge_i64_e64 s0, s[18:19], s[12:13]
	v_cmp_lt_u64_e64 s1, 0xffff, s[18:19]
	v_add_co_u32 v62, vcc_lo, v62, s5
	v_add_co_ci_u32_e32 v63, vcc_lo, 0, v63, vcc_lo
	v_add_co_u32 v64, vcc_lo, v64, s5
	v_add_co_ci_u32_e32 v65, vcc_lo, 0, v65, vcc_lo
	s_or_b32 s0, s0, s1
	s_add_u32 s18, s18, s14
	s_addc_u32 s19, s19, 0
	s_and_b32 vcc_lo, exec_lo, s0
	s_cbranch_vccnz .LBB91_89
.LBB91_41:                              ; =>This Inner Loop Header: Depth=1
	v_mov_b32_e32 v24, 0
	v_mov_b32_e32 v25, 0
	v_cmp_gt_u64_e64 s0, s[16:17], v[0:1]
	s_delay_alu instid0(VALU_DEP_3) | instskip(NEXT) | instid1(VALU_DEP_3)
	v_mov_b32_e32 v8, v24
	v_dual_mov_b32 v6, v24 :: v_dual_mov_b32 v7, v25
	v_mov_b32_e32 v9, v25
	v_dual_mov_b32 v33, v25 :: v_dual_mov_b32 v32, v24
	v_dual_mov_b32 v31, v25 :: v_dual_mov_b32 v30, v24
	s_and_saveexec_b32 s1, s0
	s_cbranch_execz .LBB91_43
; %bb.42:                               ;   in Loop: Header=BB91_41 Depth=1
	v_add_co_u32 v2, vcc_lo, v44, s6
	v_add_co_ci_u32_e32 v3, vcc_lo, s7, v45, vcc_lo
	v_add_co_u32 v4, vcc_lo, v42, s6
	v_add_co_ci_u32_e32 v5, vcc_lo, s7, v43, vcc_lo
	global_load_b128 v[30:33], v[2:3], off offset:-8
	global_load_b128 v[6:9], v[4:5], off offset:-8
.LBB91_43:                              ;   in Loop: Header=BB91_41 Depth=1
	s_or_b32 exec_lo, exec_lo, s1
	v_add_co_u32 v2, vcc_lo, s22, v0
	v_add_co_ci_u32_e32 v3, vcc_lo, 0, v1, vcc_lo
	v_dual_mov_b32 v22, v24 :: v_dual_mov_b32 v23, v25
	v_dual_mov_b32 v20, v24 :: v_dual_mov_b32 v21, v25
	s_delay_alu instid0(VALU_DEP_3) | instskip(SKIP_1) | instid1(VALU_DEP_2)
	v_cmp_gt_u64_e64 s1, s[16:17], v[2:3]
	v_dual_mov_b32 v18, v24 :: v_dual_mov_b32 v19, v25
	s_and_saveexec_b32 s2, s1
	s_cbranch_execz .LBB91_45
; %bb.44:                               ;   in Loop: Header=BB91_41 Depth=1
	v_add_co_u32 v2, vcc_lo, v50, s6
	v_add_co_ci_u32_e32 v3, vcc_lo, s7, v51, vcc_lo
	v_add_co_u32 v4, vcc_lo, v54, s6
	v_add_co_ci_u32_e32 v5, vcc_lo, s7, v55, vcc_lo
	global_load_b128 v[18:21], v[2:3], off
	global_load_b128 v[22:25], v[4:5], off
.LBB91_45:                              ;   in Loop: Header=BB91_41 Depth=1
	s_or_b32 exec_lo, exec_lo, s2
	v_add_co_u32 v2, vcc_lo, s23, v0
	v_add_co_ci_u32_e32 v3, vcc_lo, 0, v1, vcc_lo
	v_mov_b32_e32 v12, 0
	v_mov_b32_e32 v13, 0
	s_delay_alu instid0(VALU_DEP_3) | instskip(NEXT) | instid1(VALU_DEP_2)
	v_cmp_gt_u64_e64 s2, s[16:17], v[2:3]
	v_dual_mov_b32 v29, v13 :: v_dual_mov_b32 v28, v12
	v_dual_mov_b32 v27, v13 :: v_dual_mov_b32 v26, v12
	;; [unrolled: 1-line block ×4, first 2 shown]
	s_and_saveexec_b32 s3, s2
	s_cbranch_execz .LBB91_47
; %bb.46:                               ;   in Loop: Header=BB91_41 Depth=1
	v_add_co_u32 v2, vcc_lo, v64, s6
	v_add_co_ci_u32_e32 v3, vcc_lo, s7, v65, vcc_lo
	v_add_co_u32 v4, vcc_lo, v62, s6
	v_add_co_ci_u32_e32 v5, vcc_lo, s7, v63, vcc_lo
	global_load_b128 v[14:17], v[2:3], off offset:-8
	global_load_b128 v[26:29], v[4:5], off offset:-8
.LBB91_47:                              ;   in Loop: Header=BB91_41 Depth=1
	s_or_b32 exec_lo, exec_lo, s3
	v_add_co_u32 v2, vcc_lo, s24, v0
	v_add_co_ci_u32_e32 v3, vcc_lo, 0, v1, vcc_lo
	v_dual_mov_b32 v10, v12 :: v_dual_mov_b32 v11, v13
	v_dual_mov_b32 v4, v12 :: v_dual_mov_b32 v5, v13
	s_delay_alu instid0(VALU_DEP_3) | instskip(SKIP_1) | instid1(VALU_DEP_2)
	v_cmp_gt_u64_e64 s3, s[16:17], v[2:3]
	v_dual_mov_b32 v2, v12 :: v_dual_mov_b32 v3, v13
	s_and_saveexec_b32 s4, s3
	s_cbranch_execz .LBB91_49
; %bb.48:                               ;   in Loop: Header=BB91_41 Depth=1
	v_add_co_u32 v2, vcc_lo, v56, s6
	v_add_co_ci_u32_e32 v3, vcc_lo, s7, v57, vcc_lo
	v_add_co_u32 v10, vcc_lo, v52, s6
	v_add_co_ci_u32_e32 v11, vcc_lo, s7, v53, vcc_lo
	global_load_b128 v[2:5], v[2:3], off offset:-8
	global_load_b128 v[10:13], v[10:11], off offset:-8
.LBB91_49:                              ;   in Loop: Header=BB91_41 Depth=1
	s_or_b32 exec_lo, exec_lo, s4
	s_waitcnt vmcnt(0)
	v_mul_f64 v[34:35], s[10:11], v[8:9]
	v_mul_f64 v[36:37], s[10:11], v[6:7]
	s_delay_alu instid0(VALU_DEP_2) | instskip(NEXT) | instid1(VALU_DEP_2)
	v_fma_f64 v[34:35], s[8:9], v[6:7], -v[34:35]
	v_fma_f64 v[36:37], s[8:9], v[8:9], v[36:37]
                                        ; implicit-def: $vgpr8_vgpr9
	s_delay_alu instid0(VALU_DEP_2) | instskip(NEXT) | instid1(VALU_DEP_2)
	v_cmp_gt_f64_e32 vcc_lo, 0, v[34:35]
	v_cmp_gt_f64_e64 s4, 0, v[36:37]
	v_xor_b32_e32 v6, 0x80000000, v35
	v_xor_b32_e32 v7, 0x80000000, v37
	s_delay_alu instid0(VALU_DEP_2) | instskip(NEXT) | instid1(VALU_DEP_2)
	v_cndmask_b32_e32 v39, v35, v6, vcc_lo
	v_cndmask_b32_e64 v41, v37, v7, s4
	v_cndmask_b32_e32 v38, v34, v34, vcc_lo
	v_cndmask_b32_e64 v40, v36, v36, s4
	s_mov_b32 s4, exec_lo
	s_delay_alu instid0(VALU_DEP_1)
	v_cmpx_ge_f64_e32 v[38:39], v[40:41]
	s_xor_b32 s15, exec_lo, s4
	s_cbranch_execz .LBB91_55
; %bb.50:                               ;   in Loop: Header=BB91_41 Depth=1
	v_cmp_neq_f64_e32 vcc_lo, 0, v[34:35]
	v_cmp_neq_f64_e64 s4, 0, v[36:37]
                                        ; implicit-def: $vgpr8_vgpr9
	s_delay_alu instid0(VALU_DEP_1) | instskip(NEXT) | instid1(SALU_CYCLE_1)
	s_or_b32 s4, vcc_lo, s4
	s_and_saveexec_b32 s20, s4
	s_delay_alu instid0(SALU_CYCLE_1)
	s_xor_b32 s4, exec_lo, s20
	s_cbranch_execz .LBB91_52
; %bb.51:                               ;   in Loop: Header=BB91_41 Depth=1
	v_div_scale_f64 v[6:7], null, v[34:35], v[34:35], v[36:37]
	v_div_scale_f64 v[40:41], vcc_lo, v[36:37], v[34:35], v[36:37]
	s_delay_alu instid0(VALU_DEP_2) | instskip(SKIP_2) | instid1(VALU_DEP_1)
	v_rcp_f64_e32 v[8:9], v[6:7]
	s_waitcnt_depctr 0xfff
	v_fma_f64 v[38:39], -v[6:7], v[8:9], 1.0
	v_fma_f64 v[8:9], v[8:9], v[38:39], v[8:9]
	s_delay_alu instid0(VALU_DEP_1) | instskip(NEXT) | instid1(VALU_DEP_1)
	v_fma_f64 v[38:39], -v[6:7], v[8:9], 1.0
	v_fma_f64 v[8:9], v[8:9], v[38:39], v[8:9]
	s_delay_alu instid0(VALU_DEP_1) | instskip(NEXT) | instid1(VALU_DEP_1)
	v_mul_f64 v[38:39], v[40:41], v[8:9]
	v_fma_f64 v[6:7], -v[6:7], v[38:39], v[40:41]
	s_delay_alu instid0(VALU_DEP_1) | instskip(NEXT) | instid1(VALU_DEP_1)
	v_div_fmas_f64 v[6:7], v[6:7], v[8:9], v[38:39]
	v_div_fixup_f64 v[6:7], v[6:7], v[34:35], v[36:37]
	s_delay_alu instid0(VALU_DEP_1) | instskip(NEXT) | instid1(VALU_DEP_1)
	v_fma_f64 v[8:9], v[36:37], v[6:7], v[34:35]
	v_div_scale_f64 v[34:35], null, v[8:9], v[8:9], 1.0
	v_div_scale_f64 v[40:41], vcc_lo, 1.0, v[8:9], 1.0
	s_delay_alu instid0(VALU_DEP_2) | instskip(SKIP_2) | instid1(VALU_DEP_1)
	v_rcp_f64_e32 v[36:37], v[34:35]
	s_waitcnt_depctr 0xfff
	v_fma_f64 v[38:39], -v[34:35], v[36:37], 1.0
	v_fma_f64 v[36:37], v[36:37], v[38:39], v[36:37]
	s_delay_alu instid0(VALU_DEP_1) | instskip(NEXT) | instid1(VALU_DEP_1)
	v_fma_f64 v[38:39], -v[34:35], v[36:37], 1.0
	v_fma_f64 v[36:37], v[36:37], v[38:39], v[36:37]
	s_delay_alu instid0(VALU_DEP_1) | instskip(NEXT) | instid1(VALU_DEP_1)
	v_mul_f64 v[38:39], v[40:41], v[36:37]
	v_fma_f64 v[34:35], -v[34:35], v[38:39], v[40:41]
                                        ; implicit-def: $vgpr40_vgpr41
	s_delay_alu instid0(VALU_DEP_1) | instskip(SKIP_2) | instid1(VALU_DEP_3)
	v_div_fmas_f64 v[34:35], v[34:35], v[36:37], v[38:39]
	v_fma_f64 v[36:37], v[32:33], v[6:7], v[30:31]
	v_fma_f64 v[30:31], -v[30:31], v[6:7], v[32:33]
                                        ; implicit-def: $vgpr38_vgpr39
	v_div_fixup_f64 v[8:9], v[34:35], v[8:9], 1.0
	s_delay_alu instid0(VALU_DEP_1) | instskip(NEXT) | instid1(VALU_DEP_3)
	v_mul_f64 v[6:7], v[36:37], v[8:9]
	v_mul_f64 v[8:9], v[30:31], v[8:9]
                                        ; implicit-def: $vgpr30_vgpr31
.LBB91_52:                              ;   in Loop: Header=BB91_41 Depth=1
	s_and_not1_saveexec_b32 s20, s4
	s_cbranch_execz .LBB91_54
; %bb.53:                               ;   in Loop: Header=BB91_41 Depth=1
	v_div_scale_f64 v[6:7], null, v[38:39], v[38:39], v[30:31]
	v_div_scale_f64 v[8:9], null, v[40:41], v[40:41], v[32:33]
	v_div_scale_f64 v[70:71], vcc_lo, v[30:31], v[38:39], v[30:31]
	s_delay_alu instid0(VALU_DEP_3) | instskip(NEXT) | instid1(VALU_DEP_2)
	v_rcp_f64_e32 v[34:35], v[6:7]
	v_rcp_f64_e32 v[36:37], v[8:9]
	s_waitcnt_depctr 0xfff
	v_fma_f64 v[66:67], -v[6:7], v[34:35], 1.0
	v_fma_f64 v[68:69], -v[8:9], v[36:37], 1.0
	s_delay_alu instid0(VALU_DEP_2) | instskip(NEXT) | instid1(VALU_DEP_2)
	v_fma_f64 v[34:35], v[34:35], v[66:67], v[34:35]
	v_fma_f64 v[36:37], v[36:37], v[68:69], v[36:37]
	s_delay_alu instid0(VALU_DEP_2) | instskip(NEXT) | instid1(VALU_DEP_2)
	v_fma_f64 v[66:67], -v[6:7], v[34:35], 1.0
	v_fma_f64 v[68:69], -v[8:9], v[36:37], 1.0
	s_delay_alu instid0(VALU_DEP_2) | instskip(SKIP_1) | instid1(VALU_DEP_3)
	v_fma_f64 v[34:35], v[34:35], v[66:67], v[34:35]
	v_div_scale_f64 v[66:67], s4, v[32:33], v[40:41], v[32:33]
	v_fma_f64 v[36:37], v[36:37], v[68:69], v[36:37]
	s_delay_alu instid0(VALU_DEP_3) | instskip(NEXT) | instid1(VALU_DEP_2)
	v_mul_f64 v[68:69], v[70:71], v[34:35]
	v_mul_f64 v[72:73], v[66:67], v[36:37]
	s_delay_alu instid0(VALU_DEP_2) | instskip(NEXT) | instid1(VALU_DEP_2)
	v_fma_f64 v[6:7], -v[6:7], v[68:69], v[70:71]
	v_fma_f64 v[8:9], -v[8:9], v[72:73], v[66:67]
	s_delay_alu instid0(VALU_DEP_2) | instskip(SKIP_1) | instid1(VALU_DEP_2)
	v_div_fmas_f64 v[6:7], v[6:7], v[34:35], v[68:69]
	s_mov_b32 vcc_lo, s4
	v_div_fmas_f64 v[8:9], v[8:9], v[36:37], v[72:73]
	s_delay_alu instid0(VALU_DEP_2) | instskip(NEXT) | instid1(VALU_DEP_2)
	v_div_fixup_f64 v[6:7], v[6:7], v[38:39], v[30:31]
	v_div_fixup_f64 v[8:9], v[8:9], v[40:41], v[32:33]
.LBB91_54:                              ;   in Loop: Header=BB91_41 Depth=1
	s_or_b32 exec_lo, exec_lo, s20
                                        ; implicit-def: $vgpr36_vgpr37
                                        ; implicit-def: $vgpr34_vgpr35
                                        ; implicit-def: $vgpr30_vgpr31
.LBB91_55:                              ;   in Loop: Header=BB91_41 Depth=1
	s_and_not1_saveexec_b32 s4, s15
	s_cbranch_execz .LBB91_57
; %bb.56:                               ;   in Loop: Header=BB91_41 Depth=1
	v_div_scale_f64 v[6:7], null, v[36:37], v[36:37], v[34:35]
	v_div_scale_f64 v[40:41], vcc_lo, v[34:35], v[36:37], v[34:35]
	s_delay_alu instid0(VALU_DEP_2) | instskip(SKIP_2) | instid1(VALU_DEP_1)
	v_rcp_f64_e32 v[8:9], v[6:7]
	s_waitcnt_depctr 0xfff
	v_fma_f64 v[38:39], -v[6:7], v[8:9], 1.0
	v_fma_f64 v[8:9], v[8:9], v[38:39], v[8:9]
	s_delay_alu instid0(VALU_DEP_1) | instskip(NEXT) | instid1(VALU_DEP_1)
	v_fma_f64 v[38:39], -v[6:7], v[8:9], 1.0
	v_fma_f64 v[8:9], v[8:9], v[38:39], v[8:9]
	s_delay_alu instid0(VALU_DEP_1) | instskip(NEXT) | instid1(VALU_DEP_1)
	v_mul_f64 v[38:39], v[40:41], v[8:9]
	v_fma_f64 v[6:7], -v[6:7], v[38:39], v[40:41]
	s_delay_alu instid0(VALU_DEP_1) | instskip(NEXT) | instid1(VALU_DEP_1)
	v_div_fmas_f64 v[6:7], v[6:7], v[8:9], v[38:39]
	v_div_fixup_f64 v[6:7], v[6:7], v[36:37], v[34:35]
	s_delay_alu instid0(VALU_DEP_1) | instskip(NEXT) | instid1(VALU_DEP_1)
	v_fma_f64 v[8:9], v[34:35], v[6:7], v[36:37]
	v_div_scale_f64 v[34:35], null, v[8:9], v[8:9], 1.0
	v_div_scale_f64 v[40:41], vcc_lo, 1.0, v[8:9], 1.0
	s_delay_alu instid0(VALU_DEP_2) | instskip(SKIP_2) | instid1(VALU_DEP_1)
	v_rcp_f64_e32 v[36:37], v[34:35]
	s_waitcnt_depctr 0xfff
	v_fma_f64 v[38:39], -v[34:35], v[36:37], 1.0
	v_fma_f64 v[36:37], v[36:37], v[38:39], v[36:37]
	s_delay_alu instid0(VALU_DEP_1) | instskip(NEXT) | instid1(VALU_DEP_1)
	v_fma_f64 v[38:39], -v[34:35], v[36:37], 1.0
	v_fma_f64 v[36:37], v[36:37], v[38:39], v[36:37]
	s_delay_alu instid0(VALU_DEP_1) | instskip(NEXT) | instid1(VALU_DEP_1)
	v_mul_f64 v[38:39], v[40:41], v[36:37]
	v_fma_f64 v[34:35], -v[34:35], v[38:39], v[40:41]
	s_delay_alu instid0(VALU_DEP_1) | instskip(SKIP_2) | instid1(VALU_DEP_3)
	v_div_fmas_f64 v[34:35], v[34:35], v[36:37], v[38:39]
	v_fma_f64 v[36:37], v[30:31], v[6:7], v[32:33]
	v_fma_f64 v[30:31], v[32:33], v[6:7], -v[30:31]
	v_div_fixup_f64 v[8:9], v[34:35], v[8:9], 1.0
	s_delay_alu instid0(VALU_DEP_1) | instskip(NEXT) | instid1(VALU_DEP_3)
	v_mul_f64 v[6:7], v[36:37], v[8:9]
	v_mul_f64 v[8:9], v[30:31], v[8:9]
.LBB91_57:                              ;   in Loop: Header=BB91_41 Depth=1
	s_or_b32 exec_lo, exec_lo, s4
	v_mul_f64 v[30:31], s[10:11], v[24:25]
	v_mul_f64 v[32:33], s[10:11], v[22:23]
	s_delay_alu instid0(VALU_DEP_2) | instskip(NEXT) | instid1(VALU_DEP_2)
	v_fma_f64 v[30:31], s[8:9], v[22:23], -v[30:31]
	v_fma_f64 v[32:33], s[8:9], v[24:25], v[32:33]
                                        ; implicit-def: $vgpr24_vgpr25
	s_delay_alu instid0(VALU_DEP_2) | instskip(NEXT) | instid1(VALU_DEP_2)
	v_cmp_gt_f64_e32 vcc_lo, 0, v[30:31]
	v_cmp_gt_f64_e64 s4, 0, v[32:33]
	v_xor_b32_e32 v22, 0x80000000, v31
	v_xor_b32_e32 v23, 0x80000000, v33
	s_delay_alu instid0(VALU_DEP_2) | instskip(NEXT) | instid1(VALU_DEP_2)
	v_cndmask_b32_e32 v35, v31, v22, vcc_lo
	v_cndmask_b32_e64 v37, v33, v23, s4
	v_cndmask_b32_e32 v34, v30, v30, vcc_lo
	v_cndmask_b32_e64 v36, v32, v32, s4
	s_mov_b32 s4, exec_lo
	s_delay_alu instid0(VALU_DEP_1)
	v_cmpx_ge_f64_e32 v[34:35], v[36:37]
	s_xor_b32 s15, exec_lo, s4
	s_cbranch_execz .LBB91_63
; %bb.58:                               ;   in Loop: Header=BB91_41 Depth=1
	v_cmp_neq_f64_e32 vcc_lo, 0, v[30:31]
	v_cmp_neq_f64_e64 s4, 0, v[32:33]
                                        ; implicit-def: $vgpr24_vgpr25
	s_delay_alu instid0(VALU_DEP_1) | instskip(NEXT) | instid1(SALU_CYCLE_1)
	s_or_b32 s4, vcc_lo, s4
	s_and_saveexec_b32 s20, s4
	s_delay_alu instid0(SALU_CYCLE_1)
	s_xor_b32 s4, exec_lo, s20
	s_cbranch_execz .LBB91_60
; %bb.59:                               ;   in Loop: Header=BB91_41 Depth=1
	v_div_scale_f64 v[22:23], null, v[30:31], v[30:31], v[32:33]
	v_div_scale_f64 v[36:37], vcc_lo, v[32:33], v[30:31], v[32:33]
	s_delay_alu instid0(VALU_DEP_2) | instskip(SKIP_2) | instid1(VALU_DEP_1)
	v_rcp_f64_e32 v[24:25], v[22:23]
	s_waitcnt_depctr 0xfff
	v_fma_f64 v[34:35], -v[22:23], v[24:25], 1.0
	v_fma_f64 v[24:25], v[24:25], v[34:35], v[24:25]
	s_delay_alu instid0(VALU_DEP_1) | instskip(NEXT) | instid1(VALU_DEP_1)
	v_fma_f64 v[34:35], -v[22:23], v[24:25], 1.0
	v_fma_f64 v[24:25], v[24:25], v[34:35], v[24:25]
	s_delay_alu instid0(VALU_DEP_1) | instskip(NEXT) | instid1(VALU_DEP_1)
	v_mul_f64 v[34:35], v[36:37], v[24:25]
	v_fma_f64 v[22:23], -v[22:23], v[34:35], v[36:37]
	s_delay_alu instid0(VALU_DEP_1) | instskip(NEXT) | instid1(VALU_DEP_1)
	v_div_fmas_f64 v[22:23], v[22:23], v[24:25], v[34:35]
	v_div_fixup_f64 v[22:23], v[22:23], v[30:31], v[32:33]
	s_delay_alu instid0(VALU_DEP_1) | instskip(NEXT) | instid1(VALU_DEP_1)
	v_fma_f64 v[24:25], v[32:33], v[22:23], v[30:31]
	v_div_scale_f64 v[30:31], null, v[24:25], v[24:25], 1.0
	v_div_scale_f64 v[36:37], vcc_lo, 1.0, v[24:25], 1.0
	s_delay_alu instid0(VALU_DEP_2) | instskip(SKIP_2) | instid1(VALU_DEP_1)
	v_rcp_f64_e32 v[32:33], v[30:31]
	s_waitcnt_depctr 0xfff
	v_fma_f64 v[34:35], -v[30:31], v[32:33], 1.0
	v_fma_f64 v[32:33], v[32:33], v[34:35], v[32:33]
	s_delay_alu instid0(VALU_DEP_1) | instskip(NEXT) | instid1(VALU_DEP_1)
	v_fma_f64 v[34:35], -v[30:31], v[32:33], 1.0
	v_fma_f64 v[32:33], v[32:33], v[34:35], v[32:33]
	s_delay_alu instid0(VALU_DEP_1) | instskip(NEXT) | instid1(VALU_DEP_1)
	v_mul_f64 v[34:35], v[36:37], v[32:33]
	v_fma_f64 v[30:31], -v[30:31], v[34:35], v[36:37]
                                        ; implicit-def: $vgpr36_vgpr37
	s_delay_alu instid0(VALU_DEP_1) | instskip(SKIP_2) | instid1(VALU_DEP_3)
	v_div_fmas_f64 v[30:31], v[30:31], v[32:33], v[34:35]
	v_fma_f64 v[32:33], v[20:21], v[22:23], v[18:19]
	v_fma_f64 v[18:19], -v[18:19], v[22:23], v[20:21]
                                        ; implicit-def: $vgpr34_vgpr35
	v_div_fixup_f64 v[24:25], v[30:31], v[24:25], 1.0
	s_delay_alu instid0(VALU_DEP_1) | instskip(NEXT) | instid1(VALU_DEP_3)
	v_mul_f64 v[22:23], v[32:33], v[24:25]
	v_mul_f64 v[24:25], v[18:19], v[24:25]
                                        ; implicit-def: $vgpr18_vgpr19
.LBB91_60:                              ;   in Loop: Header=BB91_41 Depth=1
	s_and_not1_saveexec_b32 s20, s4
	s_cbranch_execz .LBB91_62
; %bb.61:                               ;   in Loop: Header=BB91_41 Depth=1
	v_div_scale_f64 v[22:23], null, v[34:35], v[34:35], v[18:19]
	v_div_scale_f64 v[24:25], null, v[36:37], v[36:37], v[20:21]
	v_div_scale_f64 v[66:67], vcc_lo, v[18:19], v[34:35], v[18:19]
	s_delay_alu instid0(VALU_DEP_3) | instskip(NEXT) | instid1(VALU_DEP_2)
	v_rcp_f64_e32 v[30:31], v[22:23]
	v_rcp_f64_e32 v[32:33], v[24:25]
	s_waitcnt_depctr 0xfff
	v_fma_f64 v[38:39], -v[22:23], v[30:31], 1.0
	v_fma_f64 v[40:41], -v[24:25], v[32:33], 1.0
	s_delay_alu instid0(VALU_DEP_2) | instskip(NEXT) | instid1(VALU_DEP_2)
	v_fma_f64 v[30:31], v[30:31], v[38:39], v[30:31]
	v_fma_f64 v[32:33], v[32:33], v[40:41], v[32:33]
	s_delay_alu instid0(VALU_DEP_2) | instskip(NEXT) | instid1(VALU_DEP_2)
	v_fma_f64 v[38:39], -v[22:23], v[30:31], 1.0
	v_fma_f64 v[40:41], -v[24:25], v[32:33], 1.0
	s_delay_alu instid0(VALU_DEP_2) | instskip(SKIP_1) | instid1(VALU_DEP_3)
	v_fma_f64 v[30:31], v[30:31], v[38:39], v[30:31]
	v_div_scale_f64 v[38:39], s4, v[20:21], v[36:37], v[20:21]
	v_fma_f64 v[32:33], v[32:33], v[40:41], v[32:33]
	s_delay_alu instid0(VALU_DEP_3) | instskip(NEXT) | instid1(VALU_DEP_2)
	v_mul_f64 v[40:41], v[66:67], v[30:31]
	v_mul_f64 v[68:69], v[38:39], v[32:33]
	s_delay_alu instid0(VALU_DEP_2) | instskip(NEXT) | instid1(VALU_DEP_2)
	v_fma_f64 v[22:23], -v[22:23], v[40:41], v[66:67]
	v_fma_f64 v[24:25], -v[24:25], v[68:69], v[38:39]
	s_delay_alu instid0(VALU_DEP_2) | instskip(SKIP_1) | instid1(VALU_DEP_2)
	v_div_fmas_f64 v[22:23], v[22:23], v[30:31], v[40:41]
	s_mov_b32 vcc_lo, s4
	v_div_fmas_f64 v[24:25], v[24:25], v[32:33], v[68:69]
	s_delay_alu instid0(VALU_DEP_2) | instskip(NEXT) | instid1(VALU_DEP_2)
	v_div_fixup_f64 v[22:23], v[22:23], v[34:35], v[18:19]
	v_div_fixup_f64 v[24:25], v[24:25], v[36:37], v[20:21]
.LBB91_62:                              ;   in Loop: Header=BB91_41 Depth=1
	s_or_b32 exec_lo, exec_lo, s20
                                        ; implicit-def: $vgpr32_vgpr33
                                        ; implicit-def: $vgpr30_vgpr31
                                        ; implicit-def: $vgpr18_vgpr19
.LBB91_63:                              ;   in Loop: Header=BB91_41 Depth=1
	s_and_not1_saveexec_b32 s4, s15
	s_cbranch_execz .LBB91_65
; %bb.64:                               ;   in Loop: Header=BB91_41 Depth=1
	v_div_scale_f64 v[22:23], null, v[32:33], v[32:33], v[30:31]
	v_div_scale_f64 v[36:37], vcc_lo, v[30:31], v[32:33], v[30:31]
	s_delay_alu instid0(VALU_DEP_2) | instskip(SKIP_2) | instid1(VALU_DEP_1)
	v_rcp_f64_e32 v[24:25], v[22:23]
	s_waitcnt_depctr 0xfff
	v_fma_f64 v[34:35], -v[22:23], v[24:25], 1.0
	v_fma_f64 v[24:25], v[24:25], v[34:35], v[24:25]
	s_delay_alu instid0(VALU_DEP_1) | instskip(NEXT) | instid1(VALU_DEP_1)
	v_fma_f64 v[34:35], -v[22:23], v[24:25], 1.0
	v_fma_f64 v[24:25], v[24:25], v[34:35], v[24:25]
	s_delay_alu instid0(VALU_DEP_1) | instskip(NEXT) | instid1(VALU_DEP_1)
	v_mul_f64 v[34:35], v[36:37], v[24:25]
	v_fma_f64 v[22:23], -v[22:23], v[34:35], v[36:37]
	s_delay_alu instid0(VALU_DEP_1) | instskip(NEXT) | instid1(VALU_DEP_1)
	v_div_fmas_f64 v[22:23], v[22:23], v[24:25], v[34:35]
	v_div_fixup_f64 v[22:23], v[22:23], v[32:33], v[30:31]
	s_delay_alu instid0(VALU_DEP_1) | instskip(NEXT) | instid1(VALU_DEP_1)
	v_fma_f64 v[24:25], v[30:31], v[22:23], v[32:33]
	v_div_scale_f64 v[30:31], null, v[24:25], v[24:25], 1.0
	v_div_scale_f64 v[36:37], vcc_lo, 1.0, v[24:25], 1.0
	s_delay_alu instid0(VALU_DEP_2) | instskip(SKIP_2) | instid1(VALU_DEP_1)
	v_rcp_f64_e32 v[32:33], v[30:31]
	s_waitcnt_depctr 0xfff
	v_fma_f64 v[34:35], -v[30:31], v[32:33], 1.0
	v_fma_f64 v[32:33], v[32:33], v[34:35], v[32:33]
	s_delay_alu instid0(VALU_DEP_1) | instskip(NEXT) | instid1(VALU_DEP_1)
	v_fma_f64 v[34:35], -v[30:31], v[32:33], 1.0
	v_fma_f64 v[32:33], v[32:33], v[34:35], v[32:33]
	s_delay_alu instid0(VALU_DEP_1) | instskip(NEXT) | instid1(VALU_DEP_1)
	v_mul_f64 v[34:35], v[36:37], v[32:33]
	v_fma_f64 v[30:31], -v[30:31], v[34:35], v[36:37]
	s_delay_alu instid0(VALU_DEP_1) | instskip(SKIP_2) | instid1(VALU_DEP_3)
	v_div_fmas_f64 v[30:31], v[30:31], v[32:33], v[34:35]
	v_fma_f64 v[32:33], v[18:19], v[22:23], v[20:21]
	v_fma_f64 v[18:19], v[20:21], v[22:23], -v[18:19]
	v_div_fixup_f64 v[24:25], v[30:31], v[24:25], 1.0
	s_delay_alu instid0(VALU_DEP_1) | instskip(NEXT) | instid1(VALU_DEP_3)
	v_mul_f64 v[22:23], v[32:33], v[24:25]
	v_mul_f64 v[24:25], v[18:19], v[24:25]
.LBB91_65:                              ;   in Loop: Header=BB91_41 Depth=1
	s_or_b32 exec_lo, exec_lo, s4
	v_mul_f64 v[18:19], s[10:11], v[28:29]
	v_mul_f64 v[20:21], s[10:11], v[26:27]
	s_delay_alu instid0(VALU_DEP_2) | instskip(NEXT) | instid1(VALU_DEP_2)
	v_fma_f64 v[26:27], s[8:9], v[26:27], -v[18:19]
	v_fma_f64 v[28:29], s[8:9], v[28:29], v[20:21]
                                        ; implicit-def: $vgpr20_vgpr21
	s_delay_alu instid0(VALU_DEP_2) | instskip(NEXT) | instid1(VALU_DEP_2)
	v_cmp_gt_f64_e32 vcc_lo, 0, v[26:27]
	v_cmp_gt_f64_e64 s4, 0, v[28:29]
	v_xor_b32_e32 v18, 0x80000000, v27
	v_xor_b32_e32 v19, 0x80000000, v29
	s_delay_alu instid0(VALU_DEP_2) | instskip(NEXT) | instid1(VALU_DEP_2)
	v_cndmask_b32_e32 v31, v27, v18, vcc_lo
	v_cndmask_b32_e64 v33, v29, v19, s4
	v_cndmask_b32_e32 v30, v26, v26, vcc_lo
	v_cndmask_b32_e64 v32, v28, v28, s4
	s_mov_b32 s4, exec_lo
	s_delay_alu instid0(VALU_DEP_1)
	v_cmpx_ge_f64_e32 v[30:31], v[32:33]
	s_xor_b32 s15, exec_lo, s4
	s_cbranch_execz .LBB91_71
; %bb.66:                               ;   in Loop: Header=BB91_41 Depth=1
	v_cmp_neq_f64_e32 vcc_lo, 0, v[26:27]
	v_cmp_neq_f64_e64 s4, 0, v[28:29]
                                        ; implicit-def: $vgpr20_vgpr21
	s_delay_alu instid0(VALU_DEP_1) | instskip(NEXT) | instid1(SALU_CYCLE_1)
	s_or_b32 s4, vcc_lo, s4
	s_and_saveexec_b32 s20, s4
	s_delay_alu instid0(SALU_CYCLE_1)
	s_xor_b32 s4, exec_lo, s20
	s_cbranch_execz .LBB91_68
; %bb.67:                               ;   in Loop: Header=BB91_41 Depth=1
	v_div_scale_f64 v[18:19], null, v[26:27], v[26:27], v[28:29]
	v_div_scale_f64 v[32:33], vcc_lo, v[28:29], v[26:27], v[28:29]
	s_delay_alu instid0(VALU_DEP_2) | instskip(SKIP_2) | instid1(VALU_DEP_1)
	v_rcp_f64_e32 v[20:21], v[18:19]
	s_waitcnt_depctr 0xfff
	v_fma_f64 v[30:31], -v[18:19], v[20:21], 1.0
	v_fma_f64 v[20:21], v[20:21], v[30:31], v[20:21]
	s_delay_alu instid0(VALU_DEP_1) | instskip(NEXT) | instid1(VALU_DEP_1)
	v_fma_f64 v[30:31], -v[18:19], v[20:21], 1.0
	v_fma_f64 v[20:21], v[20:21], v[30:31], v[20:21]
	s_delay_alu instid0(VALU_DEP_1) | instskip(NEXT) | instid1(VALU_DEP_1)
	v_mul_f64 v[30:31], v[32:33], v[20:21]
	v_fma_f64 v[18:19], -v[18:19], v[30:31], v[32:33]
	s_delay_alu instid0(VALU_DEP_1) | instskip(NEXT) | instid1(VALU_DEP_1)
	v_div_fmas_f64 v[18:19], v[18:19], v[20:21], v[30:31]
	v_div_fixup_f64 v[18:19], v[18:19], v[26:27], v[28:29]
	s_delay_alu instid0(VALU_DEP_1) | instskip(NEXT) | instid1(VALU_DEP_1)
	v_fma_f64 v[20:21], v[28:29], v[18:19], v[26:27]
	v_div_scale_f64 v[26:27], null, v[20:21], v[20:21], 1.0
	v_div_scale_f64 v[32:33], vcc_lo, 1.0, v[20:21], 1.0
	s_delay_alu instid0(VALU_DEP_2) | instskip(SKIP_2) | instid1(VALU_DEP_1)
	v_rcp_f64_e32 v[28:29], v[26:27]
	s_waitcnt_depctr 0xfff
	v_fma_f64 v[30:31], -v[26:27], v[28:29], 1.0
	v_fma_f64 v[28:29], v[28:29], v[30:31], v[28:29]
	s_delay_alu instid0(VALU_DEP_1) | instskip(NEXT) | instid1(VALU_DEP_1)
	v_fma_f64 v[30:31], -v[26:27], v[28:29], 1.0
	v_fma_f64 v[28:29], v[28:29], v[30:31], v[28:29]
	s_delay_alu instid0(VALU_DEP_1) | instskip(NEXT) | instid1(VALU_DEP_1)
	v_mul_f64 v[30:31], v[32:33], v[28:29]
	v_fma_f64 v[26:27], -v[26:27], v[30:31], v[32:33]
                                        ; implicit-def: $vgpr32_vgpr33
	s_delay_alu instid0(VALU_DEP_1) | instskip(SKIP_2) | instid1(VALU_DEP_3)
	v_div_fmas_f64 v[26:27], v[26:27], v[28:29], v[30:31]
	v_fma_f64 v[28:29], v[16:17], v[18:19], v[14:15]
	v_fma_f64 v[14:15], -v[14:15], v[18:19], v[16:17]
                                        ; implicit-def: $vgpr30_vgpr31
	v_div_fixup_f64 v[20:21], v[26:27], v[20:21], 1.0
	s_delay_alu instid0(VALU_DEP_1) | instskip(NEXT) | instid1(VALU_DEP_3)
	v_mul_f64 v[18:19], v[28:29], v[20:21]
	v_mul_f64 v[20:21], v[14:15], v[20:21]
                                        ; implicit-def: $vgpr14_vgpr15
.LBB91_68:                              ;   in Loop: Header=BB91_41 Depth=1
	s_and_not1_saveexec_b32 s20, s4
	s_cbranch_execz .LBB91_70
; %bb.69:                               ;   in Loop: Header=BB91_41 Depth=1
	v_div_scale_f64 v[18:19], null, v[30:31], v[30:31], v[14:15]
	v_div_scale_f64 v[20:21], null, v[32:33], v[32:33], v[16:17]
	v_div_scale_f64 v[38:39], vcc_lo, v[14:15], v[30:31], v[14:15]
	s_delay_alu instid0(VALU_DEP_3) | instskip(NEXT) | instid1(VALU_DEP_2)
	v_rcp_f64_e32 v[26:27], v[18:19]
	v_rcp_f64_e32 v[28:29], v[20:21]
	s_waitcnt_depctr 0xfff
	v_fma_f64 v[34:35], -v[18:19], v[26:27], 1.0
	v_fma_f64 v[36:37], -v[20:21], v[28:29], 1.0
	s_delay_alu instid0(VALU_DEP_2) | instskip(NEXT) | instid1(VALU_DEP_2)
	v_fma_f64 v[26:27], v[26:27], v[34:35], v[26:27]
	v_fma_f64 v[28:29], v[28:29], v[36:37], v[28:29]
	s_delay_alu instid0(VALU_DEP_2) | instskip(NEXT) | instid1(VALU_DEP_2)
	v_fma_f64 v[34:35], -v[18:19], v[26:27], 1.0
	v_fma_f64 v[36:37], -v[20:21], v[28:29], 1.0
	s_delay_alu instid0(VALU_DEP_2) | instskip(SKIP_1) | instid1(VALU_DEP_3)
	v_fma_f64 v[26:27], v[26:27], v[34:35], v[26:27]
	v_div_scale_f64 v[34:35], s4, v[16:17], v[32:33], v[16:17]
	v_fma_f64 v[28:29], v[28:29], v[36:37], v[28:29]
	s_delay_alu instid0(VALU_DEP_3) | instskip(NEXT) | instid1(VALU_DEP_2)
	v_mul_f64 v[36:37], v[38:39], v[26:27]
	v_mul_f64 v[40:41], v[34:35], v[28:29]
	s_delay_alu instid0(VALU_DEP_2) | instskip(NEXT) | instid1(VALU_DEP_2)
	v_fma_f64 v[18:19], -v[18:19], v[36:37], v[38:39]
	v_fma_f64 v[20:21], -v[20:21], v[40:41], v[34:35]
	s_delay_alu instid0(VALU_DEP_2) | instskip(SKIP_1) | instid1(VALU_DEP_2)
	v_div_fmas_f64 v[18:19], v[18:19], v[26:27], v[36:37]
	s_mov_b32 vcc_lo, s4
	v_div_fmas_f64 v[20:21], v[20:21], v[28:29], v[40:41]
	s_delay_alu instid0(VALU_DEP_2) | instskip(NEXT) | instid1(VALU_DEP_2)
	v_div_fixup_f64 v[18:19], v[18:19], v[30:31], v[14:15]
	v_div_fixup_f64 v[20:21], v[20:21], v[32:33], v[16:17]
.LBB91_70:                              ;   in Loop: Header=BB91_41 Depth=1
	s_or_b32 exec_lo, exec_lo, s20
                                        ; implicit-def: $vgpr28_vgpr29
                                        ; implicit-def: $vgpr26_vgpr27
                                        ; implicit-def: $vgpr14_vgpr15
.LBB91_71:                              ;   in Loop: Header=BB91_41 Depth=1
	s_and_not1_saveexec_b32 s4, s15
	s_cbranch_execz .LBB91_73
; %bb.72:                               ;   in Loop: Header=BB91_41 Depth=1
	v_div_scale_f64 v[18:19], null, v[28:29], v[28:29], v[26:27]
	v_div_scale_f64 v[32:33], vcc_lo, v[26:27], v[28:29], v[26:27]
	s_delay_alu instid0(VALU_DEP_2) | instskip(SKIP_2) | instid1(VALU_DEP_1)
	v_rcp_f64_e32 v[20:21], v[18:19]
	s_waitcnt_depctr 0xfff
	v_fma_f64 v[30:31], -v[18:19], v[20:21], 1.0
	v_fma_f64 v[20:21], v[20:21], v[30:31], v[20:21]
	s_delay_alu instid0(VALU_DEP_1) | instskip(NEXT) | instid1(VALU_DEP_1)
	v_fma_f64 v[30:31], -v[18:19], v[20:21], 1.0
	v_fma_f64 v[20:21], v[20:21], v[30:31], v[20:21]
	s_delay_alu instid0(VALU_DEP_1) | instskip(NEXT) | instid1(VALU_DEP_1)
	v_mul_f64 v[30:31], v[32:33], v[20:21]
	v_fma_f64 v[18:19], -v[18:19], v[30:31], v[32:33]
	s_delay_alu instid0(VALU_DEP_1) | instskip(NEXT) | instid1(VALU_DEP_1)
	v_div_fmas_f64 v[18:19], v[18:19], v[20:21], v[30:31]
	v_div_fixup_f64 v[18:19], v[18:19], v[28:29], v[26:27]
	s_delay_alu instid0(VALU_DEP_1) | instskip(NEXT) | instid1(VALU_DEP_1)
	v_fma_f64 v[20:21], v[26:27], v[18:19], v[28:29]
	v_div_scale_f64 v[26:27], null, v[20:21], v[20:21], 1.0
	v_div_scale_f64 v[32:33], vcc_lo, 1.0, v[20:21], 1.0
	s_delay_alu instid0(VALU_DEP_2) | instskip(SKIP_2) | instid1(VALU_DEP_1)
	v_rcp_f64_e32 v[28:29], v[26:27]
	s_waitcnt_depctr 0xfff
	v_fma_f64 v[30:31], -v[26:27], v[28:29], 1.0
	v_fma_f64 v[28:29], v[28:29], v[30:31], v[28:29]
	s_delay_alu instid0(VALU_DEP_1) | instskip(NEXT) | instid1(VALU_DEP_1)
	v_fma_f64 v[30:31], -v[26:27], v[28:29], 1.0
	v_fma_f64 v[28:29], v[28:29], v[30:31], v[28:29]
	s_delay_alu instid0(VALU_DEP_1) | instskip(NEXT) | instid1(VALU_DEP_1)
	v_mul_f64 v[30:31], v[32:33], v[28:29]
	v_fma_f64 v[26:27], -v[26:27], v[30:31], v[32:33]
	s_delay_alu instid0(VALU_DEP_1) | instskip(SKIP_2) | instid1(VALU_DEP_3)
	v_div_fmas_f64 v[26:27], v[26:27], v[28:29], v[30:31]
	v_fma_f64 v[28:29], v[14:15], v[18:19], v[16:17]
	v_fma_f64 v[14:15], v[16:17], v[18:19], -v[14:15]
	v_div_fixup_f64 v[20:21], v[26:27], v[20:21], 1.0
	s_delay_alu instid0(VALU_DEP_1) | instskip(NEXT) | instid1(VALU_DEP_3)
	v_mul_f64 v[18:19], v[28:29], v[20:21]
	v_mul_f64 v[20:21], v[14:15], v[20:21]
.LBB91_73:                              ;   in Loop: Header=BB91_41 Depth=1
	s_or_b32 exec_lo, exec_lo, s4
	v_mul_f64 v[14:15], s[10:11], v[12:13]
	v_mul_f64 v[16:17], s[10:11], v[10:11]
	s_delay_alu instid0(VALU_DEP_2) | instskip(NEXT) | instid1(VALU_DEP_2)
	v_fma_f64 v[14:15], s[8:9], v[10:11], -v[14:15]
	v_fma_f64 v[16:17], s[8:9], v[12:13], v[16:17]
                                        ; implicit-def: $vgpr12_vgpr13
	s_delay_alu instid0(VALU_DEP_2) | instskip(NEXT) | instid1(VALU_DEP_2)
	v_cmp_gt_f64_e32 vcc_lo, 0, v[14:15]
	v_cmp_gt_f64_e64 s4, 0, v[16:17]
	v_xor_b32_e32 v10, 0x80000000, v15
	v_xor_b32_e32 v11, 0x80000000, v17
	s_delay_alu instid0(VALU_DEP_2) | instskip(NEXT) | instid1(VALU_DEP_2)
	v_cndmask_b32_e32 v27, v15, v10, vcc_lo
	v_cndmask_b32_e64 v29, v17, v11, s4
	v_cndmask_b32_e32 v26, v14, v14, vcc_lo
	v_cndmask_b32_e64 v28, v16, v16, s4
	s_mov_b32 s4, exec_lo
	s_delay_alu instid0(VALU_DEP_1)
	v_cmpx_ge_f64_e32 v[26:27], v[28:29]
	s_xor_b32 s15, exec_lo, s4
	s_cbranch_execnz .LBB91_79
; %bb.74:                               ;   in Loop: Header=BB91_41 Depth=1
	s_and_not1_saveexec_b32 s4, s15
	s_cbranch_execnz .LBB91_84
.LBB91_75:                              ;   in Loop: Header=BB91_41 Depth=1
	s_or_b32 exec_lo, exec_lo, s4
	s_and_saveexec_b32 s4, s0
	s_delay_alu instid0(SALU_CYCLE_1)
	s_xor_b32 s0, exec_lo, s4
	s_cbranch_execnz .LBB91_85
.LBB91_76:                              ;   in Loop: Header=BB91_41 Depth=1
	s_or_b32 exec_lo, exec_lo, s0
	s_and_saveexec_b32 s0, s1
	s_cbranch_execnz .LBB91_86
.LBB91_77:                              ;   in Loop: Header=BB91_41 Depth=1
	s_or_b32 exec_lo, exec_lo, s0
	s_and_saveexec_b32 s0, s2
	s_cbranch_execnz .LBB91_87
.LBB91_78:                              ;   in Loop: Header=BB91_41 Depth=1
	s_or_b32 exec_lo, exec_lo, s0
	s_and_saveexec_b32 s0, s3
	s_cbranch_execz .LBB91_40
	s_branch .LBB91_88
.LBB91_79:                              ;   in Loop: Header=BB91_41 Depth=1
	v_cmp_neq_f64_e32 vcc_lo, 0, v[14:15]
	v_cmp_neq_f64_e64 s4, 0, v[16:17]
                                        ; implicit-def: $vgpr12_vgpr13
	s_delay_alu instid0(VALU_DEP_1) | instskip(NEXT) | instid1(SALU_CYCLE_1)
	s_or_b32 s4, vcc_lo, s4
	s_and_saveexec_b32 s20, s4
	s_delay_alu instid0(SALU_CYCLE_1)
	s_xor_b32 s4, exec_lo, s20
	s_cbranch_execz .LBB91_81
; %bb.80:                               ;   in Loop: Header=BB91_41 Depth=1
	v_div_scale_f64 v[10:11], null, v[14:15], v[14:15], v[16:17]
	v_div_scale_f64 v[28:29], vcc_lo, v[16:17], v[14:15], v[16:17]
	s_delay_alu instid0(VALU_DEP_2) | instskip(SKIP_2) | instid1(VALU_DEP_1)
	v_rcp_f64_e32 v[12:13], v[10:11]
	s_waitcnt_depctr 0xfff
	v_fma_f64 v[26:27], -v[10:11], v[12:13], 1.0
	v_fma_f64 v[12:13], v[12:13], v[26:27], v[12:13]
	s_delay_alu instid0(VALU_DEP_1) | instskip(NEXT) | instid1(VALU_DEP_1)
	v_fma_f64 v[26:27], -v[10:11], v[12:13], 1.0
	v_fma_f64 v[12:13], v[12:13], v[26:27], v[12:13]
	s_delay_alu instid0(VALU_DEP_1) | instskip(NEXT) | instid1(VALU_DEP_1)
	v_mul_f64 v[26:27], v[28:29], v[12:13]
	v_fma_f64 v[10:11], -v[10:11], v[26:27], v[28:29]
	s_delay_alu instid0(VALU_DEP_1) | instskip(NEXT) | instid1(VALU_DEP_1)
	v_div_fmas_f64 v[10:11], v[10:11], v[12:13], v[26:27]
	v_div_fixup_f64 v[10:11], v[10:11], v[14:15], v[16:17]
	s_delay_alu instid0(VALU_DEP_1) | instskip(NEXT) | instid1(VALU_DEP_1)
	v_fma_f64 v[12:13], v[16:17], v[10:11], v[14:15]
	v_div_scale_f64 v[14:15], null, v[12:13], v[12:13], 1.0
	v_div_scale_f64 v[28:29], vcc_lo, 1.0, v[12:13], 1.0
	s_delay_alu instid0(VALU_DEP_2) | instskip(SKIP_2) | instid1(VALU_DEP_1)
	v_rcp_f64_e32 v[16:17], v[14:15]
	s_waitcnt_depctr 0xfff
	v_fma_f64 v[26:27], -v[14:15], v[16:17], 1.0
	v_fma_f64 v[16:17], v[16:17], v[26:27], v[16:17]
	s_delay_alu instid0(VALU_DEP_1) | instskip(NEXT) | instid1(VALU_DEP_1)
	v_fma_f64 v[26:27], -v[14:15], v[16:17], 1.0
	v_fma_f64 v[16:17], v[16:17], v[26:27], v[16:17]
	s_delay_alu instid0(VALU_DEP_1) | instskip(NEXT) | instid1(VALU_DEP_1)
	v_mul_f64 v[26:27], v[28:29], v[16:17]
	v_fma_f64 v[14:15], -v[14:15], v[26:27], v[28:29]
                                        ; implicit-def: $vgpr28_vgpr29
	s_delay_alu instid0(VALU_DEP_1) | instskip(SKIP_2) | instid1(VALU_DEP_3)
	v_div_fmas_f64 v[14:15], v[14:15], v[16:17], v[26:27]
	v_fma_f64 v[16:17], v[4:5], v[10:11], v[2:3]
	v_fma_f64 v[2:3], -v[2:3], v[10:11], v[4:5]
                                        ; implicit-def: $vgpr26_vgpr27
	v_div_fixup_f64 v[12:13], v[14:15], v[12:13], 1.0
	s_delay_alu instid0(VALU_DEP_1) | instskip(NEXT) | instid1(VALU_DEP_3)
	v_mul_f64 v[10:11], v[16:17], v[12:13]
	v_mul_f64 v[12:13], v[2:3], v[12:13]
                                        ; implicit-def: $vgpr2_vgpr3
.LBB91_81:                              ;   in Loop: Header=BB91_41 Depth=1
	s_and_not1_saveexec_b32 s20, s4
	s_cbranch_execz .LBB91_83
; %bb.82:                               ;   in Loop: Header=BB91_41 Depth=1
	v_div_scale_f64 v[10:11], null, v[26:27], v[26:27], v[2:3]
	v_div_scale_f64 v[12:13], null, v[28:29], v[28:29], v[4:5]
	v_div_scale_f64 v[34:35], vcc_lo, v[2:3], v[26:27], v[2:3]
	s_delay_alu instid0(VALU_DEP_3) | instskip(NEXT) | instid1(VALU_DEP_2)
	v_rcp_f64_e32 v[14:15], v[10:11]
	v_rcp_f64_e32 v[16:17], v[12:13]
	s_waitcnt_depctr 0xfff
	v_fma_f64 v[30:31], -v[10:11], v[14:15], 1.0
	v_fma_f64 v[32:33], -v[12:13], v[16:17], 1.0
	s_delay_alu instid0(VALU_DEP_2) | instskip(NEXT) | instid1(VALU_DEP_2)
	v_fma_f64 v[14:15], v[14:15], v[30:31], v[14:15]
	v_fma_f64 v[16:17], v[16:17], v[32:33], v[16:17]
	s_delay_alu instid0(VALU_DEP_2) | instskip(NEXT) | instid1(VALU_DEP_2)
	v_fma_f64 v[30:31], -v[10:11], v[14:15], 1.0
	v_fma_f64 v[32:33], -v[12:13], v[16:17], 1.0
	s_delay_alu instid0(VALU_DEP_2) | instskip(SKIP_1) | instid1(VALU_DEP_3)
	v_fma_f64 v[14:15], v[14:15], v[30:31], v[14:15]
	v_div_scale_f64 v[30:31], s4, v[4:5], v[28:29], v[4:5]
	v_fma_f64 v[16:17], v[16:17], v[32:33], v[16:17]
	s_delay_alu instid0(VALU_DEP_3) | instskip(NEXT) | instid1(VALU_DEP_2)
	v_mul_f64 v[32:33], v[34:35], v[14:15]
	v_mul_f64 v[36:37], v[30:31], v[16:17]
	s_delay_alu instid0(VALU_DEP_2) | instskip(NEXT) | instid1(VALU_DEP_2)
	v_fma_f64 v[10:11], -v[10:11], v[32:33], v[34:35]
	v_fma_f64 v[12:13], -v[12:13], v[36:37], v[30:31]
	s_delay_alu instid0(VALU_DEP_2) | instskip(SKIP_1) | instid1(VALU_DEP_2)
	v_div_fmas_f64 v[10:11], v[10:11], v[14:15], v[32:33]
	s_mov_b32 vcc_lo, s4
	v_div_fmas_f64 v[12:13], v[12:13], v[16:17], v[36:37]
	s_delay_alu instid0(VALU_DEP_2) | instskip(NEXT) | instid1(VALU_DEP_2)
	v_div_fixup_f64 v[10:11], v[10:11], v[26:27], v[2:3]
	v_div_fixup_f64 v[12:13], v[12:13], v[28:29], v[4:5]
.LBB91_83:                              ;   in Loop: Header=BB91_41 Depth=1
	s_or_b32 exec_lo, exec_lo, s20
                                        ; implicit-def: $vgpr16_vgpr17
                                        ; implicit-def: $vgpr14_vgpr15
                                        ; implicit-def: $vgpr2_vgpr3
	s_and_not1_saveexec_b32 s4, s15
	s_cbranch_execz .LBB91_75
.LBB91_84:                              ;   in Loop: Header=BB91_41 Depth=1
	v_div_scale_f64 v[10:11], null, v[16:17], v[16:17], v[14:15]
	v_div_scale_f64 v[28:29], vcc_lo, v[14:15], v[16:17], v[14:15]
	s_delay_alu instid0(VALU_DEP_2) | instskip(SKIP_2) | instid1(VALU_DEP_1)
	v_rcp_f64_e32 v[12:13], v[10:11]
	s_waitcnt_depctr 0xfff
	v_fma_f64 v[26:27], -v[10:11], v[12:13], 1.0
	v_fma_f64 v[12:13], v[12:13], v[26:27], v[12:13]
	s_delay_alu instid0(VALU_DEP_1) | instskip(NEXT) | instid1(VALU_DEP_1)
	v_fma_f64 v[26:27], -v[10:11], v[12:13], 1.0
	v_fma_f64 v[12:13], v[12:13], v[26:27], v[12:13]
	s_delay_alu instid0(VALU_DEP_1) | instskip(NEXT) | instid1(VALU_DEP_1)
	v_mul_f64 v[26:27], v[28:29], v[12:13]
	v_fma_f64 v[10:11], -v[10:11], v[26:27], v[28:29]
	s_delay_alu instid0(VALU_DEP_1) | instskip(NEXT) | instid1(VALU_DEP_1)
	v_div_fmas_f64 v[10:11], v[10:11], v[12:13], v[26:27]
	v_div_fixup_f64 v[10:11], v[10:11], v[16:17], v[14:15]
	s_delay_alu instid0(VALU_DEP_1) | instskip(NEXT) | instid1(VALU_DEP_1)
	v_fma_f64 v[12:13], v[14:15], v[10:11], v[16:17]
	v_div_scale_f64 v[14:15], null, v[12:13], v[12:13], 1.0
	v_div_scale_f64 v[28:29], vcc_lo, 1.0, v[12:13], 1.0
	s_delay_alu instid0(VALU_DEP_2) | instskip(SKIP_2) | instid1(VALU_DEP_1)
	v_rcp_f64_e32 v[16:17], v[14:15]
	s_waitcnt_depctr 0xfff
	v_fma_f64 v[26:27], -v[14:15], v[16:17], 1.0
	v_fma_f64 v[16:17], v[16:17], v[26:27], v[16:17]
	s_delay_alu instid0(VALU_DEP_1) | instskip(NEXT) | instid1(VALU_DEP_1)
	v_fma_f64 v[26:27], -v[14:15], v[16:17], 1.0
	v_fma_f64 v[16:17], v[16:17], v[26:27], v[16:17]
	s_delay_alu instid0(VALU_DEP_1) | instskip(NEXT) | instid1(VALU_DEP_1)
	v_mul_f64 v[26:27], v[28:29], v[16:17]
	v_fma_f64 v[14:15], -v[14:15], v[26:27], v[28:29]
	s_delay_alu instid0(VALU_DEP_1) | instskip(SKIP_2) | instid1(VALU_DEP_3)
	v_div_fmas_f64 v[14:15], v[14:15], v[16:17], v[26:27]
	v_fma_f64 v[16:17], v[2:3], v[10:11], v[4:5]
	v_fma_f64 v[2:3], v[4:5], v[10:11], -v[2:3]
	v_div_fixup_f64 v[12:13], v[14:15], v[12:13], 1.0
	s_delay_alu instid0(VALU_DEP_1) | instskip(NEXT) | instid1(VALU_DEP_3)
	v_mul_f64 v[10:11], v[16:17], v[12:13]
	v_mul_f64 v[12:13], v[2:3], v[12:13]
	s_or_b32 exec_lo, exec_lo, s4
	s_and_saveexec_b32 s4, s0
	s_delay_alu instid0(SALU_CYCLE_1)
	s_xor_b32 s0, exec_lo, s4
	s_cbranch_execz .LBB91_76
.LBB91_85:                              ;   in Loop: Header=BB91_41 Depth=1
	v_add_co_u32 v2, vcc_lo, v48, s6
	v_add_co_ci_u32_e32 v3, vcc_lo, s7, v49, vcc_lo
	global_store_b128 v[2:3], v[6:9], off offset:-8
	s_or_b32 exec_lo, exec_lo, s0
	s_and_saveexec_b32 s0, s1
	s_cbranch_execz .LBB91_77
.LBB91_86:                              ;   in Loop: Header=BB91_41 Depth=1
	v_add_co_u32 v2, vcc_lo, v46, s6
	v_add_co_ci_u32_e32 v3, vcc_lo, s7, v47, vcc_lo
	global_store_b128 v[2:3], v[22:25], off
	s_or_b32 exec_lo, exec_lo, s0
	s_and_saveexec_b32 s0, s2
	s_cbranch_execz .LBB91_78
.LBB91_87:                              ;   in Loop: Header=BB91_41 Depth=1
	v_add_co_u32 v2, vcc_lo, v60, s6
	v_add_co_ci_u32_e32 v3, vcc_lo, s7, v61, vcc_lo
	global_store_b128 v[2:3], v[18:21], off
	s_or_b32 exec_lo, exec_lo, s0
	s_and_saveexec_b32 s0, s3
	s_cbranch_execz .LBB91_40
.LBB91_88:                              ;   in Loop: Header=BB91_41 Depth=1
	v_add_co_u32 v2, vcc_lo, v58, s6
	v_add_co_ci_u32_e32 v3, vcc_lo, s7, v59, vcc_lo
	global_store_b128 v[2:3], v[10:13], off offset:-8
	s_branch .LBB91_40
.LBB91_89:
	s_nop 0
	s_sendmsg sendmsg(MSG_DEALLOC_VGPRS)
	s_endpgm
	.section	.rodata,"a",@progbits
	.p2align	6, 0x0
	.amdhsa_kernel _ZN2at6native12_GLOBAL__N_125multi_tensor_apply_kernelINS1_18TensorListMetadataILi3EEENS1_24BinaryOpListAlphaFunctorIN3c107complexIdEELi3ELi2ELi2EEEJSt7dividesIS8_ES8_EEEvT_T0_DpT1_
		.amdhsa_group_segment_fixed_size 0
		.amdhsa_private_segment_fixed_size 0
		.amdhsa_kernarg_size 3424
		.amdhsa_user_sgpr_count 15
		.amdhsa_user_sgpr_dispatch_ptr 0
		.amdhsa_user_sgpr_queue_ptr 0
		.amdhsa_user_sgpr_kernarg_segment_ptr 1
		.amdhsa_user_sgpr_dispatch_id 0
		.amdhsa_user_sgpr_private_segment_size 0
		.amdhsa_wavefront_size32 1
		.amdhsa_uses_dynamic_stack 0
		.amdhsa_enable_private_segment 0
		.amdhsa_system_sgpr_workgroup_id_x 1
		.amdhsa_system_sgpr_workgroup_id_y 0
		.amdhsa_system_sgpr_workgroup_id_z 0
		.amdhsa_system_sgpr_workgroup_info 0
		.amdhsa_system_vgpr_workitem_id 0
		.amdhsa_next_free_vgpr 74
		.amdhsa_next_free_sgpr 29
		.amdhsa_reserve_vcc 1
		.amdhsa_float_round_mode_32 0
		.amdhsa_float_round_mode_16_64 0
		.amdhsa_float_denorm_mode_32 3
		.amdhsa_float_denorm_mode_16_64 3
		.amdhsa_dx10_clamp 1
		.amdhsa_ieee_mode 1
		.amdhsa_fp16_overflow 0
		.amdhsa_workgroup_processor_mode 1
		.amdhsa_memory_ordered 1
		.amdhsa_forward_progress 0
		.amdhsa_shared_vgpr_count 0
		.amdhsa_exception_fp_ieee_invalid_op 0
		.amdhsa_exception_fp_denorm_src 0
		.amdhsa_exception_fp_ieee_div_zero 0
		.amdhsa_exception_fp_ieee_overflow 0
		.amdhsa_exception_fp_ieee_underflow 0
		.amdhsa_exception_fp_ieee_inexact 0
		.amdhsa_exception_int_div_zero 0
	.end_amdhsa_kernel
	.section	.text._ZN2at6native12_GLOBAL__N_125multi_tensor_apply_kernelINS1_18TensorListMetadataILi3EEENS1_24BinaryOpListAlphaFunctorIN3c107complexIdEELi3ELi2ELi2EEEJSt7dividesIS8_ES8_EEEvT_T0_DpT1_,"axG",@progbits,_ZN2at6native12_GLOBAL__N_125multi_tensor_apply_kernelINS1_18TensorListMetadataILi3EEENS1_24BinaryOpListAlphaFunctorIN3c107complexIdEELi3ELi2ELi2EEEJSt7dividesIS8_ES8_EEEvT_T0_DpT1_,comdat
.Lfunc_end91:
	.size	_ZN2at6native12_GLOBAL__N_125multi_tensor_apply_kernelINS1_18TensorListMetadataILi3EEENS1_24BinaryOpListAlphaFunctorIN3c107complexIdEELi3ELi2ELi2EEEJSt7dividesIS8_ES8_EEEvT_T0_DpT1_, .Lfunc_end91-_ZN2at6native12_GLOBAL__N_125multi_tensor_apply_kernelINS1_18TensorListMetadataILi3EEENS1_24BinaryOpListAlphaFunctorIN3c107complexIdEELi3ELi2ELi2EEEJSt7dividesIS8_ES8_EEEvT_T0_DpT1_
                                        ; -- End function
	.section	.AMDGPU.csdata,"",@progbits
; Kernel info:
; codeLenInByte = 8952
; NumSgprs: 31
; NumVgprs: 74
; ScratchSize: 0
; MemoryBound: 1
; FloatMode: 240
; IeeeMode: 1
; LDSByteSize: 0 bytes/workgroup (compile time only)
; SGPRBlocks: 3
; VGPRBlocks: 9
; NumSGPRsForWavesPerEU: 31
; NumVGPRsForWavesPerEU: 74
; Occupancy: 16
; WaveLimiterHint : 0
; COMPUTE_PGM_RSRC2:SCRATCH_EN: 0
; COMPUTE_PGM_RSRC2:USER_SGPR: 15
; COMPUTE_PGM_RSRC2:TRAP_HANDLER: 0
; COMPUTE_PGM_RSRC2:TGID_X_EN: 1
; COMPUTE_PGM_RSRC2:TGID_Y_EN: 0
; COMPUTE_PGM_RSRC2:TGID_Z_EN: 0
; COMPUTE_PGM_RSRC2:TIDIG_COMP_CNT: 0
	.section	.text._ZN2at6native12_GLOBAL__N_125multi_tensor_apply_kernelINS1_18TensorListMetadataILi3EEENS1_24BinaryOpListAlphaFunctorIN3c107complexIfEELi3ELi2ELi2EEEJSt7dividesIS8_ES8_EEEvT_T0_DpT1_,"axG",@progbits,_ZN2at6native12_GLOBAL__N_125multi_tensor_apply_kernelINS1_18TensorListMetadataILi3EEENS1_24BinaryOpListAlphaFunctorIN3c107complexIfEELi3ELi2ELi2EEEJSt7dividesIS8_ES8_EEEvT_T0_DpT1_,comdat
	.globl	_ZN2at6native12_GLOBAL__N_125multi_tensor_apply_kernelINS1_18TensorListMetadataILi3EEENS1_24BinaryOpListAlphaFunctorIN3c107complexIfEELi3ELi2ELi2EEEJSt7dividesIS8_ES8_EEEvT_T0_DpT1_ ; -- Begin function _ZN2at6native12_GLOBAL__N_125multi_tensor_apply_kernelINS1_18TensorListMetadataILi3EEENS1_24BinaryOpListAlphaFunctorIN3c107complexIfEELi3ELi2ELi2EEEJSt7dividesIS8_ES8_EEEvT_T0_DpT1_
	.p2align	8
	.type	_ZN2at6native12_GLOBAL__N_125multi_tensor_apply_kernelINS1_18TensorListMetadataILi3EEENS1_24BinaryOpListAlphaFunctorIN3c107complexIfEELi3ELi2ELi2EEEJSt7dividesIS8_ES8_EEEvT_T0_DpT1_,@function
_ZN2at6native12_GLOBAL__N_125multi_tensor_apply_kernelINS1_18TensorListMetadataILi3EEENS1_24BinaryOpListAlphaFunctorIN3c107complexIfEELi3ELi2ELi2EEEJSt7dividesIS8_ES8_EEEvT_T0_DpT1_: ; @_ZN2at6native12_GLOBAL__N_125multi_tensor_apply_kernelINS1_18TensorListMetadataILi3EEENS1_24BinaryOpListAlphaFunctorIN3c107complexIfEELi3ELi2ELi2EEEJSt7dividesIS8_ES8_EEEvT_T0_DpT1_
; %bb.0:
	v_mov_b32_e32 v1, s15
	s_add_u32 s2, s0, s15
	s_mul_hi_u32 s3, s15, 3
	s_mul_i32 s15, s15, 3
	s_addc_u32 s4, s1, 0
	global_load_u8 v1, v1, s[0:1] offset:1536
	s_add_u32 s2, s2, s15
	s_addc_u32 s3, s4, s3
	s_mov_b32 s23, 0
	s_load_b32 s8, s[2:3], 0x740
	s_mov_b32 s25, s23
	s_waitcnt lgkmcnt(0)
	s_ashr_i32 s9, s8, 31
	s_delay_alu instid0(SALU_CYCLE_1) | instskip(SKIP_2) | instid1(VALU_DEP_1)
	s_lshl_b64 s[6:7], s[8:9], 19
	s_waitcnt vmcnt(0)
	v_readfirstlane_b32 s2, v1
	s_lshl_b32 s2, s2, 3
	s_clause 0x3
	s_load_b64 s[4:5], s[0:1], s2 offset:0x0
	s_load_b64 s[16:17], s[0:1], s2 offset:0x180
	;; [unrolled: 1-line block ×4, first 2 shown]
	s_waitcnt lgkmcnt(0)
	s_add_u32 s3, s4, s6
	s_addc_u32 s12, s5, s7
	s_add_u32 s13, s16, s6
	s_addc_u32 s14, s17, s7
	;; [unrolled: 2-line block ×3, first 2 shown]
	s_or_b32 s2, s15, s13
	s_lshl_b64 s[8:9], s[8:9], 16
	s_and_b32 s2, s2, 31
	s_and_b32 s22, s3, 31
	s_cmp_lg_u32 s2, 0
	s_cselect_b32 s2, -1, 0
	s_sub_u32 s8, s10, s8
	s_subb_u32 s9, s11, s9
	s_and_b32 s24, s10, 3
	s_load_b64 s[10:11], s[0:1], 0xc50
	s_or_b64 s[22:23], s[22:23], s[24:25]
	s_delay_alu instid0(SALU_CYCLE_1) | instskip(SKIP_1) | instid1(SALU_CYCLE_1)
	s_cmp_lg_u64 s[22:23], 0
	s_cselect_b32 s21, -1, 0
	s_or_b32 s2, s2, s21
	s_delay_alu instid0(SALU_CYCLE_1)
	s_and_not1_b32 vcc_lo, exec_lo, s2
	s_mov_b32 s2, -1
	s_cbranch_vccz .LBB92_37
; %bb.1:
	v_dual_mov_b32 v18, 0 :: v_dual_lshlrev_b32 v17, 2, v0
	s_mov_b32 s21, exec_lo
	s_delay_alu instid0(VALU_DEP_1)
	v_cmpx_gt_i64_e64 s[8:9], v[17:18]
	s_cbranch_execz .LBB92_36
; %bb.2:
	s_load_b32 s2, s[0:1], 0xc64
	v_lshlrev_b32_e32 v19, 5, v0
	s_mov_b32 s22, 0
	s_waitcnt lgkmcnt(0)
	s_and_b32 s2, s2, 0xffff
	s_delay_alu instid0(SALU_CYCLE_1)
	v_add_lshl_u32 v17, v0, s2, 2
	s_lshl_b32 s23, s2, 2
	s_lshl_b32 s24, s2, 5
	s_branch .LBB92_4
.LBB92_3:                               ;   in Loop: Header=BB92_4 Depth=1
	s_or_b32 exec_lo, exec_lo, s2
	v_cmp_le_i64_e32 vcc_lo, s[8:9], v[17:18]
	v_cmp_lt_u64_e64 s2, 0xffff, v[17:18]
	v_add_co_u32 v1, s25, s15, v19
	s_delay_alu instid0(VALU_DEP_1)
	v_add_co_ci_u32_e64 v2, null, s20, 0, s25
	s_clause 0x1
	global_store_b128 v[1:2], v[5:8], off
	global_store_b128 v[1:2], v[9:12], off offset:16
	s_or_b32 s2, vcc_lo, s2
	s_add_u32 s3, s3, s24
	s_addc_u32 s12, s12, 0
	s_add_u32 s15, s15, s24
	v_add_co_u32 v17, vcc_lo, v17, s23
	s_addc_u32 s20, s20, 0
	s_add_u32 s13, s13, s24
	v_add_co_ci_u32_e32 v18, vcc_lo, 0, v18, vcc_lo
	s_addc_u32 s14, s14, 0
	s_and_b32 s2, exec_lo, s2
	s_delay_alu instid0(SALU_CYCLE_1) | instskip(NEXT) | instid1(SALU_CYCLE_1)
	s_or_b32 s22, s2, s22
	s_and_not1_b32 exec_lo, exec_lo, s22
	s_cbranch_execz .LBB92_36
.LBB92_4:                               ; =>This Inner Loop Header: Depth=1
	v_add_co_u32 v1, s2, s13, v19
	s_delay_alu instid0(VALU_DEP_1) | instskip(SKIP_1) | instid1(VALU_DEP_1)
	v_add_co_ci_u32_e64 v2, null, s14, 0, s2
	v_add_co_u32 v13, s2, s3, v19
	v_add_co_ci_u32_e64 v14, null, s12, 0, s2
	s_clause 0x1
	global_load_b128 v[5:8], v[1:2], off
	global_load_b128 v[9:12], v[1:2], off offset:16
	s_clause 0x1
	global_load_b128 v[1:4], v[13:14], off offset:16
	global_load_b128 v[13:16], v[13:14], off
	s_mov_b32 s2, exec_lo
	s_waitcnt vmcnt(3)
	v_mul_f32_e32 v20, s10, v6
	v_mul_f32_e32 v21, s11, v6
                                        ; implicit-def: $vgpr6
	s_delay_alu instid0(VALU_DEP_2) | instskip(NEXT) | instid1(VALU_DEP_2)
	v_fmac_f32_e32 v20, s11, v5
	v_fma_f32 v21, v5, s10, -v21
	s_delay_alu instid0(VALU_DEP_1) | instskip(SKIP_1) | instid1(VALU_DEP_4)
	v_cmp_gt_f32_e32 vcc_lo, 0, v21
	v_cndmask_b32_e64 v22, v21, -v21, vcc_lo
	v_cmp_gt_f32_e32 vcc_lo, 0, v20
	v_cndmask_b32_e64 v23, v20, -v20, vcc_lo
	s_delay_alu instid0(VALU_DEP_1)
	v_cmpx_ge_f32_e32 v22, v23
	s_xor_b32 s25, exec_lo, s2
	s_cbranch_execz .LBB92_10
; %bb.5:                                ;   in Loop: Header=BB92_4 Depth=1
	v_cmp_neq_f32_e32 vcc_lo, 0, v21
	v_cmp_neq_f32_e64 s2, 0, v20
                                        ; implicit-def: $vgpr6
	s_delay_alu instid0(VALU_DEP_1) | instskip(NEXT) | instid1(SALU_CYCLE_1)
	s_or_b32 s2, vcc_lo, s2
	s_and_saveexec_b32 s26, s2
	s_delay_alu instid0(SALU_CYCLE_1)
	s_xor_b32 s2, exec_lo, s26
	s_cbranch_execz .LBB92_7
; %bb.6:                                ;   in Loop: Header=BB92_4 Depth=1
	v_div_scale_f32 v5, null, v21, v21, v20
	v_div_scale_f32 v23, vcc_lo, v20, v21, v20
	s_delay_alu instid0(VALU_DEP_2) | instskip(SKIP_2) | instid1(VALU_DEP_1)
	v_rcp_f32_e32 v6, v5
	s_waitcnt_depctr 0xfff
	v_fma_f32 v22, -v5, v6, 1.0
	v_fmac_f32_e32 v6, v22, v6
	s_delay_alu instid0(VALU_DEP_1) | instskip(NEXT) | instid1(VALU_DEP_1)
	v_mul_f32_e32 v22, v23, v6
	v_fma_f32 v24, -v5, v22, v23
	s_delay_alu instid0(VALU_DEP_1) | instskip(NEXT) | instid1(VALU_DEP_1)
	v_fmac_f32_e32 v22, v24, v6
	v_fma_f32 v5, -v5, v22, v23
	s_delay_alu instid0(VALU_DEP_1) | instskip(NEXT) | instid1(VALU_DEP_1)
	v_div_fmas_f32 v5, v5, v6, v22
	v_div_fixup_f32 v5, v5, v21, v20
	s_delay_alu instid0(VALU_DEP_1) | instskip(NEXT) | instid1(VALU_DEP_1)
	v_fmac_f32_e32 v21, v20, v5
	v_div_scale_f32 v6, null, v21, v21, 1.0
	v_div_scale_f32 v23, vcc_lo, 1.0, v21, 1.0
	s_delay_alu instid0(VALU_DEP_2) | instskip(SKIP_2) | instid1(VALU_DEP_1)
	v_rcp_f32_e32 v20, v6
	s_waitcnt_depctr 0xfff
	v_fma_f32 v22, -v6, v20, 1.0
	v_fmac_f32_e32 v20, v22, v20
	s_delay_alu instid0(VALU_DEP_1) | instskip(NEXT) | instid1(VALU_DEP_1)
	v_mul_f32_e32 v22, v23, v20
	v_fma_f32 v24, -v6, v22, v23
	s_delay_alu instid0(VALU_DEP_1) | instskip(NEXT) | instid1(VALU_DEP_1)
	v_fmac_f32_e32 v22, v24, v20
	v_fma_f32 v6, -v6, v22, v23
                                        ; implicit-def: $vgpr23
	s_delay_alu instid0(VALU_DEP_1) | instskip(SKIP_2) | instid1(VALU_DEP_2)
	v_div_fmas_f32 v6, v6, v20, v22
	s_waitcnt vmcnt(0)
	v_fma_f32 v20, v14, v5, v13
                                        ; implicit-def: $vgpr22
	v_div_fixup_f32 v6, v6, v21, 1.0
	v_fma_f32 v21, -v13, v5, v14
	s_delay_alu instid0(VALU_DEP_2) | instskip(NEXT) | instid1(VALU_DEP_2)
	v_mul_f32_e32 v5, v20, v6
	v_mul_f32_e32 v6, v21, v6
.LBB92_7:                               ;   in Loop: Header=BB92_4 Depth=1
	s_and_not1_saveexec_b32 s26, s2
	s_cbranch_execz .LBB92_9
; %bb.8:                                ;   in Loop: Header=BB92_4 Depth=1
	s_waitcnt vmcnt(0)
	v_div_scale_f32 v5, null, v22, v22, v13
	v_div_scale_f32 v6, null, v23, v23, v14
	v_div_scale_f32 v26, vcc_lo, v13, v22, v13
	s_delay_alu instid0(VALU_DEP_3) | instskip(NEXT) | instid1(VALU_DEP_2)
	v_rcp_f32_e32 v20, v5
	v_rcp_f32_e32 v21, v6
	s_waitcnt_depctr 0xfff
	v_fma_f32 v24, -v5, v20, 1.0
	v_fma_f32 v25, -v6, v21, 1.0
	s_delay_alu instid0(VALU_DEP_1) | instskip(SKIP_1) | instid1(VALU_DEP_2)
	v_dual_fmac_f32 v20, v24, v20 :: v_dual_fmac_f32 v21, v25, v21
	v_div_scale_f32 v24, s2, v14, v23, v14
	v_mul_f32_e32 v25, v26, v20
	s_delay_alu instid0(VALU_DEP_2) | instskip(NEXT) | instid1(VALU_DEP_2)
	v_mul_f32_e32 v27, v24, v21
	v_fma_f32 v28, -v5, v25, v26
	s_delay_alu instid0(VALU_DEP_2) | instskip(NEXT) | instid1(VALU_DEP_2)
	v_fma_f32 v29, -v6, v27, v24
	v_fmac_f32_e32 v25, v28, v20
	s_delay_alu instid0(VALU_DEP_2) | instskip(NEXT) | instid1(VALU_DEP_2)
	v_fmac_f32_e32 v27, v29, v21
	v_fma_f32 v5, -v5, v25, v26
	s_delay_alu instid0(VALU_DEP_2) | instskip(NEXT) | instid1(VALU_DEP_2)
	v_fma_f32 v6, -v6, v27, v24
	v_div_fmas_f32 v5, v5, v20, v25
	s_mov_b32 vcc_lo, s2
	s_delay_alu instid0(VALU_DEP_2) | instskip(NEXT) | instid1(VALU_DEP_2)
	v_div_fmas_f32 v6, v6, v21, v27
	v_div_fixup_f32 v5, v5, v22, v13
	s_delay_alu instid0(VALU_DEP_2)
	v_div_fixup_f32 v6, v6, v23, v14
.LBB92_9:                               ;   in Loop: Header=BB92_4 Depth=1
	s_or_b32 exec_lo, exec_lo, s26
                                        ; implicit-def: $vgpr20
                                        ; implicit-def: $vgpr21
.LBB92_10:                              ;   in Loop: Header=BB92_4 Depth=1
	s_and_not1_saveexec_b32 s2, s25
	s_cbranch_execz .LBB92_12
; %bb.11:                               ;   in Loop: Header=BB92_4 Depth=1
	v_div_scale_f32 v5, null, v20, v20, v21
	v_div_scale_f32 v23, vcc_lo, v21, v20, v21
	s_delay_alu instid0(VALU_DEP_2) | instskip(SKIP_2) | instid1(VALU_DEP_1)
	v_rcp_f32_e32 v6, v5
	s_waitcnt_depctr 0xfff
	v_fma_f32 v22, -v5, v6, 1.0
	v_fmac_f32_e32 v6, v22, v6
	s_delay_alu instid0(VALU_DEP_1) | instskip(NEXT) | instid1(VALU_DEP_1)
	v_mul_f32_e32 v22, v23, v6
	v_fma_f32 v24, -v5, v22, v23
	s_delay_alu instid0(VALU_DEP_1) | instskip(NEXT) | instid1(VALU_DEP_1)
	v_fmac_f32_e32 v22, v24, v6
	v_fma_f32 v5, -v5, v22, v23
	s_delay_alu instid0(VALU_DEP_1) | instskip(NEXT) | instid1(VALU_DEP_1)
	v_div_fmas_f32 v5, v5, v6, v22
	v_div_fixup_f32 v5, v5, v20, v21
	s_delay_alu instid0(VALU_DEP_1) | instskip(NEXT) | instid1(VALU_DEP_1)
	v_fmac_f32_e32 v20, v21, v5
	v_div_scale_f32 v6, null, v20, v20, 1.0
	v_div_scale_f32 v23, vcc_lo, 1.0, v20, 1.0
	s_delay_alu instid0(VALU_DEP_2) | instskip(SKIP_2) | instid1(VALU_DEP_1)
	v_rcp_f32_e32 v21, v6
	s_waitcnt_depctr 0xfff
	v_fma_f32 v22, -v6, v21, 1.0
	v_fmac_f32_e32 v21, v22, v21
	s_delay_alu instid0(VALU_DEP_1) | instskip(NEXT) | instid1(VALU_DEP_1)
	v_mul_f32_e32 v22, v23, v21
	v_fma_f32 v24, -v6, v22, v23
	s_delay_alu instid0(VALU_DEP_1) | instskip(NEXT) | instid1(VALU_DEP_1)
	v_fmac_f32_e32 v22, v24, v21
	v_fma_f32 v6, -v6, v22, v23
	s_delay_alu instid0(VALU_DEP_1) | instskip(SKIP_3) | instid1(VALU_DEP_3)
	v_div_fmas_f32 v6, v6, v21, v22
	s_waitcnt vmcnt(0)
	v_fma_f32 v21, v13, v5, v14
	v_fma_f32 v13, v14, v5, -v13
	v_div_fixup_f32 v6, v6, v20, 1.0
	s_delay_alu instid0(VALU_DEP_1) | instskip(NEXT) | instid1(VALU_DEP_3)
	v_mul_f32_e32 v5, v21, v6
	v_mul_f32_e32 v6, v13, v6
.LBB92_12:                              ;   in Loop: Header=BB92_4 Depth=1
	s_or_b32 exec_lo, exec_lo, s2
	v_mul_f32_e32 v20, s10, v8
	s_waitcnt vmcnt(0)
	v_mul_f32_e32 v13, s11, v8
	s_mov_b32 s2, exec_lo
	s_delay_alu instid0(VALU_DEP_2) | instskip(NEXT) | instid1(VALU_DEP_2)
	v_fmac_f32_e32 v20, s11, v7
	v_fma_f32 v21, v7, s10, -v13
	s_delay_alu instid0(VALU_DEP_1) | instskip(SKIP_1) | instid1(VALU_DEP_4)
	v_cmp_gt_f32_e32 vcc_lo, 0, v21
	v_cndmask_b32_e64 v22, v21, -v21, vcc_lo
	v_cmp_gt_f32_e32 vcc_lo, 0, v20
	v_cndmask_b32_e64 v13, v20, -v20, vcc_lo
	s_delay_alu instid0(VALU_DEP_1)
	v_cmpx_ge_f32_e32 v22, v13
	s_xor_b32 s25, exec_lo, s2
	s_cbranch_execz .LBB92_18
; %bb.13:                               ;   in Loop: Header=BB92_4 Depth=1
	v_cmp_neq_f32_e32 vcc_lo, 0, v21
	v_cmp_neq_f32_e64 s2, 0, v20
	s_delay_alu instid0(VALU_DEP_1) | instskip(NEXT) | instid1(SALU_CYCLE_1)
	s_or_b32 s2, vcc_lo, s2
	s_and_saveexec_b32 s26, s2
	s_delay_alu instid0(SALU_CYCLE_1)
	s_xor_b32 s2, exec_lo, s26
	s_cbranch_execz .LBB92_15
; %bb.14:                               ;   in Loop: Header=BB92_4 Depth=1
	v_div_scale_f32 v7, null, v21, v21, v20
	v_div_scale_f32 v14, vcc_lo, v20, v21, v20
	s_delay_alu instid0(VALU_DEP_2) | instskip(SKIP_2) | instid1(VALU_DEP_1)
	v_rcp_f32_e32 v8, v7
	s_waitcnt_depctr 0xfff
	v_fma_f32 v13, -v7, v8, 1.0
	v_fmac_f32_e32 v8, v13, v8
	s_delay_alu instid0(VALU_DEP_1) | instskip(NEXT) | instid1(VALU_DEP_1)
	v_mul_f32_e32 v13, v14, v8
	v_fma_f32 v22, -v7, v13, v14
	s_delay_alu instid0(VALU_DEP_1) | instskip(NEXT) | instid1(VALU_DEP_1)
	v_fmac_f32_e32 v13, v22, v8
	v_fma_f32 v7, -v7, v13, v14
	s_delay_alu instid0(VALU_DEP_1) | instskip(NEXT) | instid1(VALU_DEP_1)
	v_div_fmas_f32 v7, v7, v8, v13
	v_div_fixup_f32 v7, v7, v21, v20
	s_delay_alu instid0(VALU_DEP_1) | instskip(NEXT) | instid1(VALU_DEP_1)
	v_fmac_f32_e32 v21, v20, v7
	v_div_scale_f32 v8, null, v21, v21, 1.0
	v_div_scale_f32 v20, vcc_lo, 1.0, v21, 1.0
	s_delay_alu instid0(VALU_DEP_2) | instskip(SKIP_2) | instid1(VALU_DEP_1)
	v_rcp_f32_e32 v13, v8
	s_waitcnt_depctr 0xfff
	v_fma_f32 v14, -v8, v13, 1.0
	v_fmac_f32_e32 v13, v14, v13
	s_delay_alu instid0(VALU_DEP_1) | instskip(NEXT) | instid1(VALU_DEP_1)
	v_mul_f32_e32 v14, v20, v13
	v_fma_f32 v22, -v8, v14, v20
	s_delay_alu instid0(VALU_DEP_1) | instskip(NEXT) | instid1(VALU_DEP_1)
	v_fmac_f32_e32 v14, v22, v13
                                        ; implicit-def: $vgpr22
	v_fma_f32 v8, -v8, v14, v20
	s_delay_alu instid0(VALU_DEP_1) | instskip(SKIP_2) | instid1(VALU_DEP_3)
	v_div_fmas_f32 v8, v8, v13, v14
	v_fma_f32 v13, v16, v7, v15
	v_fma_f32 v14, -v15, v7, v16
	v_div_fixup_f32 v8, v8, v21, 1.0
	s_delay_alu instid0(VALU_DEP_1) | instskip(NEXT) | instid1(VALU_DEP_3)
	v_mul_f32_e32 v7, v13, v8
	v_mul_f32_e32 v8, v14, v8
                                        ; implicit-def: $vgpr13_vgpr14_vgpr15_vgpr16
                                        ; implicit-def: $vgpr13
.LBB92_15:                              ;   in Loop: Header=BB92_4 Depth=1
	s_and_not1_saveexec_b32 s26, s2
	s_cbranch_execz .LBB92_17
; %bb.16:                               ;   in Loop: Header=BB92_4 Depth=1
	v_div_scale_f32 v7, null, v22, v22, v15
	v_div_scale_f32 v8, null, v13, v13, v16
	v_div_scale_f32 v24, vcc_lo, v15, v22, v15
	s_delay_alu instid0(VALU_DEP_3) | instskip(NEXT) | instid1(VALU_DEP_2)
	v_rcp_f32_e32 v14, v7
	v_rcp_f32_e32 v20, v8
	s_waitcnt_depctr 0xfff
	v_fma_f32 v21, -v7, v14, 1.0
	v_fma_f32 v23, -v8, v20, 1.0
	s_delay_alu instid0(VALU_DEP_1) | instskip(NEXT) | instid1(VALU_DEP_3)
	v_fmac_f32_e32 v20, v23, v20
	v_fmac_f32_e32 v14, v21, v14
	v_div_scale_f32 v21, s2, v16, v13, v16
	s_delay_alu instid0(VALU_DEP_1) | instskip(NEXT) | instid1(VALU_DEP_1)
	v_mul_f32_e32 v25, v21, v20
	v_fma_f32 v27, -v8, v25, v21
	s_delay_alu instid0(VALU_DEP_1) | instskip(SKIP_1) | instid1(VALU_DEP_2)
	v_fmac_f32_e32 v25, v27, v20
	v_mul_f32_e32 v23, v24, v14
	v_fma_f32 v8, -v8, v25, v21
	s_delay_alu instid0(VALU_DEP_2) | instskip(NEXT) | instid1(VALU_DEP_1)
	v_fma_f32 v26, -v7, v23, v24
	v_fmac_f32_e32 v23, v26, v14
	s_delay_alu instid0(VALU_DEP_1) | instskip(NEXT) | instid1(VALU_DEP_1)
	v_fma_f32 v7, -v7, v23, v24
	v_div_fmas_f32 v7, v7, v14, v23
	s_mov_b32 vcc_lo, s2
	v_div_fmas_f32 v8, v8, v20, v25
	s_delay_alu instid0(VALU_DEP_2) | instskip(NEXT) | instid1(VALU_DEP_2)
	v_div_fixup_f32 v7, v7, v22, v15
	v_div_fixup_f32 v8, v8, v13, v16
.LBB92_17:                              ;   in Loop: Header=BB92_4 Depth=1
	s_or_b32 exec_lo, exec_lo, s26
                                        ; implicit-def: $vgpr20
                                        ; implicit-def: $vgpr21
                                        ; implicit-def: $vgpr13_vgpr14_vgpr15_vgpr16
.LBB92_18:                              ;   in Loop: Header=BB92_4 Depth=1
	s_and_not1_saveexec_b32 s2, s25
	s_cbranch_execz .LBB92_20
; %bb.19:                               ;   in Loop: Header=BB92_4 Depth=1
	v_div_scale_f32 v7, null, v20, v20, v21
	v_div_scale_f32 v14, vcc_lo, v21, v20, v21
	s_delay_alu instid0(VALU_DEP_2) | instskip(SKIP_2) | instid1(VALU_DEP_1)
	v_rcp_f32_e32 v8, v7
	s_waitcnt_depctr 0xfff
	v_fma_f32 v13, -v7, v8, 1.0
	v_fmac_f32_e32 v8, v13, v8
	s_delay_alu instid0(VALU_DEP_1) | instskip(NEXT) | instid1(VALU_DEP_1)
	v_mul_f32_e32 v13, v14, v8
	v_fma_f32 v22, -v7, v13, v14
	s_delay_alu instid0(VALU_DEP_1) | instskip(NEXT) | instid1(VALU_DEP_1)
	v_fmac_f32_e32 v13, v22, v8
	v_fma_f32 v7, -v7, v13, v14
	s_delay_alu instid0(VALU_DEP_1) | instskip(NEXT) | instid1(VALU_DEP_1)
	v_div_fmas_f32 v7, v7, v8, v13
	v_div_fixup_f32 v7, v7, v20, v21
	s_delay_alu instid0(VALU_DEP_1) | instskip(NEXT) | instid1(VALU_DEP_1)
	v_fmac_f32_e32 v20, v21, v7
	v_div_scale_f32 v8, null, v20, v20, 1.0
	v_div_scale_f32 v21, vcc_lo, 1.0, v20, 1.0
	s_delay_alu instid0(VALU_DEP_2) | instskip(SKIP_2) | instid1(VALU_DEP_1)
	v_rcp_f32_e32 v13, v8
	s_waitcnt_depctr 0xfff
	v_fma_f32 v14, -v8, v13, 1.0
	v_fmac_f32_e32 v13, v14, v13
	s_delay_alu instid0(VALU_DEP_1) | instskip(NEXT) | instid1(VALU_DEP_1)
	v_mul_f32_e32 v14, v21, v13
	v_fma_f32 v22, -v8, v14, v21
	s_delay_alu instid0(VALU_DEP_1) | instskip(NEXT) | instid1(VALU_DEP_1)
	v_fmac_f32_e32 v14, v22, v13
	v_fma_f32 v8, -v8, v14, v21
	s_delay_alu instid0(VALU_DEP_1) | instskip(SKIP_2) | instid1(VALU_DEP_3)
	v_div_fmas_f32 v8, v8, v13, v14
	v_fma_f32 v13, v15, v7, v16
	v_fma_f32 v14, v16, v7, -v15
	v_div_fixup_f32 v8, v8, v20, 1.0
	s_delay_alu instid0(VALU_DEP_1) | instskip(NEXT) | instid1(VALU_DEP_3)
	v_mul_f32_e32 v7, v13, v8
	v_mul_f32_e32 v8, v14, v8
.LBB92_20:                              ;   in Loop: Header=BB92_4 Depth=1
	s_or_b32 exec_lo, exec_lo, s2
	v_mul_f32_e32 v13, s10, v10
	v_mul_f32_e32 v14, s11, v10
                                        ; implicit-def: $vgpr10
	s_mov_b32 s2, exec_lo
	s_delay_alu instid0(VALU_DEP_2) | instskip(NEXT) | instid1(VALU_DEP_2)
	v_fmac_f32_e32 v13, s11, v9
	v_fma_f32 v14, v9, s10, -v14
	s_delay_alu instid0(VALU_DEP_1) | instskip(SKIP_1) | instid1(VALU_DEP_4)
	v_cmp_gt_f32_e32 vcc_lo, 0, v14
	v_cndmask_b32_e64 v15, v14, -v14, vcc_lo
	v_cmp_gt_f32_e32 vcc_lo, 0, v13
	v_cndmask_b32_e64 v16, v13, -v13, vcc_lo
	s_delay_alu instid0(VALU_DEP_1)
	v_cmpx_ge_f32_e32 v15, v16
	s_xor_b32 s25, exec_lo, s2
	s_cbranch_execz .LBB92_26
; %bb.21:                               ;   in Loop: Header=BB92_4 Depth=1
	v_cmp_neq_f32_e32 vcc_lo, 0, v14
	v_cmp_neq_f32_e64 s2, 0, v13
                                        ; implicit-def: $vgpr10
	s_delay_alu instid0(VALU_DEP_1) | instskip(NEXT) | instid1(SALU_CYCLE_1)
	s_or_b32 s2, vcc_lo, s2
	s_and_saveexec_b32 s26, s2
	s_delay_alu instid0(SALU_CYCLE_1)
	s_xor_b32 s2, exec_lo, s26
	s_cbranch_execz .LBB92_23
; %bb.22:                               ;   in Loop: Header=BB92_4 Depth=1
	v_div_scale_f32 v9, null, v14, v14, v13
	v_div_scale_f32 v16, vcc_lo, v13, v14, v13
	s_delay_alu instid0(VALU_DEP_2) | instskip(SKIP_2) | instid1(VALU_DEP_1)
	v_rcp_f32_e32 v10, v9
	s_waitcnt_depctr 0xfff
	v_fma_f32 v15, -v9, v10, 1.0
	v_fmac_f32_e32 v10, v15, v10
	s_delay_alu instid0(VALU_DEP_1) | instskip(NEXT) | instid1(VALU_DEP_1)
	v_mul_f32_e32 v15, v16, v10
	v_fma_f32 v20, -v9, v15, v16
	s_delay_alu instid0(VALU_DEP_1) | instskip(NEXT) | instid1(VALU_DEP_1)
	v_fmac_f32_e32 v15, v20, v10
	v_fma_f32 v9, -v9, v15, v16
	s_delay_alu instid0(VALU_DEP_1) | instskip(NEXT) | instid1(VALU_DEP_1)
	v_div_fmas_f32 v9, v9, v10, v15
	v_div_fixup_f32 v9, v9, v14, v13
	s_delay_alu instid0(VALU_DEP_1) | instskip(NEXT) | instid1(VALU_DEP_1)
	v_fmac_f32_e32 v14, v13, v9
	v_div_scale_f32 v10, null, v14, v14, 1.0
	v_div_scale_f32 v16, vcc_lo, 1.0, v14, 1.0
	s_delay_alu instid0(VALU_DEP_2) | instskip(SKIP_2) | instid1(VALU_DEP_1)
	v_rcp_f32_e32 v13, v10
	s_waitcnt_depctr 0xfff
	v_fma_f32 v15, -v10, v13, 1.0
	v_fmac_f32_e32 v13, v15, v13
	s_delay_alu instid0(VALU_DEP_1) | instskip(NEXT) | instid1(VALU_DEP_1)
	v_mul_f32_e32 v15, v16, v13
	v_fma_f32 v20, -v10, v15, v16
	s_delay_alu instid0(VALU_DEP_1) | instskip(NEXT) | instid1(VALU_DEP_1)
	v_fmac_f32_e32 v15, v20, v13
	v_fma_f32 v10, -v10, v15, v16
                                        ; implicit-def: $vgpr16
	s_delay_alu instid0(VALU_DEP_1) | instskip(SKIP_1) | instid1(VALU_DEP_2)
	v_div_fmas_f32 v10, v10, v13, v15
	v_fma_f32 v13, v2, v9, v1
                                        ; implicit-def: $vgpr15
	v_div_fixup_f32 v10, v10, v14, 1.0
	v_fma_f32 v14, -v1, v9, v2
	s_delay_alu instid0(VALU_DEP_2) | instskip(NEXT) | instid1(VALU_DEP_2)
	v_mul_f32_e32 v9, v13, v10
	v_mul_f32_e32 v10, v14, v10
.LBB92_23:                              ;   in Loop: Header=BB92_4 Depth=1
	s_and_not1_saveexec_b32 s26, s2
	s_cbranch_execz .LBB92_25
; %bb.24:                               ;   in Loop: Header=BB92_4 Depth=1
	v_div_scale_f32 v9, null, v15, v15, v1
	v_div_scale_f32 v10, null, v16, v16, v2
	v_div_scale_f32 v22, vcc_lo, v1, v15, v1
	s_delay_alu instid0(VALU_DEP_3) | instskip(NEXT) | instid1(VALU_DEP_2)
	v_rcp_f32_e32 v13, v9
	v_rcp_f32_e32 v14, v10
	s_waitcnt_depctr 0xfff
	v_fma_f32 v20, -v9, v13, 1.0
	v_fma_f32 v21, -v10, v14, 1.0
	s_delay_alu instid0(VALU_DEP_1) | instskip(SKIP_1) | instid1(VALU_DEP_2)
	v_dual_fmac_f32 v13, v20, v13 :: v_dual_fmac_f32 v14, v21, v14
	v_div_scale_f32 v20, s2, v2, v16, v2
	v_mul_f32_e32 v21, v22, v13
	s_delay_alu instid0(VALU_DEP_2) | instskip(NEXT) | instid1(VALU_DEP_2)
	v_mul_f32_e32 v23, v20, v14
	v_fma_f32 v24, -v9, v21, v22
	s_delay_alu instid0(VALU_DEP_2) | instskip(NEXT) | instid1(VALU_DEP_2)
	v_fma_f32 v25, -v10, v23, v20
	v_fmac_f32_e32 v21, v24, v13
	s_delay_alu instid0(VALU_DEP_2) | instskip(NEXT) | instid1(VALU_DEP_2)
	v_fmac_f32_e32 v23, v25, v14
	v_fma_f32 v9, -v9, v21, v22
	s_delay_alu instid0(VALU_DEP_2) | instskip(NEXT) | instid1(VALU_DEP_2)
	v_fma_f32 v10, -v10, v23, v20
	v_div_fmas_f32 v9, v9, v13, v21
	s_mov_b32 vcc_lo, s2
	s_delay_alu instid0(VALU_DEP_2) | instskip(NEXT) | instid1(VALU_DEP_2)
	v_div_fmas_f32 v10, v10, v14, v23
	v_div_fixup_f32 v9, v9, v15, v1
	s_delay_alu instid0(VALU_DEP_2)
	v_div_fixup_f32 v10, v10, v16, v2
.LBB92_25:                              ;   in Loop: Header=BB92_4 Depth=1
	s_or_b32 exec_lo, exec_lo, s26
                                        ; implicit-def: $vgpr13
                                        ; implicit-def: $vgpr14
.LBB92_26:                              ;   in Loop: Header=BB92_4 Depth=1
	s_and_not1_saveexec_b32 s2, s25
	s_cbranch_execz .LBB92_28
; %bb.27:                               ;   in Loop: Header=BB92_4 Depth=1
	v_div_scale_f32 v9, null, v13, v13, v14
	v_div_scale_f32 v16, vcc_lo, v14, v13, v14
	s_delay_alu instid0(VALU_DEP_2) | instskip(SKIP_2) | instid1(VALU_DEP_1)
	v_rcp_f32_e32 v10, v9
	s_waitcnt_depctr 0xfff
	v_fma_f32 v15, -v9, v10, 1.0
	v_fmac_f32_e32 v10, v15, v10
	s_delay_alu instid0(VALU_DEP_1) | instskip(NEXT) | instid1(VALU_DEP_1)
	v_mul_f32_e32 v15, v16, v10
	v_fma_f32 v20, -v9, v15, v16
	s_delay_alu instid0(VALU_DEP_1) | instskip(NEXT) | instid1(VALU_DEP_1)
	v_fmac_f32_e32 v15, v20, v10
	v_fma_f32 v9, -v9, v15, v16
	s_delay_alu instid0(VALU_DEP_1) | instskip(NEXT) | instid1(VALU_DEP_1)
	v_div_fmas_f32 v9, v9, v10, v15
	v_div_fixup_f32 v9, v9, v13, v14
	s_delay_alu instid0(VALU_DEP_1) | instskip(NEXT) | instid1(VALU_DEP_1)
	v_fmac_f32_e32 v13, v14, v9
	v_div_scale_f32 v10, null, v13, v13, 1.0
	v_div_scale_f32 v16, vcc_lo, 1.0, v13, 1.0
	s_delay_alu instid0(VALU_DEP_2) | instskip(SKIP_2) | instid1(VALU_DEP_1)
	v_rcp_f32_e32 v14, v10
	s_waitcnt_depctr 0xfff
	v_fma_f32 v15, -v10, v14, 1.0
	v_fmac_f32_e32 v14, v15, v14
	s_delay_alu instid0(VALU_DEP_1) | instskip(NEXT) | instid1(VALU_DEP_1)
	v_mul_f32_e32 v15, v16, v14
	v_fma_f32 v20, -v10, v15, v16
	s_delay_alu instid0(VALU_DEP_1) | instskip(NEXT) | instid1(VALU_DEP_1)
	v_fmac_f32_e32 v15, v20, v14
	v_fma_f32 v10, -v10, v15, v16
	s_delay_alu instid0(VALU_DEP_1) | instskip(SKIP_2) | instid1(VALU_DEP_3)
	v_div_fmas_f32 v10, v10, v14, v15
	v_fma_f32 v14, v1, v9, v2
	v_fma_f32 v1, v2, v9, -v1
	v_div_fixup_f32 v10, v10, v13, 1.0
	s_delay_alu instid0(VALU_DEP_1) | instskip(NEXT) | instid1(VALU_DEP_3)
	v_mul_f32_e32 v9, v14, v10
	v_mul_f32_e32 v10, v1, v10
.LBB92_28:                              ;   in Loop: Header=BB92_4 Depth=1
	s_or_b32 exec_lo, exec_lo, s2
	v_mul_f32_e32 v1, s11, v12
	v_mul_f32_e32 v13, s10, v12
	s_mov_b32 s2, exec_lo
	s_delay_alu instid0(VALU_DEP_2) | instskip(NEXT) | instid1(VALU_DEP_2)
	v_fma_f32 v14, v11, s10, -v1
	v_fmac_f32_e32 v13, s11, v11
	s_delay_alu instid0(VALU_DEP_2) | instskip(SKIP_1) | instid1(VALU_DEP_3)
	v_cmp_gt_f32_e32 vcc_lo, 0, v14
	v_cndmask_b32_e64 v15, v14, -v14, vcc_lo
	v_cmp_gt_f32_e32 vcc_lo, 0, v13
	v_cndmask_b32_e64 v1, v13, -v13, vcc_lo
	s_delay_alu instid0(VALU_DEP_1)
	v_cmpx_ge_f32_e32 v15, v1
	s_xor_b32 s25, exec_lo, s2
	s_cbranch_execz .LBB92_34
; %bb.29:                               ;   in Loop: Header=BB92_4 Depth=1
	v_cmp_neq_f32_e32 vcc_lo, 0, v14
	v_cmp_neq_f32_e64 s2, 0, v13
	s_delay_alu instid0(VALU_DEP_1) | instskip(NEXT) | instid1(SALU_CYCLE_1)
	s_or_b32 s2, vcc_lo, s2
	s_and_saveexec_b32 s26, s2
	s_delay_alu instid0(SALU_CYCLE_1)
	s_xor_b32 s2, exec_lo, s26
	s_cbranch_execz .LBB92_31
; %bb.30:                               ;   in Loop: Header=BB92_4 Depth=1
	v_div_scale_f32 v1, null, v14, v14, v13
	v_div_scale_f32 v12, vcc_lo, v13, v14, v13
	s_delay_alu instid0(VALU_DEP_2) | instskip(SKIP_2) | instid1(VALU_DEP_1)
	v_rcp_f32_e32 v2, v1
	s_waitcnt_depctr 0xfff
	v_fma_f32 v11, -v1, v2, 1.0
	v_fmac_f32_e32 v2, v11, v2
	s_delay_alu instid0(VALU_DEP_1) | instskip(NEXT) | instid1(VALU_DEP_1)
	v_mul_f32_e32 v11, v12, v2
	v_fma_f32 v15, -v1, v11, v12
	s_delay_alu instid0(VALU_DEP_1) | instskip(NEXT) | instid1(VALU_DEP_1)
	v_fmac_f32_e32 v11, v15, v2
	v_fma_f32 v1, -v1, v11, v12
	s_delay_alu instid0(VALU_DEP_1) | instskip(NEXT) | instid1(VALU_DEP_1)
	v_div_fmas_f32 v1, v1, v2, v11
	v_div_fixup_f32 v1, v1, v14, v13
	s_delay_alu instid0(VALU_DEP_1) | instskip(NEXT) | instid1(VALU_DEP_1)
	v_fmac_f32_e32 v14, v13, v1
	v_div_scale_f32 v2, null, v14, v14, 1.0
	v_div_scale_f32 v13, vcc_lo, 1.0, v14, 1.0
	s_delay_alu instid0(VALU_DEP_2) | instskip(SKIP_2) | instid1(VALU_DEP_1)
	v_rcp_f32_e32 v11, v2
	s_waitcnt_depctr 0xfff
	v_fma_f32 v12, -v2, v11, 1.0
	v_fmac_f32_e32 v11, v12, v11
	s_delay_alu instid0(VALU_DEP_1) | instskip(NEXT) | instid1(VALU_DEP_1)
	v_mul_f32_e32 v12, v13, v11
	v_fma_f32 v15, -v2, v12, v13
	s_delay_alu instid0(VALU_DEP_1) | instskip(NEXT) | instid1(VALU_DEP_1)
	v_fmac_f32_e32 v12, v15, v11
                                        ; implicit-def: $vgpr15
	v_fma_f32 v2, -v2, v12, v13
	s_delay_alu instid0(VALU_DEP_1) | instskip(SKIP_2) | instid1(VALU_DEP_3)
	v_div_fmas_f32 v2, v2, v11, v12
	v_fma_f32 v11, v4, v1, v3
	v_fma_f32 v1, -v3, v1, v4
	v_div_fixup_f32 v2, v2, v14, 1.0
	s_delay_alu instid0(VALU_DEP_1) | instskip(NEXT) | instid1(VALU_DEP_3)
	v_mul_f32_e32 v11, v11, v2
	v_mul_f32_e32 v12, v1, v2
                                        ; implicit-def: $vgpr1_vgpr2_vgpr3_vgpr4
                                        ; implicit-def: $vgpr1
.LBB92_31:                              ;   in Loop: Header=BB92_4 Depth=1
	s_and_not1_saveexec_b32 s26, s2
	s_cbranch_execz .LBB92_33
; %bb.32:                               ;   in Loop: Header=BB92_4 Depth=1
	v_div_scale_f32 v2, null, v15, v15, v3
	v_div_scale_f32 v11, null, v1, v1, v4
	v_div_scale_f32 v20, vcc_lo, v3, v15, v3
	s_delay_alu instid0(VALU_DEP_3) | instskip(NEXT) | instid1(VALU_DEP_2)
	v_rcp_f32_e32 v12, v2
	v_rcp_f32_e32 v13, v11
	s_waitcnt_depctr 0xfff
	v_fma_f32 v14, -v2, v12, 1.0
	v_fma_f32 v16, -v11, v13, 1.0
	s_delay_alu instid0(VALU_DEP_1) | instskip(SKIP_1) | instid1(VALU_DEP_1)
	v_dual_fmac_f32 v12, v14, v12 :: v_dual_fmac_f32 v13, v16, v13
	v_div_scale_f32 v14, s2, v4, v1, v4
	v_dual_mul_f32 v16, v20, v12 :: v_dual_mul_f32 v21, v14, v13
	s_delay_alu instid0(VALU_DEP_1) | instskip(NEXT) | instid1(VALU_DEP_2)
	v_fma_f32 v22, -v2, v16, v20
	v_fma_f32 v23, -v11, v21, v14
	s_delay_alu instid0(VALU_DEP_1) | instskip(NEXT) | instid1(VALU_DEP_1)
	v_dual_fmac_f32 v16, v22, v12 :: v_dual_fmac_f32 v21, v23, v13
	v_fma_f32 v2, -v2, v16, v20
	s_delay_alu instid0(VALU_DEP_2) | instskip(NEXT) | instid1(VALU_DEP_2)
	v_fma_f32 v11, -v11, v21, v14
	v_div_fmas_f32 v2, v2, v12, v16
	s_mov_b32 vcc_lo, s2
	s_delay_alu instid0(VALU_DEP_2) | instskip(NEXT) | instid1(VALU_DEP_2)
	v_div_fmas_f32 v12, v11, v13, v21
	v_div_fixup_f32 v11, v2, v15, v3
	s_delay_alu instid0(VALU_DEP_2)
	v_div_fixup_f32 v12, v12, v1, v4
.LBB92_33:                              ;   in Loop: Header=BB92_4 Depth=1
	s_or_b32 exec_lo, exec_lo, s26
                                        ; implicit-def: $vgpr13
                                        ; implicit-def: $vgpr14
                                        ; implicit-def: $vgpr1_vgpr2_vgpr3_vgpr4
.LBB92_34:                              ;   in Loop: Header=BB92_4 Depth=1
	s_and_not1_saveexec_b32 s2, s25
	s_cbranch_execz .LBB92_3
; %bb.35:                               ;   in Loop: Header=BB92_4 Depth=1
	v_div_scale_f32 v1, null, v13, v13, v14
	v_div_scale_f32 v12, vcc_lo, v14, v13, v14
	s_delay_alu instid0(VALU_DEP_2) | instskip(SKIP_2) | instid1(VALU_DEP_1)
	v_rcp_f32_e32 v2, v1
	s_waitcnt_depctr 0xfff
	v_fma_f32 v11, -v1, v2, 1.0
	v_fmac_f32_e32 v2, v11, v2
	s_delay_alu instid0(VALU_DEP_1) | instskip(NEXT) | instid1(VALU_DEP_1)
	v_mul_f32_e32 v11, v12, v2
	v_fma_f32 v15, -v1, v11, v12
	s_delay_alu instid0(VALU_DEP_1) | instskip(NEXT) | instid1(VALU_DEP_1)
	v_fmac_f32_e32 v11, v15, v2
	v_fma_f32 v1, -v1, v11, v12
	s_delay_alu instid0(VALU_DEP_1) | instskip(NEXT) | instid1(VALU_DEP_1)
	v_div_fmas_f32 v1, v1, v2, v11
	v_div_fixup_f32 v1, v1, v13, v14
	s_delay_alu instid0(VALU_DEP_1) | instskip(NEXT) | instid1(VALU_DEP_1)
	v_fmac_f32_e32 v13, v14, v1
	v_div_scale_f32 v2, null, v13, v13, 1.0
	v_div_scale_f32 v14, vcc_lo, 1.0, v13, 1.0
	s_delay_alu instid0(VALU_DEP_2) | instskip(SKIP_2) | instid1(VALU_DEP_1)
	v_rcp_f32_e32 v11, v2
	s_waitcnt_depctr 0xfff
	v_fma_f32 v12, -v2, v11, 1.0
	v_fmac_f32_e32 v11, v12, v11
	s_delay_alu instid0(VALU_DEP_1) | instskip(NEXT) | instid1(VALU_DEP_1)
	v_mul_f32_e32 v12, v14, v11
	v_fma_f32 v15, -v2, v12, v14
	s_delay_alu instid0(VALU_DEP_1) | instskip(NEXT) | instid1(VALU_DEP_1)
	v_fmac_f32_e32 v12, v15, v11
	v_fma_f32 v2, -v2, v12, v14
	s_delay_alu instid0(VALU_DEP_1) | instskip(SKIP_2) | instid1(VALU_DEP_3)
	v_div_fmas_f32 v2, v2, v11, v12
	v_fma_f32 v11, v3, v1, v4
	v_fma_f32 v1, v4, v1, -v3
	v_div_fixup_f32 v2, v2, v13, 1.0
	s_delay_alu instid0(VALU_DEP_1) | instskip(NEXT) | instid1(VALU_DEP_3)
	v_mul_f32_e32 v11, v11, v2
	v_mul_f32_e32 v12, v1, v2
	s_branch .LBB92_3
.LBB92_36:
	s_or_b32 exec_lo, exec_lo, s21
	s_mov_b32 s2, 0
.LBB92_37:
	s_delay_alu instid0(SALU_CYCLE_1)
	s_and_not1_b32 vcc_lo, exec_lo, s2
	s_cbranch_vccnz .LBB92_89
; %bb.38:
	v_cmp_lt_i64_e64 s2, s[8:9], 1
	s_delay_alu instid0(VALU_DEP_1)
	s_and_b32 vcc_lo, exec_lo, s2
	s_cbranch_vccnz .LBB92_89
; %bb.39:
	s_load_b32 s0, s[0:1], 0xc64
	v_dual_mov_b32 v1, 0 :: v_dual_lshlrev_b32 v6, 3, v0
	v_cmp_gt_u64_e64 s1, 0x10000, s[8:9]
	s_mov_b32 s13, 0
	s_delay_alu instid0(VALU_DEP_2) | instskip(NEXT) | instid1(VALU_DEP_3)
	v_or_b32_e32 v2, 4, v6
	v_mov_b32_e32 v3, v1
	s_delay_alu instid0(VALU_DEP_2) | instskip(NEXT) | instid1(VALU_DEP_1)
	v_add_co_u32 v18, s2, s16, v2
	v_add_co_ci_u32_e64 v19, null, s17, 0, s2
	v_add_co_u32 v20, s2, s4, v2
	s_delay_alu instid0(VALU_DEP_1)
	v_add_co_ci_u32_e64 v21, null, s5, 0, s2
	s_waitcnt lgkmcnt(0)
	s_and_b32 s20, s0, 0xffff
	s_and_b32 s0, s1, exec_lo
	v_add_lshl_u32 v7, v0, s20, 3
	v_mad_u64_u32 v[4:5], null, s20, 24, v[2:3]
	s_cselect_b32 s15, s9, 0
	s_cselect_b32 s14, s8, 0x10000
	s_delay_alu instid0(VALU_DEP_2) | instskip(NEXT) | instid1(VALU_DEP_1)
	v_add_co_u32 v22, s0, s18, v7
	v_add_co_ci_u32_e64 v23, null, s19, 0, s0
	v_add_co_u32 v24, s0, s18, v2
	s_delay_alu instid0(VALU_DEP_1) | instskip(SKIP_1) | instid1(VALU_DEP_1)
	v_add_co_ci_u32_e64 v25, null, s19, 0, s0
	v_add_co_u32 v26, s0, s4, v7
	v_add_co_ci_u32_e64 v27, null, s5, 0, s0
	v_add_co_u32 v30, s0, s16, v7
	v_add_co_u32 v28, vcc_lo, s16, v4
	v_add_co_ci_u32_e64 v31, null, s17, 0, s0
	s_lshl_b32 s0, s20, 4
	v_add_co_ci_u32_e32 v29, vcc_lo, s17, v5, vcc_lo
	v_add_co_u32 v2, s0, s0, v6
	v_add_co_u32 v32, vcc_lo, s4, v4
	v_add_co_ci_u32_e32 v33, vcc_lo, s5, v5, vcc_lo
	v_add_co_u32 v34, vcc_lo, s18, v4
	v_add_co_ci_u32_e64 v3, null, 0, 0, s0
	v_or_b32_e32 v4, 4, v2
	v_add_co_ci_u32_e32 v35, vcc_lo, s19, v5, vcc_lo
	v_add_co_u32 v36, vcc_lo, s18, v2
	s_delay_alu instid0(VALU_DEP_4) | instskip(NEXT) | instid1(VALU_DEP_4)
	v_add_co_ci_u32_e32 v37, vcc_lo, s19, v3, vcc_lo
	v_add_co_u32 v38, vcc_lo, s16, v4
	v_add_co_ci_u32_e32 v39, vcc_lo, s17, v3, vcc_lo
	v_add_co_u32 v40, vcc_lo, s4, v4
	v_add_co_ci_u32_e32 v41, vcc_lo, s5, v3, vcc_lo
	s_lshl_b32 s12, s20, 2
	s_lshl_b32 s21, s20, 1
	s_mul_i32 s22, s20, 3
	s_lshl_b32 s5, s20, 5
	s_mov_b64 s[16:17], s[12:13]
	s_branch .LBB92_41
.LBB92_40:                              ;   in Loop: Header=BB92_41 Depth=1
	s_or_b32 exec_lo, exec_lo, s0
	v_add_co_u32 v0, vcc_lo, v0, s12
	v_add_co_ci_u32_e32 v1, vcc_lo, 0, v1, vcc_lo
	v_add_co_u32 v18, vcc_lo, v18, s5
	v_add_co_ci_u32_e32 v19, vcc_lo, 0, v19, vcc_lo
	;; [unrolled: 2-line block ×11, first 2 shown]
	v_cmp_ge_i64_e64 s0, s[16:17], s[8:9]
	v_cmp_lt_u64_e64 s1, 0xffff, s[16:17]
	v_add_co_u32 v38, vcc_lo, v38, s5
	v_add_co_ci_u32_e32 v39, vcc_lo, 0, v39, vcc_lo
	v_add_co_u32 v40, vcc_lo, v40, s5
	v_add_co_ci_u32_e32 v41, vcc_lo, 0, v41, vcc_lo
	s_or_b32 s0, s0, s1
	s_add_u32 s16, s16, s12
	s_addc_u32 s17, s17, 0
	s_and_b32 vcc_lo, exec_lo, s0
	s_cbranch_vccnz .LBB92_89
.LBB92_41:                              ; =>This Inner Loop Header: Depth=1
	v_cmp_gt_u64_e64 s0, s[14:15], v[0:1]
	v_dual_mov_b32 v11, 0 :: v_dual_mov_b32 v10, 0
	v_dual_mov_b32 v5, 0 :: v_dual_mov_b32 v4, 0
	s_delay_alu instid0(VALU_DEP_3)
	s_and_saveexec_b32 s1, s0
	s_cbranch_execz .LBB92_43
; %bb.42:                               ;   in Loop: Header=BB92_41 Depth=1
	v_add_co_u32 v2, vcc_lo, v20, s6
	v_add_co_ci_u32_e32 v3, vcc_lo, s7, v21, vcc_lo
	v_add_co_u32 v4, vcc_lo, v18, s6
	v_add_co_ci_u32_e32 v5, vcc_lo, s7, v19, vcc_lo
	global_load_b64 v[10:11], v[2:3], off offset:-4
	global_load_b64 v[4:5], v[4:5], off offset:-4
.LBB92_43:                              ;   in Loop: Header=BB92_41 Depth=1
	s_or_b32 exec_lo, exec_lo, s1
	v_add_co_u32 v2, vcc_lo, s20, v0
	v_add_co_ci_u32_e32 v3, vcc_lo, 0, v1, vcc_lo
	v_dual_mov_b32 v7, 0 :: v_dual_mov_b32 v12, 0
	v_dual_mov_b32 v13, 0 :: v_dual_mov_b32 v16, 0
	s_delay_alu instid0(VALU_DEP_3) | instskip(SKIP_1) | instid1(VALU_DEP_2)
	v_cmp_gt_u64_e64 s1, s[14:15], v[2:3]
	v_mov_b32_e32 v17, 0
	s_and_saveexec_b32 s2, s1
	s_cbranch_execz .LBB92_45
; %bb.44:                               ;   in Loop: Header=BB92_41 Depth=1
	v_add_co_u32 v2, vcc_lo, v26, s6
	v_add_co_ci_u32_e32 v3, vcc_lo, s7, v27, vcc_lo
	v_add_co_u32 v8, vcc_lo, v30, s6
	v_add_co_ci_u32_e32 v9, vcc_lo, s7, v31, vcc_lo
	global_load_b64 v[12:13], v[2:3], off
	global_load_b64 v[16:17], v[8:9], off
.LBB92_45:                              ;   in Loop: Header=BB92_41 Depth=1
	s_or_b32 exec_lo, exec_lo, s2
	v_add_co_u32 v2, vcc_lo, s21, v0
	v_add_co_ci_u32_e32 v3, vcc_lo, 0, v1, vcc_lo
	v_dual_mov_b32 v6, 0 :: v_dual_mov_b32 v15, 0
	v_mov_b32_e32 v14, 0
	s_delay_alu instid0(VALU_DEP_3) | instskip(NEXT) | instid1(VALU_DEP_1)
	v_cmp_gt_u64_e64 s2, s[14:15], v[2:3]
	s_and_saveexec_b32 s3, s2
	s_cbranch_execz .LBB92_47
; %bb.46:                               ;   in Loop: Header=BB92_41 Depth=1
	v_add_co_u32 v2, vcc_lo, v40, s6
	v_add_co_ci_u32_e32 v3, vcc_lo, s7, v41, vcc_lo
	v_add_co_u32 v8, vcc_lo, v38, s6
	v_add_co_ci_u32_e32 v9, vcc_lo, s7, v39, vcc_lo
	global_load_b64 v[6:7], v[2:3], off offset:-4
	global_load_b64 v[14:15], v[8:9], off offset:-4
.LBB92_47:                              ;   in Loop: Header=BB92_41 Depth=1
	s_or_b32 exec_lo, exec_lo, s3
	v_add_co_u32 v8, vcc_lo, s22, v0
	v_add_co_ci_u32_e32 v9, vcc_lo, 0, v1, vcc_lo
	v_dual_mov_b32 v3, 0 :: v_dual_mov_b32 v2, 0
	s_delay_alu instid0(VALU_DEP_2) | instskip(SKIP_1) | instid1(VALU_DEP_2)
	v_cmp_gt_u64_e64 s3, s[14:15], v[8:9]
	v_dual_mov_b32 v9, 0 :: v_dual_mov_b32 v8, 0
	s_and_saveexec_b32 s4, s3
	s_cbranch_execz .LBB92_49
; %bb.48:                               ;   in Loop: Header=BB92_41 Depth=1
	v_add_co_u32 v2, vcc_lo, v32, s6
	v_add_co_ci_u32_e32 v3, vcc_lo, s7, v33, vcc_lo
	v_add_co_u32 v8, vcc_lo, v28, s6
	v_add_co_ci_u32_e32 v9, vcc_lo, s7, v29, vcc_lo
	global_load_b64 v[2:3], v[2:3], off offset:-4
	global_load_b64 v[8:9], v[8:9], off offset:-4
.LBB92_49:                              ;   in Loop: Header=BB92_41 Depth=1
	s_or_b32 exec_lo, exec_lo, s4
	s_waitcnt vmcnt(0)
	v_dual_mul_f32 v43, s11, v5 :: v_dual_mul_f32 v42, s11, v4
	s_mov_b32 s4, exec_lo
	s_delay_alu instid0(VALU_DEP_1) | instskip(NEXT) | instid1(VALU_DEP_2)
	v_fma_f32 v43, v4, s10, -v43
	v_fmac_f32_e32 v42, s10, v5
                                        ; implicit-def: $vgpr5
	s_delay_alu instid0(VALU_DEP_2) | instskip(SKIP_1) | instid1(VALU_DEP_3)
	v_cmp_gt_f32_e32 vcc_lo, 0, v43
	v_cndmask_b32_e64 v44, v43, -v43, vcc_lo
	v_cmp_gt_f32_e32 vcc_lo, 0, v42
	v_cndmask_b32_e64 v45, v42, -v42, vcc_lo
	s_delay_alu instid0(VALU_DEP_1)
	v_cmpx_ge_f32_e32 v44, v45
	s_xor_b32 s13, exec_lo, s4
	s_cbranch_execz .LBB92_55
; %bb.50:                               ;   in Loop: Header=BB92_41 Depth=1
	v_cmp_neq_f32_e32 vcc_lo, 0, v43
	v_cmp_neq_f32_e64 s4, 0, v42
                                        ; implicit-def: $vgpr5
	s_delay_alu instid0(VALU_DEP_1) | instskip(NEXT) | instid1(SALU_CYCLE_1)
	s_or_b32 s4, vcc_lo, s4
	s_and_saveexec_b32 s18, s4
	s_delay_alu instid0(SALU_CYCLE_1)
	s_xor_b32 s4, exec_lo, s18
	s_cbranch_execz .LBB92_52
; %bb.51:                               ;   in Loop: Header=BB92_41 Depth=1
	v_div_scale_f32 v4, null, v43, v43, v42
	v_div_scale_f32 v45, vcc_lo, v42, v43, v42
	s_delay_alu instid0(VALU_DEP_2) | instskip(SKIP_2) | instid1(VALU_DEP_1)
	v_rcp_f32_e32 v5, v4
	s_waitcnt_depctr 0xfff
	v_fma_f32 v44, -v4, v5, 1.0
	v_fmac_f32_e32 v5, v44, v5
	s_delay_alu instid0(VALU_DEP_1) | instskip(NEXT) | instid1(VALU_DEP_1)
	v_mul_f32_e32 v44, v45, v5
	v_fma_f32 v46, -v4, v44, v45
	s_delay_alu instid0(VALU_DEP_1) | instskip(NEXT) | instid1(VALU_DEP_1)
	v_fmac_f32_e32 v44, v46, v5
	v_fma_f32 v4, -v4, v44, v45
	s_delay_alu instid0(VALU_DEP_1) | instskip(NEXT) | instid1(VALU_DEP_1)
	v_div_fmas_f32 v4, v4, v5, v44
	v_div_fixup_f32 v4, v4, v43, v42
	s_delay_alu instid0(VALU_DEP_1) | instskip(NEXT) | instid1(VALU_DEP_1)
	v_fmac_f32_e32 v43, v42, v4
	v_div_scale_f32 v5, null, v43, v43, 1.0
	v_div_scale_f32 v45, vcc_lo, 1.0, v43, 1.0
	s_delay_alu instid0(VALU_DEP_2) | instskip(SKIP_2) | instid1(VALU_DEP_1)
	v_rcp_f32_e32 v42, v5
	s_waitcnt_depctr 0xfff
	v_fma_f32 v44, -v5, v42, 1.0
	v_fmac_f32_e32 v42, v44, v42
	s_delay_alu instid0(VALU_DEP_1) | instskip(NEXT) | instid1(VALU_DEP_1)
	v_mul_f32_e32 v44, v45, v42
	v_fma_f32 v46, -v5, v44, v45
	s_delay_alu instid0(VALU_DEP_1) | instskip(NEXT) | instid1(VALU_DEP_1)
	v_fmac_f32_e32 v44, v46, v42
	v_fma_f32 v5, -v5, v44, v45
                                        ; implicit-def: $vgpr45
	s_delay_alu instid0(VALU_DEP_1) | instskip(SKIP_2) | instid1(VALU_DEP_3)
	v_div_fmas_f32 v5, v5, v42, v44
	v_fma_f32 v42, v11, v4, v10
	v_fma_f32 v10, -v10, v4, v11
                                        ; implicit-def: $vgpr44
	v_div_fixup_f32 v5, v5, v43, 1.0
	s_delay_alu instid0(VALU_DEP_1) | instskip(NEXT) | instid1(VALU_DEP_3)
	v_mul_f32_e32 v4, v42, v5
	v_mul_f32_e32 v5, v10, v5
                                        ; implicit-def: $vgpr10
.LBB92_52:                              ;   in Loop: Header=BB92_41 Depth=1
	s_and_not1_saveexec_b32 s18, s4
	s_cbranch_execz .LBB92_54
; %bb.53:                               ;   in Loop: Header=BB92_41 Depth=1
	v_div_scale_f32 v4, null, v44, v44, v10
	v_div_scale_f32 v5, null, v45, v45, v11
	v_div_scale_f32 v48, vcc_lo, v10, v44, v10
	s_delay_alu instid0(VALU_DEP_3) | instskip(NEXT) | instid1(VALU_DEP_2)
	v_rcp_f32_e32 v42, v4
	v_rcp_f32_e32 v43, v5
	s_waitcnt_depctr 0xfff
	v_fma_f32 v46, -v4, v42, 1.0
	v_fma_f32 v47, -v5, v43, 1.0
	s_delay_alu instid0(VALU_DEP_1) | instskip(SKIP_1) | instid1(VALU_DEP_2)
	v_dual_fmac_f32 v42, v46, v42 :: v_dual_fmac_f32 v43, v47, v43
	v_div_scale_f32 v46, s4, v11, v45, v11
	v_mul_f32_e32 v47, v48, v42
	s_delay_alu instid0(VALU_DEP_2) | instskip(NEXT) | instid1(VALU_DEP_2)
	v_mul_f32_e32 v49, v46, v43
	v_fma_f32 v50, -v4, v47, v48
	s_delay_alu instid0(VALU_DEP_2) | instskip(NEXT) | instid1(VALU_DEP_2)
	v_fma_f32 v51, -v5, v49, v46
	v_fmac_f32_e32 v47, v50, v42
	s_delay_alu instid0(VALU_DEP_2) | instskip(NEXT) | instid1(VALU_DEP_2)
	v_fmac_f32_e32 v49, v51, v43
	v_fma_f32 v4, -v4, v47, v48
	s_delay_alu instid0(VALU_DEP_2) | instskip(NEXT) | instid1(VALU_DEP_2)
	v_fma_f32 v5, -v5, v49, v46
	v_div_fmas_f32 v4, v4, v42, v47
	s_mov_b32 vcc_lo, s4
	s_delay_alu instid0(VALU_DEP_2) | instskip(NEXT) | instid1(VALU_DEP_2)
	v_div_fmas_f32 v5, v5, v43, v49
	v_div_fixup_f32 v4, v4, v44, v10
	s_delay_alu instid0(VALU_DEP_2)
	v_div_fixup_f32 v5, v5, v45, v11
.LBB92_54:                              ;   in Loop: Header=BB92_41 Depth=1
	s_or_b32 exec_lo, exec_lo, s18
                                        ; implicit-def: $vgpr42
                                        ; implicit-def: $vgpr43
                                        ; implicit-def: $vgpr10
.LBB92_55:                              ;   in Loop: Header=BB92_41 Depth=1
	s_and_not1_saveexec_b32 s4, s13
	s_cbranch_execz .LBB92_57
; %bb.56:                               ;   in Loop: Header=BB92_41 Depth=1
	v_div_scale_f32 v4, null, v42, v42, v43
	v_div_scale_f32 v45, vcc_lo, v43, v42, v43
	s_delay_alu instid0(VALU_DEP_2) | instskip(SKIP_2) | instid1(VALU_DEP_1)
	v_rcp_f32_e32 v5, v4
	s_waitcnt_depctr 0xfff
	v_fma_f32 v44, -v4, v5, 1.0
	v_fmac_f32_e32 v5, v44, v5
	s_delay_alu instid0(VALU_DEP_1) | instskip(NEXT) | instid1(VALU_DEP_1)
	v_mul_f32_e32 v44, v45, v5
	v_fma_f32 v46, -v4, v44, v45
	s_delay_alu instid0(VALU_DEP_1) | instskip(NEXT) | instid1(VALU_DEP_1)
	v_fmac_f32_e32 v44, v46, v5
	v_fma_f32 v4, -v4, v44, v45
	s_delay_alu instid0(VALU_DEP_1) | instskip(NEXT) | instid1(VALU_DEP_1)
	v_div_fmas_f32 v4, v4, v5, v44
	v_div_fixup_f32 v4, v4, v42, v43
	s_delay_alu instid0(VALU_DEP_1) | instskip(NEXT) | instid1(VALU_DEP_1)
	v_fmac_f32_e32 v42, v43, v4
	v_div_scale_f32 v5, null, v42, v42, 1.0
	v_div_scale_f32 v45, vcc_lo, 1.0, v42, 1.0
	s_delay_alu instid0(VALU_DEP_2) | instskip(SKIP_2) | instid1(VALU_DEP_1)
	v_rcp_f32_e32 v43, v5
	s_waitcnt_depctr 0xfff
	v_fma_f32 v44, -v5, v43, 1.0
	v_fmac_f32_e32 v43, v44, v43
	s_delay_alu instid0(VALU_DEP_1) | instskip(NEXT) | instid1(VALU_DEP_1)
	v_mul_f32_e32 v44, v45, v43
	v_fma_f32 v46, -v5, v44, v45
	s_delay_alu instid0(VALU_DEP_1) | instskip(NEXT) | instid1(VALU_DEP_1)
	v_fmac_f32_e32 v44, v46, v43
	v_fma_f32 v5, -v5, v44, v45
	s_delay_alu instid0(VALU_DEP_1) | instskip(SKIP_2) | instid1(VALU_DEP_3)
	v_div_fmas_f32 v5, v5, v43, v44
	v_fma_f32 v43, v10, v4, v11
	v_fma_f32 v10, v11, v4, -v10
	v_div_fixup_f32 v5, v5, v42, 1.0
	s_delay_alu instid0(VALU_DEP_1) | instskip(NEXT) | instid1(VALU_DEP_3)
	v_mul_f32_e32 v4, v43, v5
	v_mul_f32_e32 v5, v10, v5
.LBB92_57:                              ;   in Loop: Header=BB92_41 Depth=1
	s_or_b32 exec_lo, exec_lo, s4
	v_mul_f32_e32 v10, s11, v17
	v_mul_f32_e32 v42, s11, v16
                                        ; implicit-def: $vgpr11
	s_mov_b32 s4, exec_lo
	s_delay_alu instid0(VALU_DEP_2) | instskip(NEXT) | instid1(VALU_DEP_2)
	v_fma_f32 v16, v16, s10, -v10
	v_fmac_f32_e32 v42, s10, v17
	s_delay_alu instid0(VALU_DEP_2) | instskip(SKIP_1) | instid1(VALU_DEP_3)
	v_cmp_gt_f32_e32 vcc_lo, 0, v16
	v_cndmask_b32_e64 v17, v16, -v16, vcc_lo
	v_cmp_gt_f32_e32 vcc_lo, 0, v42
	v_cndmask_b32_e64 v43, v42, -v42, vcc_lo
	s_delay_alu instid0(VALU_DEP_1)
	v_cmpx_ge_f32_e32 v17, v43
	s_xor_b32 s13, exec_lo, s4
	s_cbranch_execz .LBB92_63
; %bb.58:                               ;   in Loop: Header=BB92_41 Depth=1
	v_cmp_neq_f32_e32 vcc_lo, 0, v16
	v_cmp_neq_f32_e64 s4, 0, v42
                                        ; implicit-def: $vgpr11
	s_delay_alu instid0(VALU_DEP_1) | instskip(NEXT) | instid1(SALU_CYCLE_1)
	s_or_b32 s4, vcc_lo, s4
	s_and_saveexec_b32 s18, s4
	s_delay_alu instid0(SALU_CYCLE_1)
	s_xor_b32 s4, exec_lo, s18
	s_cbranch_execz .LBB92_60
; %bb.59:                               ;   in Loop: Header=BB92_41 Depth=1
	v_div_scale_f32 v10, null, v16, v16, v42
	v_div_scale_f32 v43, vcc_lo, v42, v16, v42
	s_delay_alu instid0(VALU_DEP_2) | instskip(SKIP_2) | instid1(VALU_DEP_1)
	v_rcp_f32_e32 v11, v10
	s_waitcnt_depctr 0xfff
	v_fma_f32 v17, -v10, v11, 1.0
	v_fmac_f32_e32 v11, v17, v11
	s_delay_alu instid0(VALU_DEP_1) | instskip(NEXT) | instid1(VALU_DEP_1)
	v_mul_f32_e32 v17, v43, v11
	v_fma_f32 v44, -v10, v17, v43
	s_delay_alu instid0(VALU_DEP_1) | instskip(NEXT) | instid1(VALU_DEP_1)
	v_fmac_f32_e32 v17, v44, v11
	v_fma_f32 v10, -v10, v17, v43
	s_delay_alu instid0(VALU_DEP_1) | instskip(NEXT) | instid1(VALU_DEP_1)
	v_div_fmas_f32 v10, v10, v11, v17
	v_div_fixup_f32 v10, v10, v16, v42
	s_delay_alu instid0(VALU_DEP_1) | instskip(NEXT) | instid1(VALU_DEP_1)
	v_fmac_f32_e32 v16, v42, v10
	v_div_scale_f32 v11, null, v16, v16, 1.0
	v_div_scale_f32 v43, vcc_lo, 1.0, v16, 1.0
	s_delay_alu instid0(VALU_DEP_2) | instskip(SKIP_2) | instid1(VALU_DEP_1)
	v_rcp_f32_e32 v17, v11
	s_waitcnt_depctr 0xfff
	v_fma_f32 v42, -v11, v17, 1.0
	v_fmac_f32_e32 v17, v42, v17
	s_delay_alu instid0(VALU_DEP_1) | instskip(NEXT) | instid1(VALU_DEP_1)
	v_mul_f32_e32 v42, v43, v17
	v_fma_f32 v44, -v11, v42, v43
	s_delay_alu instid0(VALU_DEP_1) | instskip(NEXT) | instid1(VALU_DEP_1)
	v_fmac_f32_e32 v42, v44, v17
	v_fma_f32 v11, -v11, v42, v43
                                        ; implicit-def: $vgpr43
	s_delay_alu instid0(VALU_DEP_1) | instskip(SKIP_2) | instid1(VALU_DEP_3)
	v_div_fmas_f32 v11, v11, v17, v42
	v_fma_f32 v17, v13, v10, v12
	v_fma_f32 v12, -v12, v10, v13
	v_div_fixup_f32 v11, v11, v16, 1.0
	s_delay_alu instid0(VALU_DEP_1) | instskip(NEXT) | instid1(VALU_DEP_3)
	v_mul_f32_e32 v10, v17, v11
	v_mul_f32_e32 v11, v12, v11
                                        ; implicit-def: $vgpr17
                                        ; implicit-def: $vgpr12
.LBB92_60:                              ;   in Loop: Header=BB92_41 Depth=1
	s_and_not1_saveexec_b32 s18, s4
	s_cbranch_execz .LBB92_62
; %bb.61:                               ;   in Loop: Header=BB92_41 Depth=1
	v_div_scale_f32 v10, null, v17, v17, v12
	v_div_scale_f32 v11, null, v43, v43, v13
	v_div_scale_f32 v46, vcc_lo, v12, v17, v12
	s_delay_alu instid0(VALU_DEP_3) | instskip(NEXT) | instid1(VALU_DEP_2)
	v_rcp_f32_e32 v16, v10
	v_rcp_f32_e32 v42, v11
	s_waitcnt_depctr 0xfff
	v_fma_f32 v44, -v10, v16, 1.0
	v_fma_f32 v45, -v11, v42, 1.0
	s_delay_alu instid0(VALU_DEP_1) | instskip(NEXT) | instid1(VALU_DEP_3)
	v_fmac_f32_e32 v42, v45, v42
	v_fmac_f32_e32 v16, v44, v16
	v_div_scale_f32 v44, s4, v13, v43, v13
	s_delay_alu instid0(VALU_DEP_1) | instskip(NEXT) | instid1(VALU_DEP_1)
	v_mul_f32_e32 v47, v44, v42
	v_fma_f32 v49, -v11, v47, v44
	s_delay_alu instid0(VALU_DEP_1) | instskip(SKIP_1) | instid1(VALU_DEP_2)
	v_fmac_f32_e32 v47, v49, v42
	v_mul_f32_e32 v45, v46, v16
	v_fma_f32 v11, -v11, v47, v44
	s_delay_alu instid0(VALU_DEP_2) | instskip(NEXT) | instid1(VALU_DEP_1)
	v_fma_f32 v48, -v10, v45, v46
	v_fmac_f32_e32 v45, v48, v16
	s_delay_alu instid0(VALU_DEP_1) | instskip(NEXT) | instid1(VALU_DEP_1)
	v_fma_f32 v10, -v10, v45, v46
	v_div_fmas_f32 v10, v10, v16, v45
	s_mov_b32 vcc_lo, s4
	v_div_fmas_f32 v11, v11, v42, v47
	s_delay_alu instid0(VALU_DEP_2) | instskip(NEXT) | instid1(VALU_DEP_2)
	v_div_fixup_f32 v10, v10, v17, v12
	v_div_fixup_f32 v11, v11, v43, v13
.LBB92_62:                              ;   in Loop: Header=BB92_41 Depth=1
	s_or_b32 exec_lo, exec_lo, s18
                                        ; implicit-def: $vgpr42
                                        ; implicit-def: $vgpr16
                                        ; implicit-def: $vgpr12
.LBB92_63:                              ;   in Loop: Header=BB92_41 Depth=1
	s_and_not1_saveexec_b32 s4, s13
	s_cbranch_execz .LBB92_65
; %bb.64:                               ;   in Loop: Header=BB92_41 Depth=1
	v_div_scale_f32 v10, null, v42, v42, v16
	v_div_scale_f32 v43, vcc_lo, v16, v42, v16
	s_delay_alu instid0(VALU_DEP_2) | instskip(SKIP_2) | instid1(VALU_DEP_1)
	v_rcp_f32_e32 v11, v10
	s_waitcnt_depctr 0xfff
	v_fma_f32 v17, -v10, v11, 1.0
	v_fmac_f32_e32 v11, v17, v11
	s_delay_alu instid0(VALU_DEP_1) | instskip(NEXT) | instid1(VALU_DEP_1)
	v_mul_f32_e32 v17, v43, v11
	v_fma_f32 v44, -v10, v17, v43
	s_delay_alu instid0(VALU_DEP_1) | instskip(NEXT) | instid1(VALU_DEP_1)
	v_fmac_f32_e32 v17, v44, v11
	v_fma_f32 v10, -v10, v17, v43
	s_delay_alu instid0(VALU_DEP_1) | instskip(NEXT) | instid1(VALU_DEP_1)
	v_div_fmas_f32 v10, v10, v11, v17
	v_div_fixup_f32 v10, v10, v42, v16
	s_delay_alu instid0(VALU_DEP_1) | instskip(NEXT) | instid1(VALU_DEP_1)
	v_fmac_f32_e32 v42, v16, v10
	v_div_scale_f32 v11, null, v42, v42, 1.0
	v_div_scale_f32 v43, vcc_lo, 1.0, v42, 1.0
	s_delay_alu instid0(VALU_DEP_2) | instskip(SKIP_2) | instid1(VALU_DEP_1)
	v_rcp_f32_e32 v16, v11
	s_waitcnt_depctr 0xfff
	v_fma_f32 v17, -v11, v16, 1.0
	v_fmac_f32_e32 v16, v17, v16
	s_delay_alu instid0(VALU_DEP_1) | instskip(NEXT) | instid1(VALU_DEP_1)
	v_mul_f32_e32 v17, v43, v16
	v_fma_f32 v44, -v11, v17, v43
	s_delay_alu instid0(VALU_DEP_1) | instskip(NEXT) | instid1(VALU_DEP_1)
	v_fmac_f32_e32 v17, v44, v16
	v_fma_f32 v11, -v11, v17, v43
	s_delay_alu instid0(VALU_DEP_1) | instskip(SKIP_2) | instid1(VALU_DEP_3)
	v_div_fmas_f32 v11, v11, v16, v17
	v_fma_f32 v16, v12, v10, v13
	v_fma_f32 v12, v13, v10, -v12
	v_div_fixup_f32 v11, v11, v42, 1.0
	s_delay_alu instid0(VALU_DEP_1) | instskip(NEXT) | instid1(VALU_DEP_3)
	v_mul_f32_e32 v10, v16, v11
	v_mul_f32_e32 v11, v12, v11
.LBB92_65:                              ;   in Loop: Header=BB92_41 Depth=1
	s_or_b32 exec_lo, exec_lo, s4
	v_mul_f32_e32 v12, s11, v15
	v_mul_f32_e32 v16, s11, v14
                                        ; implicit-def: $vgpr13
	s_mov_b32 s4, exec_lo
	s_delay_alu instid0(VALU_DEP_2) | instskip(NEXT) | instid1(VALU_DEP_2)
	v_fma_f32 v14, v14, s10, -v12
	v_fmac_f32_e32 v16, s10, v15
	s_delay_alu instid0(VALU_DEP_2) | instskip(SKIP_1) | instid1(VALU_DEP_3)
	v_cmp_gt_f32_e32 vcc_lo, 0, v14
	v_cndmask_b32_e64 v15, v14, -v14, vcc_lo
	v_cmp_gt_f32_e32 vcc_lo, 0, v16
	v_cndmask_b32_e64 v17, v16, -v16, vcc_lo
	s_delay_alu instid0(VALU_DEP_1)
	v_cmpx_ge_f32_e32 v15, v17
	s_xor_b32 s13, exec_lo, s4
	s_cbranch_execz .LBB92_71
; %bb.66:                               ;   in Loop: Header=BB92_41 Depth=1
	v_cmp_neq_f32_e32 vcc_lo, 0, v14
	v_cmp_neq_f32_e64 s4, 0, v16
                                        ; implicit-def: $vgpr13
	s_delay_alu instid0(VALU_DEP_1) | instskip(NEXT) | instid1(SALU_CYCLE_1)
	s_or_b32 s4, vcc_lo, s4
	s_and_saveexec_b32 s18, s4
	s_delay_alu instid0(SALU_CYCLE_1)
	s_xor_b32 s4, exec_lo, s18
	s_cbranch_execz .LBB92_68
; %bb.67:                               ;   in Loop: Header=BB92_41 Depth=1
	v_div_scale_f32 v12, null, v14, v14, v16
	v_div_scale_f32 v17, vcc_lo, v16, v14, v16
	s_delay_alu instid0(VALU_DEP_2) | instskip(SKIP_2) | instid1(VALU_DEP_1)
	v_rcp_f32_e32 v13, v12
	s_waitcnt_depctr 0xfff
	v_fma_f32 v15, -v12, v13, 1.0
	v_fmac_f32_e32 v13, v15, v13
	s_delay_alu instid0(VALU_DEP_1) | instskip(NEXT) | instid1(VALU_DEP_1)
	v_mul_f32_e32 v15, v17, v13
	v_fma_f32 v42, -v12, v15, v17
	s_delay_alu instid0(VALU_DEP_1) | instskip(NEXT) | instid1(VALU_DEP_1)
	v_fmac_f32_e32 v15, v42, v13
	v_fma_f32 v12, -v12, v15, v17
	s_delay_alu instid0(VALU_DEP_1) | instskip(NEXT) | instid1(VALU_DEP_1)
	v_div_fmas_f32 v12, v12, v13, v15
	v_div_fixup_f32 v12, v12, v14, v16
	s_delay_alu instid0(VALU_DEP_1) | instskip(NEXT) | instid1(VALU_DEP_1)
	v_fmac_f32_e32 v14, v16, v12
	v_div_scale_f32 v13, null, v14, v14, 1.0
	v_div_scale_f32 v17, vcc_lo, 1.0, v14, 1.0
	s_delay_alu instid0(VALU_DEP_2) | instskip(SKIP_2) | instid1(VALU_DEP_1)
	v_rcp_f32_e32 v15, v13
	s_waitcnt_depctr 0xfff
	v_fma_f32 v16, -v13, v15, 1.0
	v_fmac_f32_e32 v15, v16, v15
	s_delay_alu instid0(VALU_DEP_1) | instskip(NEXT) | instid1(VALU_DEP_1)
	v_mul_f32_e32 v16, v17, v15
	v_fma_f32 v42, -v13, v16, v17
	s_delay_alu instid0(VALU_DEP_1) | instskip(NEXT) | instid1(VALU_DEP_1)
	v_fmac_f32_e32 v16, v42, v15
	v_fma_f32 v13, -v13, v16, v17
                                        ; implicit-def: $vgpr17
	s_delay_alu instid0(VALU_DEP_1) | instskip(SKIP_2) | instid1(VALU_DEP_3)
	v_div_fmas_f32 v13, v13, v15, v16
	v_fma_f32 v15, v7, v12, v6
	v_fma_f32 v6, -v6, v12, v7
	v_div_fixup_f32 v13, v13, v14, 1.0
	s_delay_alu instid0(VALU_DEP_1) | instskip(NEXT) | instid1(VALU_DEP_3)
	v_mul_f32_e32 v12, v15, v13
	v_mul_f32_e32 v13, v6, v13
                                        ; implicit-def: $vgpr15
                                        ; implicit-def: $vgpr6
.LBB92_68:                              ;   in Loop: Header=BB92_41 Depth=1
	s_and_not1_saveexec_b32 s18, s4
	s_cbranch_execz .LBB92_70
; %bb.69:                               ;   in Loop: Header=BB92_41 Depth=1
	v_div_scale_f32 v12, null, v15, v15, v6
	v_div_scale_f32 v13, null, v17, v17, v7
	v_div_scale_f32 v44, vcc_lo, v6, v15, v6
	s_delay_alu instid0(VALU_DEP_3) | instskip(NEXT) | instid1(VALU_DEP_2)
	v_rcp_f32_e32 v14, v12
	v_rcp_f32_e32 v16, v13
	s_waitcnt_depctr 0xfff
	v_fma_f32 v42, -v12, v14, 1.0
	v_fma_f32 v43, -v13, v16, 1.0
	s_delay_alu instid0(VALU_DEP_1) | instskip(NEXT) | instid1(VALU_DEP_3)
	v_fmac_f32_e32 v16, v43, v16
	v_fmac_f32_e32 v14, v42, v14
	v_div_scale_f32 v42, s4, v7, v17, v7
	s_delay_alu instid0(VALU_DEP_1) | instskip(NEXT) | instid1(VALU_DEP_1)
	v_mul_f32_e32 v45, v42, v16
	v_fma_f32 v47, -v13, v45, v42
	s_delay_alu instid0(VALU_DEP_1) | instskip(SKIP_1) | instid1(VALU_DEP_2)
	v_fmac_f32_e32 v45, v47, v16
	v_mul_f32_e32 v43, v44, v14
	v_fma_f32 v13, -v13, v45, v42
	s_delay_alu instid0(VALU_DEP_2) | instskip(NEXT) | instid1(VALU_DEP_1)
	v_fma_f32 v46, -v12, v43, v44
	v_fmac_f32_e32 v43, v46, v14
	s_delay_alu instid0(VALU_DEP_1) | instskip(NEXT) | instid1(VALU_DEP_1)
	v_fma_f32 v12, -v12, v43, v44
	v_div_fmas_f32 v12, v12, v14, v43
	s_mov_b32 vcc_lo, s4
	v_div_fmas_f32 v13, v13, v16, v45
	s_delay_alu instid0(VALU_DEP_2) | instskip(NEXT) | instid1(VALU_DEP_2)
	v_div_fixup_f32 v12, v12, v15, v6
	v_div_fixup_f32 v13, v13, v17, v7
.LBB92_70:                              ;   in Loop: Header=BB92_41 Depth=1
	s_or_b32 exec_lo, exec_lo, s18
                                        ; implicit-def: $vgpr16
                                        ; implicit-def: $vgpr14
                                        ; implicit-def: $vgpr6
.LBB92_71:                              ;   in Loop: Header=BB92_41 Depth=1
	s_and_not1_saveexec_b32 s4, s13
	s_cbranch_execz .LBB92_73
; %bb.72:                               ;   in Loop: Header=BB92_41 Depth=1
	v_div_scale_f32 v12, null, v16, v16, v14
	v_div_scale_f32 v17, vcc_lo, v14, v16, v14
	s_delay_alu instid0(VALU_DEP_2) | instskip(SKIP_2) | instid1(VALU_DEP_1)
	v_rcp_f32_e32 v13, v12
	s_waitcnt_depctr 0xfff
	v_fma_f32 v15, -v12, v13, 1.0
	v_fmac_f32_e32 v13, v15, v13
	s_delay_alu instid0(VALU_DEP_1) | instskip(NEXT) | instid1(VALU_DEP_1)
	v_mul_f32_e32 v15, v17, v13
	v_fma_f32 v42, -v12, v15, v17
	s_delay_alu instid0(VALU_DEP_1) | instskip(NEXT) | instid1(VALU_DEP_1)
	v_fmac_f32_e32 v15, v42, v13
	v_fma_f32 v12, -v12, v15, v17
	s_delay_alu instid0(VALU_DEP_1) | instskip(NEXT) | instid1(VALU_DEP_1)
	v_div_fmas_f32 v12, v12, v13, v15
	v_div_fixup_f32 v12, v12, v16, v14
	s_delay_alu instid0(VALU_DEP_1) | instskip(NEXT) | instid1(VALU_DEP_1)
	v_fmac_f32_e32 v16, v14, v12
	v_div_scale_f32 v13, null, v16, v16, 1.0
	v_div_scale_f32 v17, vcc_lo, 1.0, v16, 1.0
	s_delay_alu instid0(VALU_DEP_2) | instskip(SKIP_2) | instid1(VALU_DEP_1)
	v_rcp_f32_e32 v14, v13
	s_waitcnt_depctr 0xfff
	v_fma_f32 v15, -v13, v14, 1.0
	v_fmac_f32_e32 v14, v15, v14
	s_delay_alu instid0(VALU_DEP_1) | instskip(NEXT) | instid1(VALU_DEP_1)
	v_mul_f32_e32 v15, v17, v14
	v_fma_f32 v42, -v13, v15, v17
	s_delay_alu instid0(VALU_DEP_1) | instskip(NEXT) | instid1(VALU_DEP_1)
	v_fmac_f32_e32 v15, v42, v14
	v_fma_f32 v13, -v13, v15, v17
	s_delay_alu instid0(VALU_DEP_1) | instskip(SKIP_2) | instid1(VALU_DEP_3)
	v_div_fmas_f32 v13, v13, v14, v15
	v_fma_f32 v14, v6, v12, v7
	v_fma_f32 v6, v7, v12, -v6
	v_div_fixup_f32 v13, v13, v16, 1.0
	s_delay_alu instid0(VALU_DEP_1) | instskip(NEXT) | instid1(VALU_DEP_3)
	v_mul_f32_e32 v12, v14, v13
	v_mul_f32_e32 v13, v6, v13
.LBB92_73:                              ;   in Loop: Header=BB92_41 Depth=1
	s_or_b32 exec_lo, exec_lo, s4
	v_mul_f32_e32 v6, s11, v9
	v_mul_f32_e32 v14, s11, v8
                                        ; implicit-def: $vgpr7
	s_mov_b32 s4, exec_lo
	s_delay_alu instid0(VALU_DEP_2) | instskip(NEXT) | instid1(VALU_DEP_2)
	v_fma_f32 v8, v8, s10, -v6
	v_fmac_f32_e32 v14, s10, v9
	s_delay_alu instid0(VALU_DEP_2) | instskip(SKIP_1) | instid1(VALU_DEP_3)
	v_cmp_gt_f32_e32 vcc_lo, 0, v8
	v_cndmask_b32_e64 v9, v8, -v8, vcc_lo
	v_cmp_gt_f32_e32 vcc_lo, 0, v14
	v_cndmask_b32_e64 v15, v14, -v14, vcc_lo
	s_delay_alu instid0(VALU_DEP_1)
	v_cmpx_ge_f32_e32 v9, v15
	s_xor_b32 s13, exec_lo, s4
	s_cbranch_execnz .LBB92_79
; %bb.74:                               ;   in Loop: Header=BB92_41 Depth=1
	s_and_not1_saveexec_b32 s4, s13
	s_cbranch_execnz .LBB92_84
.LBB92_75:                              ;   in Loop: Header=BB92_41 Depth=1
	s_or_b32 exec_lo, exec_lo, s4
	s_and_saveexec_b32 s4, s0
	s_delay_alu instid0(SALU_CYCLE_1)
	s_xor_b32 s0, exec_lo, s4
	s_cbranch_execnz .LBB92_85
.LBB92_76:                              ;   in Loop: Header=BB92_41 Depth=1
	s_or_b32 exec_lo, exec_lo, s0
	s_and_saveexec_b32 s0, s1
	s_cbranch_execnz .LBB92_86
.LBB92_77:                              ;   in Loop: Header=BB92_41 Depth=1
	s_or_b32 exec_lo, exec_lo, s0
	s_and_saveexec_b32 s0, s2
	s_cbranch_execnz .LBB92_87
.LBB92_78:                              ;   in Loop: Header=BB92_41 Depth=1
	s_or_b32 exec_lo, exec_lo, s0
	s_and_saveexec_b32 s0, s3
	s_cbranch_execz .LBB92_40
	s_branch .LBB92_88
.LBB92_79:                              ;   in Loop: Header=BB92_41 Depth=1
	v_cmp_neq_f32_e32 vcc_lo, 0, v8
	v_cmp_neq_f32_e64 s4, 0, v14
                                        ; implicit-def: $vgpr7
	s_delay_alu instid0(VALU_DEP_1) | instskip(NEXT) | instid1(SALU_CYCLE_1)
	s_or_b32 s4, vcc_lo, s4
	s_and_saveexec_b32 s18, s4
	s_delay_alu instid0(SALU_CYCLE_1)
	s_xor_b32 s4, exec_lo, s18
	s_cbranch_execz .LBB92_81
; %bb.80:                               ;   in Loop: Header=BB92_41 Depth=1
	v_div_scale_f32 v6, null, v8, v8, v14
	v_div_scale_f32 v15, vcc_lo, v14, v8, v14
	s_delay_alu instid0(VALU_DEP_2) | instskip(SKIP_2) | instid1(VALU_DEP_1)
	v_rcp_f32_e32 v7, v6
	s_waitcnt_depctr 0xfff
	v_fma_f32 v9, -v6, v7, 1.0
	v_fmac_f32_e32 v7, v9, v7
	s_delay_alu instid0(VALU_DEP_1) | instskip(NEXT) | instid1(VALU_DEP_1)
	v_mul_f32_e32 v9, v15, v7
	v_fma_f32 v16, -v6, v9, v15
	s_delay_alu instid0(VALU_DEP_1) | instskip(NEXT) | instid1(VALU_DEP_1)
	v_fmac_f32_e32 v9, v16, v7
	v_fma_f32 v6, -v6, v9, v15
	s_delay_alu instid0(VALU_DEP_1) | instskip(NEXT) | instid1(VALU_DEP_1)
	v_div_fmas_f32 v6, v6, v7, v9
	v_div_fixup_f32 v6, v6, v8, v14
	s_delay_alu instid0(VALU_DEP_1) | instskip(NEXT) | instid1(VALU_DEP_1)
	v_fmac_f32_e32 v8, v14, v6
	v_div_scale_f32 v7, null, v8, v8, 1.0
	v_div_scale_f32 v15, vcc_lo, 1.0, v8, 1.0
	s_delay_alu instid0(VALU_DEP_2) | instskip(SKIP_2) | instid1(VALU_DEP_1)
	v_rcp_f32_e32 v9, v7
	s_waitcnt_depctr 0xfff
	v_fma_f32 v14, -v7, v9, 1.0
	v_fmac_f32_e32 v9, v14, v9
	s_delay_alu instid0(VALU_DEP_1) | instskip(NEXT) | instid1(VALU_DEP_1)
	v_mul_f32_e32 v14, v15, v9
	v_fma_f32 v16, -v7, v14, v15
	s_delay_alu instid0(VALU_DEP_1) | instskip(NEXT) | instid1(VALU_DEP_1)
	v_fmac_f32_e32 v14, v16, v9
	v_fma_f32 v7, -v7, v14, v15
                                        ; implicit-def: $vgpr15
	s_delay_alu instid0(VALU_DEP_1) | instskip(SKIP_2) | instid1(VALU_DEP_3)
	v_div_fmas_f32 v7, v7, v9, v14
	v_fma_f32 v9, v3, v6, v2
	v_fma_f32 v2, -v2, v6, v3
	v_div_fixup_f32 v7, v7, v8, 1.0
	s_delay_alu instid0(VALU_DEP_1) | instskip(NEXT) | instid1(VALU_DEP_3)
	v_mul_f32_e32 v6, v9, v7
	v_mul_f32_e32 v7, v2, v7
                                        ; implicit-def: $vgpr9
                                        ; implicit-def: $vgpr2
.LBB92_81:                              ;   in Loop: Header=BB92_41 Depth=1
	s_and_not1_saveexec_b32 s18, s4
	s_cbranch_execz .LBB92_83
; %bb.82:                               ;   in Loop: Header=BB92_41 Depth=1
	v_div_scale_f32 v6, null, v9, v9, v2
	v_div_scale_f32 v7, null, v15, v15, v3
	v_div_scale_f32 v42, vcc_lo, v2, v9, v2
	s_delay_alu instid0(VALU_DEP_3) | instskip(NEXT) | instid1(VALU_DEP_2)
	v_rcp_f32_e32 v8, v6
	v_rcp_f32_e32 v14, v7
	s_waitcnt_depctr 0xfff
	v_fma_f32 v16, -v6, v8, 1.0
	v_fma_f32 v17, -v7, v14, 1.0
	s_delay_alu instid0(VALU_DEP_1) | instskip(NEXT) | instid1(VALU_DEP_3)
	v_fmac_f32_e32 v14, v17, v14
	v_fmac_f32_e32 v8, v16, v8
	v_div_scale_f32 v16, s4, v3, v15, v3
	s_delay_alu instid0(VALU_DEP_1) | instskip(NEXT) | instid1(VALU_DEP_1)
	v_mul_f32_e32 v43, v16, v14
	v_fma_f32 v45, -v7, v43, v16
	s_delay_alu instid0(VALU_DEP_1) | instskip(SKIP_1) | instid1(VALU_DEP_2)
	v_fmac_f32_e32 v43, v45, v14
	v_mul_f32_e32 v17, v42, v8
	v_fma_f32 v7, -v7, v43, v16
	s_delay_alu instid0(VALU_DEP_2) | instskip(NEXT) | instid1(VALU_DEP_1)
	v_fma_f32 v44, -v6, v17, v42
	v_fmac_f32_e32 v17, v44, v8
	s_delay_alu instid0(VALU_DEP_1) | instskip(NEXT) | instid1(VALU_DEP_1)
	v_fma_f32 v6, -v6, v17, v42
	v_div_fmas_f32 v6, v6, v8, v17
	s_mov_b32 vcc_lo, s4
	v_div_fmas_f32 v7, v7, v14, v43
	s_delay_alu instid0(VALU_DEP_2) | instskip(NEXT) | instid1(VALU_DEP_2)
	v_div_fixup_f32 v6, v6, v9, v2
	v_div_fixup_f32 v7, v7, v15, v3
.LBB92_83:                              ;   in Loop: Header=BB92_41 Depth=1
	s_or_b32 exec_lo, exec_lo, s18
                                        ; implicit-def: $vgpr14
                                        ; implicit-def: $vgpr8
                                        ; implicit-def: $vgpr2
	s_and_not1_saveexec_b32 s4, s13
	s_cbranch_execz .LBB92_75
.LBB92_84:                              ;   in Loop: Header=BB92_41 Depth=1
	v_div_scale_f32 v6, null, v14, v14, v8
	v_div_scale_f32 v15, vcc_lo, v8, v14, v8
	s_delay_alu instid0(VALU_DEP_2) | instskip(SKIP_2) | instid1(VALU_DEP_1)
	v_rcp_f32_e32 v7, v6
	s_waitcnt_depctr 0xfff
	v_fma_f32 v9, -v6, v7, 1.0
	v_fmac_f32_e32 v7, v9, v7
	s_delay_alu instid0(VALU_DEP_1) | instskip(NEXT) | instid1(VALU_DEP_1)
	v_mul_f32_e32 v9, v15, v7
	v_fma_f32 v16, -v6, v9, v15
	s_delay_alu instid0(VALU_DEP_1) | instskip(NEXT) | instid1(VALU_DEP_1)
	v_fmac_f32_e32 v9, v16, v7
	v_fma_f32 v6, -v6, v9, v15
	s_delay_alu instid0(VALU_DEP_1) | instskip(NEXT) | instid1(VALU_DEP_1)
	v_div_fmas_f32 v6, v6, v7, v9
	v_div_fixup_f32 v6, v6, v14, v8
	s_delay_alu instid0(VALU_DEP_1) | instskip(NEXT) | instid1(VALU_DEP_1)
	v_fmac_f32_e32 v14, v8, v6
	v_div_scale_f32 v7, null, v14, v14, 1.0
	v_div_scale_f32 v15, vcc_lo, 1.0, v14, 1.0
	s_delay_alu instid0(VALU_DEP_2) | instskip(SKIP_2) | instid1(VALU_DEP_1)
	v_rcp_f32_e32 v8, v7
	s_waitcnt_depctr 0xfff
	v_fma_f32 v9, -v7, v8, 1.0
	v_fmac_f32_e32 v8, v9, v8
	s_delay_alu instid0(VALU_DEP_1) | instskip(NEXT) | instid1(VALU_DEP_1)
	v_mul_f32_e32 v9, v15, v8
	v_fma_f32 v16, -v7, v9, v15
	s_delay_alu instid0(VALU_DEP_1) | instskip(NEXT) | instid1(VALU_DEP_1)
	v_fmac_f32_e32 v9, v16, v8
	v_fma_f32 v7, -v7, v9, v15
	s_delay_alu instid0(VALU_DEP_1) | instskip(SKIP_2) | instid1(VALU_DEP_3)
	v_div_fmas_f32 v7, v7, v8, v9
	v_fma_f32 v8, v2, v6, v3
	v_fma_f32 v2, v3, v6, -v2
	v_div_fixup_f32 v7, v7, v14, 1.0
	s_delay_alu instid0(VALU_DEP_1) | instskip(NEXT) | instid1(VALU_DEP_3)
	v_mul_f32_e32 v6, v8, v7
	v_mul_f32_e32 v7, v2, v7
	s_or_b32 exec_lo, exec_lo, s4
	s_and_saveexec_b32 s4, s0
	s_delay_alu instid0(SALU_CYCLE_1)
	s_xor_b32 s0, exec_lo, s4
	s_cbranch_execz .LBB92_76
.LBB92_85:                              ;   in Loop: Header=BB92_41 Depth=1
	v_add_co_u32 v2, vcc_lo, v24, s6
	v_add_co_ci_u32_e32 v3, vcc_lo, s7, v25, vcc_lo
	global_store_b64 v[2:3], v[4:5], off offset:-4
	s_or_b32 exec_lo, exec_lo, s0
	s_and_saveexec_b32 s0, s1
	s_cbranch_execz .LBB92_77
.LBB92_86:                              ;   in Loop: Header=BB92_41 Depth=1
	v_add_co_u32 v2, vcc_lo, v22, s6
	v_add_co_ci_u32_e32 v3, vcc_lo, s7, v23, vcc_lo
	global_store_b64 v[2:3], v[10:11], off
	s_or_b32 exec_lo, exec_lo, s0
	s_and_saveexec_b32 s0, s2
	s_cbranch_execz .LBB92_78
.LBB92_87:                              ;   in Loop: Header=BB92_41 Depth=1
	v_add_co_u32 v2, vcc_lo, v36, s6
	v_add_co_ci_u32_e32 v3, vcc_lo, s7, v37, vcc_lo
	global_store_b64 v[2:3], v[12:13], off
	s_or_b32 exec_lo, exec_lo, s0
	s_and_saveexec_b32 s0, s3
	s_cbranch_execz .LBB92_40
.LBB92_88:                              ;   in Loop: Header=BB92_41 Depth=1
	v_add_co_u32 v2, vcc_lo, v34, s6
	v_add_co_ci_u32_e32 v3, vcc_lo, s7, v35, vcc_lo
	global_store_b64 v[2:3], v[6:7], off offset:-4
	s_branch .LBB92_40
.LBB92_89:
	s_nop 0
	s_sendmsg sendmsg(MSG_DEALLOC_VGPRS)
	s_endpgm
	.section	.rodata,"a",@progbits
	.p2align	6, 0x0
	.amdhsa_kernel _ZN2at6native12_GLOBAL__N_125multi_tensor_apply_kernelINS1_18TensorListMetadataILi3EEENS1_24BinaryOpListAlphaFunctorIN3c107complexIfEELi3ELi2ELi2EEEJSt7dividesIS8_ES8_EEEvT_T0_DpT1_
		.amdhsa_group_segment_fixed_size 0
		.amdhsa_private_segment_fixed_size 0
		.amdhsa_kernarg_size 3416
		.amdhsa_user_sgpr_count 15
		.amdhsa_user_sgpr_dispatch_ptr 0
		.amdhsa_user_sgpr_queue_ptr 0
		.amdhsa_user_sgpr_kernarg_segment_ptr 1
		.amdhsa_user_sgpr_dispatch_id 0
		.amdhsa_user_sgpr_private_segment_size 0
		.amdhsa_wavefront_size32 1
		.amdhsa_uses_dynamic_stack 0
		.amdhsa_enable_private_segment 0
		.amdhsa_system_sgpr_workgroup_id_x 1
		.amdhsa_system_sgpr_workgroup_id_y 0
		.amdhsa_system_sgpr_workgroup_id_z 0
		.amdhsa_system_sgpr_workgroup_info 0
		.amdhsa_system_vgpr_workitem_id 0
		.amdhsa_next_free_vgpr 52
		.amdhsa_next_free_sgpr 27
		.amdhsa_reserve_vcc 1
		.amdhsa_float_round_mode_32 0
		.amdhsa_float_round_mode_16_64 0
		.amdhsa_float_denorm_mode_32 3
		.amdhsa_float_denorm_mode_16_64 3
		.amdhsa_dx10_clamp 1
		.amdhsa_ieee_mode 1
		.amdhsa_fp16_overflow 0
		.amdhsa_workgroup_processor_mode 1
		.amdhsa_memory_ordered 1
		.amdhsa_forward_progress 0
		.amdhsa_shared_vgpr_count 0
		.amdhsa_exception_fp_ieee_invalid_op 0
		.amdhsa_exception_fp_denorm_src 0
		.amdhsa_exception_fp_ieee_div_zero 0
		.amdhsa_exception_fp_ieee_overflow 0
		.amdhsa_exception_fp_ieee_underflow 0
		.amdhsa_exception_fp_ieee_inexact 0
		.amdhsa_exception_int_div_zero 0
	.end_amdhsa_kernel
	.section	.text._ZN2at6native12_GLOBAL__N_125multi_tensor_apply_kernelINS1_18TensorListMetadataILi3EEENS1_24BinaryOpListAlphaFunctorIN3c107complexIfEELi3ELi2ELi2EEEJSt7dividesIS8_ES8_EEEvT_T0_DpT1_,"axG",@progbits,_ZN2at6native12_GLOBAL__N_125multi_tensor_apply_kernelINS1_18TensorListMetadataILi3EEENS1_24BinaryOpListAlphaFunctorIN3c107complexIfEELi3ELi2ELi2EEEJSt7dividesIS8_ES8_EEEvT_T0_DpT1_,comdat
.Lfunc_end92:
	.size	_ZN2at6native12_GLOBAL__N_125multi_tensor_apply_kernelINS1_18TensorListMetadataILi3EEENS1_24BinaryOpListAlphaFunctorIN3c107complexIfEELi3ELi2ELi2EEEJSt7dividesIS8_ES8_EEEvT_T0_DpT1_, .Lfunc_end92-_ZN2at6native12_GLOBAL__N_125multi_tensor_apply_kernelINS1_18TensorListMetadataILi3EEENS1_24BinaryOpListAlphaFunctorIN3c107complexIfEELi3ELi2ELi2EEEJSt7dividesIS8_ES8_EEEvT_T0_DpT1_
                                        ; -- End function
	.section	.AMDGPU.csdata,"",@progbits
; Kernel info:
; codeLenInByte = 7688
; NumSgprs: 29
; NumVgprs: 52
; ScratchSize: 0
; MemoryBound: 1
; FloatMode: 240
; IeeeMode: 1
; LDSByteSize: 0 bytes/workgroup (compile time only)
; SGPRBlocks: 3
; VGPRBlocks: 6
; NumSGPRsForWavesPerEU: 29
; NumVGPRsForWavesPerEU: 52
; Occupancy: 16
; WaveLimiterHint : 0
; COMPUTE_PGM_RSRC2:SCRATCH_EN: 0
; COMPUTE_PGM_RSRC2:USER_SGPR: 15
; COMPUTE_PGM_RSRC2:TRAP_HANDLER: 0
; COMPUTE_PGM_RSRC2:TGID_X_EN: 1
; COMPUTE_PGM_RSRC2:TGID_Y_EN: 0
; COMPUTE_PGM_RSRC2:TGID_Z_EN: 0
; COMPUTE_PGM_RSRC2:TIDIG_COMP_CNT: 0
	.section	.text._ZN2at6native12_GLOBAL__N_125multi_tensor_apply_kernelINS1_18TensorListMetadataILi3EEENS1_24BinaryOpListAlphaFunctorIbLi3ELi2ELi2EEEJSt7dividesIbEbEEEvT_T0_DpT1_,"axG",@progbits,_ZN2at6native12_GLOBAL__N_125multi_tensor_apply_kernelINS1_18TensorListMetadataILi3EEENS1_24BinaryOpListAlphaFunctorIbLi3ELi2ELi2EEEJSt7dividesIbEbEEEvT_T0_DpT1_,comdat
	.globl	_ZN2at6native12_GLOBAL__N_125multi_tensor_apply_kernelINS1_18TensorListMetadataILi3EEENS1_24BinaryOpListAlphaFunctorIbLi3ELi2ELi2EEEJSt7dividesIbEbEEEvT_T0_DpT1_ ; -- Begin function _ZN2at6native12_GLOBAL__N_125multi_tensor_apply_kernelINS1_18TensorListMetadataILi3EEENS1_24BinaryOpListAlphaFunctorIbLi3ELi2ELi2EEEJSt7dividesIbEbEEEvT_T0_DpT1_
	.p2align	8
	.type	_ZN2at6native12_GLOBAL__N_125multi_tensor_apply_kernelINS1_18TensorListMetadataILi3EEENS1_24BinaryOpListAlphaFunctorIbLi3ELi2ELi2EEEJSt7dividesIbEbEEEvT_T0_DpT1_,@function
_ZN2at6native12_GLOBAL__N_125multi_tensor_apply_kernelINS1_18TensorListMetadataILi3EEENS1_24BinaryOpListAlphaFunctorIbLi3ELi2ELi2EEEJSt7dividesIbEbEEEvT_T0_DpT1_: ; @_ZN2at6native12_GLOBAL__N_125multi_tensor_apply_kernelINS1_18TensorListMetadataILi3EEENS1_24BinaryOpListAlphaFunctorIbLi3ELi2ELi2EEEJSt7dividesIbEbEEEvT_T0_DpT1_
; %bb.0:
	v_mov_b32_e32 v1, s15
	s_add_u32 s2, s0, s15
	s_mul_hi_u32 s3, s15, 3
	s_mul_i32 s15, s15, 3
	s_addc_u32 s4, s1, 0
	global_load_u8 v1, v1, s[0:1] offset:1536
	s_add_u32 s2, s2, s15
	s_addc_u32 s3, s4, s3
	s_load_b32 s2, s[2:3], 0x740
	s_waitcnt vmcnt(0)
	v_readfirstlane_b32 s3, v1
	s_delay_alu instid0(VALU_DEP_1)
	s_lshl_b32 s3, s3, 3
	s_clause 0x3
	s_load_b64 s[8:9], s[0:1], s3 offset:0x0
	s_load_b64 s[4:5], s[0:1], s3 offset:0x180
	;; [unrolled: 1-line block ×4, first 2 shown]
	s_waitcnt lgkmcnt(0)
	s_ashr_i32 s3, s2, 31
	s_delay_alu instid0(SALU_CYCLE_1) | instskip(NEXT) | instid1(SALU_CYCLE_1)
	s_lshl_b64 s[12:13], s[2:3], 16
	s_add_u32 s6, s8, s12
	s_addc_u32 s7, s9, s13
	s_add_u32 s2, s4, s12
	s_add_u32 s3, s10, s12
	s_addc_u32 s14, s11, s13
	s_or_b32 s2, s3, s2
	s_delay_alu instid0(SALU_CYCLE_1) | instskip(NEXT) | instid1(SALU_CYCLE_1)
	s_and_b32 s2, s2, 3
	s_cmp_lg_u32 s2, 0
	s_cselect_b32 s2, -1, 0
	s_sub_u32 s4, s16, s12
	s_subb_u32 s5, s17, s13
	s_or_b64 s[16:17], s[16:17], s[6:7]
	s_mov_b32 s17, 0
	s_and_b32 s16, s16, 3
	s_delay_alu instid0(SALU_CYCLE_1) | instskip(SKIP_1) | instid1(SALU_CYCLE_1)
	s_cmp_lg_u64 s[16:17], 0
	s_cselect_b32 s15, -1, 0
	s_or_b32 s2, s2, s15
	s_delay_alu instid0(SALU_CYCLE_1)
	s_and_not1_b32 vcc_lo, exec_lo, s2
	s_mov_b32 s2, -1
	s_cbranch_vccz .LBB93_5
; %bb.1:
	v_dual_mov_b32 v2, 0 :: v_dual_lshlrev_b32 v1, 2, v0
	s_mov_b32 s15, exec_lo
	s_delay_alu instid0(VALU_DEP_1)
	v_cmpx_gt_i64_e64 s[4:5], v[1:2]
	s_cbranch_execz .LBB93_4
; %bb.2:
	s_load_b32 s2, s[0:1], 0xc5c
	s_waitcnt lgkmcnt(0)
	s_and_b32 s2, s2, 0xffff
	s_delay_alu instid0(SALU_CYCLE_1)
	s_lshl_b32 s16, s2, 2
	.p2align	6
.LBB93_3:                               ; =>This Inner Loop Header: Depth=1
	v_add_co_u32 v3, vcc_lo, s6, v1
	v_add_co_ci_u32_e32 v4, vcc_lo, s7, v2, vcc_lo
	global_load_b32 v5, v[3:4], off
	v_add_co_u32 v3, vcc_lo, s3, v1
	v_add_co_ci_u32_e32 v4, vcc_lo, s14, v2, vcc_lo
	v_add_co_u32 v1, vcc_lo, s16, v1
	v_add_co_ci_u32_e32 v2, vcc_lo, 0, v2, vcc_lo
	s_delay_alu instid0(VALU_DEP_1) | instskip(SKIP_1) | instid1(VALU_DEP_1)
	v_cmp_le_i64_e32 vcc_lo, s[4:5], v[1:2]
	v_cmp_lt_u64_e64 s2, 0xffff, v[1:2]
	s_or_b32 s2, vcc_lo, s2
	s_delay_alu instid0(SALU_CYCLE_1) | instskip(NEXT) | instid1(SALU_CYCLE_1)
	s_and_b32 s2, exec_lo, s2
	s_or_b32 s17, s2, s17
	s_waitcnt vmcnt(0)
	global_store_b32 v[3:4], v5, off
	s_and_not1_b32 exec_lo, exec_lo, s17
	s_cbranch_execnz .LBB93_3
.LBB93_4:
	s_or_b32 exec_lo, exec_lo, s15
	s_mov_b32 s2, 0
.LBB93_5:
	s_delay_alu instid0(SALU_CYCLE_1)
	s_and_not1_b32 vcc_lo, exec_lo, s2
	s_cbranch_vccnz .LBB93_25
; %bb.6:
	v_cmp_lt_i64_e64 s2, s[4:5], 1
	s_delay_alu instid0(VALU_DEP_1)
	s_and_b32 vcc_lo, exec_lo, s2
	s_cbranch_vccnz .LBB93_25
; %bb.7:
	s_load_b32 s0, s[0:1], 0xc5c
	v_add_co_u32 v15, s1, s12, v0
	s_delay_alu instid0(VALU_DEP_1) | instskip(SKIP_1) | instid1(VALU_DEP_3)
	v_add_co_ci_u32_e64 v16, null, s13, 0, s1
	v_cmp_gt_u64_e64 s1, 0x10000, s[4:5]
	v_add_co_u32 v1, vcc_lo, s8, v15
	s_delay_alu instid0(VALU_DEP_3)
	v_add_co_ci_u32_e32 v2, vcc_lo, s9, v16, vcc_lo
	v_add_co_u32 v3, vcc_lo, s10, v15
	v_add_co_ci_u32_e32 v4, vcc_lo, s11, v16, vcc_lo
	s_waitcnt lgkmcnt(0)
	s_and_b32 s0, s0, 0xffff
	s_and_b32 s1, s1, exec_lo
	s_mul_i32 s2, s0, 3
	s_cselect_b32 s7, s5, 0
	s_cselect_b32 s6, s4, 0x10000
	s_lshl_b32 s1, s0, 1
	s_lshl_b32 s14, s0, 2
	s_add_u32 s3, s12, s2
	s_addc_u32 s15, s13, 0
	v_add_co_u32 v7, s3, s3, v0
	s_delay_alu instid0(VALU_DEP_1) | instskip(SKIP_1) | instid1(VALU_DEP_2)
	v_add_co_ci_u32_e64 v8, null, s15, 0, s3
	s_add_u32 s3, s12, s1
	v_add_co_u32 v5, vcc_lo, s8, v7
	s_addc_u32 s12, s13, 0
	v_add_co_u32 v13, s3, s3, v0
	v_add_co_ci_u32_e32 v6, vcc_lo, s9, v8, vcc_lo
	v_add_co_u32 v7, vcc_lo, s10, v7
	v_add_co_ci_u32_e64 v14, null, s12, 0, s3
	v_add_co_ci_u32_e32 v8, vcc_lo, s11, v8, vcc_lo
	v_add_co_u32 v11, vcc_lo, s8, v13
	s_delay_alu instid0(VALU_DEP_3)
	v_add_co_ci_u32_e32 v12, vcc_lo, s9, v14, vcc_lo
	v_add_co_u32 v13, vcc_lo, s10, v13
	v_add_co_ci_u32_e32 v14, vcc_lo, s11, v14, vcc_lo
	v_add_co_u32 v19, vcc_lo, v15, s0
	v_add_co_ci_u32_e32 v20, vcc_lo, 0, v16, vcc_lo
	v_add_co_u32 v9, s2, s2, v0
	s_delay_alu instid0(VALU_DEP_3) | instskip(NEXT) | instid1(VALU_DEP_3)
	v_add_co_u32 v17, vcc_lo, s8, v19
	v_add_co_ci_u32_e32 v18, vcc_lo, s9, v20, vcc_lo
	v_add_co_u32 v15, s1, s1, v0
	v_add_co_u32 v19, vcc_lo, s10, v19
	v_add_co_u32 v21, s0, v0, s0
	v_add_co_ci_u32_e64 v10, null, 0, 0, s2
	v_add_co_ci_u32_e64 v16, null, 0, 0, s1
	v_add_co_ci_u32_e32 v20, vcc_lo, s11, v20, vcc_lo
	v_add_co_ci_u32_e64 v22, null, 0, 0, s0
	s_mov_b64 s[8:9], 0
	s_branch .LBB93_9
.LBB93_8:                               ;   in Loop: Header=BB93_9 Depth=1
	s_or_b32 exec_lo, exec_lo, s0
	s_add_u32 s8, s8, s14
	s_addc_u32 s9, s9, 0
	s_delay_alu instid0(SALU_CYCLE_1) | instskip(SKIP_1) | instid1(VALU_DEP_1)
	v_cmp_ge_i64_e64 s0, s[8:9], s[4:5]
	v_cmp_lt_u64_e64 s1, 0xffff, s[8:9]
	s_or_b32 s0, s0, s1
	s_delay_alu instid0(SALU_CYCLE_1)
	s_and_b32 vcc_lo, exec_lo, s0
	s_cbranch_vccnz .LBB93_25
.LBB93_9:                               ; =>This Inner Loop Header: Depth=1
	s_waitcnt vmcnt(0)
	v_add_co_u32 v23, s0, v0, s8
	s_delay_alu instid0(VALU_DEP_1) | instskip(NEXT) | instid1(VALU_DEP_1)
	v_add_co_ci_u32_e64 v24, null, 0, s9, s0
	v_cmp_gt_u64_e32 vcc_lo, s[6:7], v[23:24]
	v_mov_b32_e32 v23, 0
	s_and_saveexec_b32 s1, vcc_lo
	s_cbranch_execz .LBB93_11
; %bb.10:                               ;   in Loop: Header=BB93_9 Depth=1
	v_add_co_u32 v23, s0, v1, s8
	s_delay_alu instid0(VALU_DEP_1)
	v_add_co_ci_u32_e64 v24, s0, s9, v2, s0
	global_load_u8 v23, v[23:24], off
.LBB93_11:                              ;   in Loop: Header=BB93_9 Depth=1
	s_or_b32 exec_lo, exec_lo, s1
	v_add_co_u32 v24, s0, v21, s8
	s_delay_alu instid0(VALU_DEP_1) | instskip(NEXT) | instid1(VALU_DEP_1)
	v_add_co_ci_u32_e64 v25, s0, s9, v22, s0
	v_cmp_gt_u64_e64 s0, s[6:7], v[24:25]
	v_mov_b32_e32 v25, 0
	s_delay_alu instid0(VALU_DEP_2)
	s_and_saveexec_b32 s2, s0
	s_cbranch_execz .LBB93_13
; %bb.12:                               ;   in Loop: Header=BB93_9 Depth=1
	v_add_co_u32 v24, s1, v17, s8
	s_delay_alu instid0(VALU_DEP_1)
	v_add_co_ci_u32_e64 v25, s1, s9, v18, s1
	global_load_u8 v25, v[24:25], off
.LBB93_13:                              ;   in Loop: Header=BB93_9 Depth=1
	s_or_b32 exec_lo, exec_lo, s2
	v_add_co_u32 v26, s1, v15, s8
	s_delay_alu instid0(VALU_DEP_1) | instskip(SKIP_1) | instid1(VALU_DEP_2)
	v_add_co_ci_u32_e64 v27, s1, s9, v16, s1
	v_mov_b32_e32 v24, 0
	v_cmp_gt_u64_e64 s1, s[6:7], v[26:27]
	v_mov_b32_e32 v26, 0
	s_delay_alu instid0(VALU_DEP_2)
	s_and_saveexec_b32 s3, s1
	s_cbranch_execz .LBB93_15
; %bb.14:                               ;   in Loop: Header=BB93_9 Depth=1
	v_add_co_u32 v26, s2, v11, s8
	s_delay_alu instid0(VALU_DEP_1)
	v_add_co_ci_u32_e64 v27, s2, s9, v12, s2
	global_load_u8 v26, v[26:27], off
.LBB93_15:                              ;   in Loop: Header=BB93_9 Depth=1
	s_or_b32 exec_lo, exec_lo, s3
	v_add_co_u32 v27, s2, v9, s8
	s_delay_alu instid0(VALU_DEP_1) | instskip(NEXT) | instid1(VALU_DEP_1)
	v_add_co_ci_u32_e64 v28, s2, s9, v10, s2
	v_cmp_gt_u64_e64 s2, s[6:7], v[27:28]
	s_delay_alu instid0(VALU_DEP_1)
	s_and_saveexec_b32 s10, s2
	s_cbranch_execnz .LBB93_20
; %bb.16:                               ;   in Loop: Header=BB93_9 Depth=1
	s_or_b32 exec_lo, exec_lo, s10
	s_and_saveexec_b32 s3, vcc_lo
	s_cbranch_execnz .LBB93_21
.LBB93_17:                              ;   in Loop: Header=BB93_9 Depth=1
	s_or_b32 exec_lo, exec_lo, s3
	s_and_saveexec_b32 s3, s0
	s_cbranch_execnz .LBB93_22
.LBB93_18:                              ;   in Loop: Header=BB93_9 Depth=1
	s_or_b32 exec_lo, exec_lo, s3
	s_and_saveexec_b32 s0, s1
	s_cbranch_execnz .LBB93_23
.LBB93_19:                              ;   in Loop: Header=BB93_9 Depth=1
	s_or_b32 exec_lo, exec_lo, s0
	s_and_saveexec_b32 s0, s2
	s_cbranch_execz .LBB93_8
	s_branch .LBB93_24
.LBB93_20:                              ;   in Loop: Header=BB93_9 Depth=1
	v_add_co_u32 v27, s3, v5, s8
	s_delay_alu instid0(VALU_DEP_1)
	v_add_co_ci_u32_e64 v28, s3, s9, v6, s3
	global_load_u8 v24, v[27:28], off
	s_or_b32 exec_lo, exec_lo, s10
	s_and_saveexec_b32 s3, vcc_lo
	s_cbranch_execz .LBB93_17
.LBB93_21:                              ;   in Loop: Header=BB93_9 Depth=1
	v_add_co_u32 v27, vcc_lo, v3, s8
	v_add_co_ci_u32_e32 v28, vcc_lo, s9, v4, vcc_lo
	s_waitcnt vmcnt(0)
	global_store_b8 v[27:28], v23, off
	s_or_b32 exec_lo, exec_lo, s3
	s_and_saveexec_b32 s3, s0
	s_cbranch_execz .LBB93_18
.LBB93_22:                              ;   in Loop: Header=BB93_9 Depth=1
	v_add_co_u32 v27, vcc_lo, v19, s8
	v_add_co_ci_u32_e32 v28, vcc_lo, s9, v20, vcc_lo
	s_waitcnt vmcnt(0)
	global_store_b8 v[27:28], v25, off
	s_or_b32 exec_lo, exec_lo, s3
	s_and_saveexec_b32 s0, s1
	s_cbranch_execz .LBB93_19
.LBB93_23:                              ;   in Loop: Header=BB93_9 Depth=1
	v_add_co_u32 v27, vcc_lo, v13, s8
	v_add_co_ci_u32_e32 v28, vcc_lo, s9, v14, vcc_lo
	s_waitcnt vmcnt(0)
	global_store_b8 v[27:28], v26, off
	s_or_b32 exec_lo, exec_lo, s0
	s_and_saveexec_b32 s0, s2
	s_cbranch_execz .LBB93_8
.LBB93_24:                              ;   in Loop: Header=BB93_9 Depth=1
	s_waitcnt vmcnt(0)
	v_add_co_u32 v25, vcc_lo, v7, s8
	v_add_co_ci_u32_e32 v26, vcc_lo, s9, v8, vcc_lo
	global_store_b8 v[25:26], v24, off
	s_branch .LBB93_8
.LBB93_25:
	s_nop 0
	s_sendmsg sendmsg(MSG_DEALLOC_VGPRS)
	s_endpgm
	.section	.rodata,"a",@progbits
	.p2align	6, 0x0
	.amdhsa_kernel _ZN2at6native12_GLOBAL__N_125multi_tensor_apply_kernelINS1_18TensorListMetadataILi3EEENS1_24BinaryOpListAlphaFunctorIbLi3ELi2ELi2EEEJSt7dividesIbEbEEEvT_T0_DpT1_
		.amdhsa_group_segment_fixed_size 0
		.amdhsa_private_segment_fixed_size 0
		.amdhsa_kernarg_size 3408
		.amdhsa_user_sgpr_count 15
		.amdhsa_user_sgpr_dispatch_ptr 0
		.amdhsa_user_sgpr_queue_ptr 0
		.amdhsa_user_sgpr_kernarg_segment_ptr 1
		.amdhsa_user_sgpr_dispatch_id 0
		.amdhsa_user_sgpr_private_segment_size 0
		.amdhsa_wavefront_size32 1
		.amdhsa_uses_dynamic_stack 0
		.amdhsa_enable_private_segment 0
		.amdhsa_system_sgpr_workgroup_id_x 1
		.amdhsa_system_sgpr_workgroup_id_y 0
		.amdhsa_system_sgpr_workgroup_id_z 0
		.amdhsa_system_sgpr_workgroup_info 0
		.amdhsa_system_vgpr_workitem_id 0
		.amdhsa_next_free_vgpr 29
		.amdhsa_next_free_sgpr 18
		.amdhsa_reserve_vcc 1
		.amdhsa_float_round_mode_32 0
		.amdhsa_float_round_mode_16_64 0
		.amdhsa_float_denorm_mode_32 3
		.amdhsa_float_denorm_mode_16_64 3
		.amdhsa_dx10_clamp 1
		.amdhsa_ieee_mode 1
		.amdhsa_fp16_overflow 0
		.amdhsa_workgroup_processor_mode 1
		.amdhsa_memory_ordered 1
		.amdhsa_forward_progress 0
		.amdhsa_shared_vgpr_count 0
		.amdhsa_exception_fp_ieee_invalid_op 0
		.amdhsa_exception_fp_denorm_src 0
		.amdhsa_exception_fp_ieee_div_zero 0
		.amdhsa_exception_fp_ieee_overflow 0
		.amdhsa_exception_fp_ieee_underflow 0
		.amdhsa_exception_fp_ieee_inexact 0
		.amdhsa_exception_int_div_zero 0
	.end_amdhsa_kernel
	.section	.text._ZN2at6native12_GLOBAL__N_125multi_tensor_apply_kernelINS1_18TensorListMetadataILi3EEENS1_24BinaryOpListAlphaFunctorIbLi3ELi2ELi2EEEJSt7dividesIbEbEEEvT_T0_DpT1_,"axG",@progbits,_ZN2at6native12_GLOBAL__N_125multi_tensor_apply_kernelINS1_18TensorListMetadataILi3EEENS1_24BinaryOpListAlphaFunctorIbLi3ELi2ELi2EEEJSt7dividesIbEbEEEvT_T0_DpT1_,comdat
.Lfunc_end93:
	.size	_ZN2at6native12_GLOBAL__N_125multi_tensor_apply_kernelINS1_18TensorListMetadataILi3EEENS1_24BinaryOpListAlphaFunctorIbLi3ELi2ELi2EEEJSt7dividesIbEbEEEvT_T0_DpT1_, .Lfunc_end93-_ZN2at6native12_GLOBAL__N_125multi_tensor_apply_kernelINS1_18TensorListMetadataILi3EEENS1_24BinaryOpListAlphaFunctorIbLi3ELi2ELi2EEEJSt7dividesIbEbEEEvT_T0_DpT1_
                                        ; -- End function
	.section	.AMDGPU.csdata,"",@progbits
; Kernel info:
; codeLenInByte = 1268
; NumSgprs: 20
; NumVgprs: 29
; ScratchSize: 0
; MemoryBound: 0
; FloatMode: 240
; IeeeMode: 1
; LDSByteSize: 0 bytes/workgroup (compile time only)
; SGPRBlocks: 2
; VGPRBlocks: 3
; NumSGPRsForWavesPerEU: 20
; NumVGPRsForWavesPerEU: 29
; Occupancy: 16
; WaveLimiterHint : 0
; COMPUTE_PGM_RSRC2:SCRATCH_EN: 0
; COMPUTE_PGM_RSRC2:USER_SGPR: 15
; COMPUTE_PGM_RSRC2:TRAP_HANDLER: 0
; COMPUTE_PGM_RSRC2:TGID_X_EN: 1
; COMPUTE_PGM_RSRC2:TGID_Y_EN: 0
; COMPUTE_PGM_RSRC2:TGID_Z_EN: 0
; COMPUTE_PGM_RSRC2:TIDIG_COMP_CNT: 0
	.section	.text._ZN2at6native12_GLOBAL__N_125multi_tensor_apply_kernelINS1_18TensorListMetadataILi3EEENS1_24BinaryOpListAlphaFunctorIN3c108BFloat16ELi3ELi2ELi2EEEJSt7dividesIfEfEEEvT_T0_DpT1_,"axG",@progbits,_ZN2at6native12_GLOBAL__N_125multi_tensor_apply_kernelINS1_18TensorListMetadataILi3EEENS1_24BinaryOpListAlphaFunctorIN3c108BFloat16ELi3ELi2ELi2EEEJSt7dividesIfEfEEEvT_T0_DpT1_,comdat
	.globl	_ZN2at6native12_GLOBAL__N_125multi_tensor_apply_kernelINS1_18TensorListMetadataILi3EEENS1_24BinaryOpListAlphaFunctorIN3c108BFloat16ELi3ELi2ELi2EEEJSt7dividesIfEfEEEvT_T0_DpT1_ ; -- Begin function _ZN2at6native12_GLOBAL__N_125multi_tensor_apply_kernelINS1_18TensorListMetadataILi3EEENS1_24BinaryOpListAlphaFunctorIN3c108BFloat16ELi3ELi2ELi2EEEJSt7dividesIfEfEEEvT_T0_DpT1_
	.p2align	8
	.type	_ZN2at6native12_GLOBAL__N_125multi_tensor_apply_kernelINS1_18TensorListMetadataILi3EEENS1_24BinaryOpListAlphaFunctorIN3c108BFloat16ELi3ELi2ELi2EEEJSt7dividesIfEfEEEvT_T0_DpT1_,@function
_ZN2at6native12_GLOBAL__N_125multi_tensor_apply_kernelINS1_18TensorListMetadataILi3EEENS1_24BinaryOpListAlphaFunctorIN3c108BFloat16ELi3ELi2ELi2EEEJSt7dividesIfEfEEEvT_T0_DpT1_: ; @_ZN2at6native12_GLOBAL__N_125multi_tensor_apply_kernelINS1_18TensorListMetadataILi3EEENS1_24BinaryOpListAlphaFunctorIN3c108BFloat16ELi3ELi2ELi2EEEJSt7dividesIfEfEEEvT_T0_DpT1_
; %bb.0:
	v_mov_b32_e32 v1, s15
	s_add_u32 s2, s0, s15
	s_mul_hi_u32 s3, s15, 3
	s_mul_i32 s15, s15, 3
	s_addc_u32 s4, s1, 0
	global_load_u8 v1, v1, s[0:1] offset:1536
	s_load_b32 s18, s[0:1], 0xc4c
	s_add_u32 s2, s2, s15
	s_addc_u32 s3, s4, s3
	s_load_b32 s2, s[2:3], 0x740
	s_waitcnt vmcnt(0)
	v_readfirstlane_b32 s3, v1
	s_delay_alu instid0(VALU_DEP_1)
	s_lshl_b32 s3, s3, 3
	s_clause 0x3
	s_load_b64 s[14:15], s[0:1], s3 offset:0x180
	s_load_b64 s[12:13], s[0:1], s3 offset:0x300
	;; [unrolled: 1-line block ×4, first 2 shown]
	s_waitcnt lgkmcnt(0)
	s_ashr_i32 s3, s2, 31
	s_delay_alu instid0(SALU_CYCLE_1) | instskip(NEXT) | instid1(SALU_CYCLE_1)
	s_lshl_b64 s[8:9], s[2:3], 17
	s_add_u32 s6, s14, s8
	s_delay_alu instid0(SALU_CYCLE_1) | instskip(NEXT) | instid1(SALU_CYCLE_1)
	s_or_b32 s6, s12, s6
	s_and_b32 s7, s6, 7
	s_and_b32 s6, s16, 7
	s_cmp_lg_u32 s7, 0
	s_mov_b32 s7, 0
	s_cselect_b32 s19, -1, 0
	s_lshl_b64 s[2:3], s[2:3], 16
	s_mov_b32 s21, s7
	s_sub_u32 s10, s4, s2
	s_subb_u32 s11, s5, s3
	s_and_b32 s20, s4, 3
	s_delay_alu instid0(SALU_CYCLE_1) | instskip(NEXT) | instid1(SALU_CYCLE_1)
	s_or_b64 s[2:3], s[6:7], s[20:21]
	s_cmp_lg_u64 s[2:3], 0
	s_cselect_b32 s2, -1, 0
	s_delay_alu instid0(SALU_CYCLE_1) | instskip(NEXT) | instid1(SALU_CYCLE_1)
	s_or_b32 s2, s19, s2
	s_and_not1_b32 vcc_lo, exec_lo, s2
	s_mov_b32 s2, -1
	s_cbranch_vccz .LBB94_5
; %bb.1:
	v_dual_mov_b32 v2, 0 :: v_dual_lshlrev_b32 v1, 2, v0
	s_mov_b32 s19, exec_lo
	s_delay_alu instid0(VALU_DEP_1)
	v_cmpx_gt_i64_e64 s[10:11], v[1:2]
	s_cbranch_execz .LBB94_4
; %bb.2:
	s_load_b32 s2, s[0:1], 0xc5c
	v_lshlrev_b32_e32 v1, 3, v0
	s_mov_b32 s20, 0
	s_delay_alu instid0(VALU_DEP_1) | instskip(NEXT) | instid1(VALU_DEP_1)
	v_add_co_u32 v3, s3, s8, v1
	v_add_co_ci_u32_e64 v4, null, s9, 0, s3
	s_waitcnt lgkmcnt(0)
	s_and_b32 s2, s2, 0xffff
	s_delay_alu instid0(SALU_CYCLE_1)
	v_add_lshl_u32 v1, v0, s2, 2
	s_lshl_b32 s21, s2, 3
	s_lshl_b32 s22, s2, 2
.LBB94_3:                               ; =>This Inner Loop Header: Depth=1
	v_add_co_u32 v5, vcc_lo, s14, v3
	v_add_co_ci_u32_e32 v6, vcc_lo, s15, v4, vcc_lo
	v_add_co_u32 v7, vcc_lo, s16, v3
	v_add_co_ci_u32_e32 v8, vcc_lo, s17, v4, vcc_lo
	v_add_co_u32 v9, vcc_lo, s12, v3
	global_load_b64 v[5:6], v[5:6], off
	global_load_b64 v[7:8], v[7:8], off
	v_add_co_ci_u32_e32 v10, vcc_lo, s13, v4, vcc_lo
	v_add_co_u32 v3, vcc_lo, v3, s21
	v_add_co_ci_u32_e32 v4, vcc_lo, 0, v4, vcc_lo
	v_cmp_le_i64_e64 s2, s[10:11], v[1:2]
	v_cmp_lt_u64_e64 s3, 0xffff, v[1:2]
	v_add_co_u32 v1, s4, v1, s22
	s_delay_alu instid0(VALU_DEP_2) | instskip(NEXT) | instid1(SALU_CYCLE_1)
	s_or_b32 s2, s2, s3
	s_and_b32 s2, exec_lo, s2
	s_delay_alu instid0(SALU_CYCLE_1) | instskip(SKIP_3) | instid1(VALU_DEP_1)
	s_or_b32 s20, s2, s20
	s_waitcnt vmcnt(1)
	v_and_b32_e32 v14, 0xffff0000, v5
	s_waitcnt vmcnt(0)
	v_dual_mul_f32 v14, s18, v14 :: v_dual_and_b32 v13, 0xffff0000, v7
	s_delay_alu instid0(VALU_DEP_1) | instskip(SKIP_1) | instid1(VALU_DEP_2)
	v_div_scale_f32 v17, null, v14, v14, v13
	v_div_scale_f32 v18, s5, v13, v14, v13
	v_rcp_f32_e32 v22, v17
	s_waitcnt_depctr 0xfff
	v_fma_f32 v28, -v17, v22, 1.0
	s_delay_alu instid0(VALU_DEP_1)
	v_fmac_f32_e32 v22, v28, v22
	v_lshlrev_b32_e32 v12, 16, v5
	v_lshlrev_b32_e32 v11, 16, v7
	v_alignbit_b32 v7, v8, v7, 16
	v_alignbit_b32 v5, v6, v5, 16
	v_and_b32_e32 v6, 0xffff0000, v6
	s_delay_alu instid0(VALU_DEP_3) | instskip(NEXT) | instid1(VALU_DEP_3)
	v_and_b32_e32 v7, 0xffff0000, v7
	v_and_b32_e32 v5, 0xffff0000, v5
	;; [unrolled: 1-line block ×3, first 2 shown]
	s_delay_alu instid0(VALU_DEP_2) | instskip(NEXT) | instid1(VALU_DEP_1)
	v_dual_mul_f32 v6, s18, v6 :: v_dual_mul_f32 v5, s18, v5
	v_div_scale_f32 v19, null, v6, v6, v8
	v_div_scale_f32 v20, s6, v8, v6, v8
	s_delay_alu instid0(VALU_DEP_3) | instskip(NEXT) | instid1(VALU_DEP_3)
	v_div_scale_f32 v23, null, v5, v5, v7
	v_rcp_f32_e32 v24, v19
	v_div_scale_f32 v25, s7, v7, v5, v7
	s_delay_alu instid0(VALU_DEP_2) | instskip(SKIP_2) | instid1(VALU_DEP_1)
	v_rcp_f32_e32 v26, v23
	s_waitcnt_depctr 0xfff
	v_fma_f32 v29, -v19, v24, 1.0
	v_dual_fmac_f32 v24, v29, v24 :: v_dual_mul_f32 v29, v18, v22
	v_mul_f32_e32 v12, s18, v12
	s_delay_alu instid0(VALU_DEP_2) | instskip(NEXT) | instid1(VALU_DEP_2)
	v_fma_f32 v31, -v17, v29, v18
	v_div_scale_f32 v15, null, v12, v12, v11
	v_div_scale_f32 v16, vcc_lo, v11, v12, v11
	s_delay_alu instid0(VALU_DEP_2) | instskip(SKIP_2) | instid1(VALU_DEP_1)
	v_rcp_f32_e32 v21, v15
	s_waitcnt_depctr 0xfff
	v_fma_f32 v27, -v15, v21, 1.0
	v_fmac_f32_e32 v21, v27, v21
	v_fma_f32 v27, -v23, v26, 1.0
	s_delay_alu instid0(VALU_DEP_1) | instskip(NEXT) | instid1(VALU_DEP_1)
	v_dual_fmac_f32 v26, v27, v26 :: v_dual_mul_f32 v27, v20, v24
	v_mul_f32_e32 v32, v25, v26
	s_delay_alu instid0(VALU_DEP_2) | instskip(NEXT) | instid1(VALU_DEP_1)
	v_fma_f32 v33, -v19, v27, v20
	v_dual_fmac_f32 v27, v33, v24 :: v_dual_mul_f32 v28, v16, v21
	v_fmac_f32_e32 v29, v31, v22
	s_delay_alu instid0(VALU_DEP_2) | instskip(NEXT) | instid1(VALU_DEP_1)
	v_fma_f32 v30, -v15, v28, v16
	v_fmac_f32_e32 v28, v30, v21
	v_fma_f32 v30, -v23, v32, v25
	s_delay_alu instid0(VALU_DEP_2) | instskip(NEXT) | instid1(VALU_DEP_2)
	v_fma_f32 v15, -v15, v28, v16
	v_fmac_f32_e32 v32, v30, v26
	v_fma_f32 v16, -v17, v29, v18
	v_fma_f32 v17, -v19, v27, v20
	s_delay_alu instid0(VALU_DEP_4) | instskip(NEXT) | instid1(VALU_DEP_4)
	v_div_fmas_f32 v15, v15, v21, v28
	v_fma_f32 v18, -v23, v32, v25
	s_mov_b32 vcc_lo, s5
	v_div_fmas_f32 v16, v16, v22, v29
	s_mov_b32 vcc_lo, s7
	v_div_fixup_f32 v11, v15, v12, v11
	v_div_fmas_f32 v12, v18, v26, v32
	s_mov_b32 vcc_lo, s6
	v_div_fixup_f32 v13, v16, v14, v13
	v_div_fmas_f32 v15, v17, v24, v27
	v_bfe_u32 v14, v11, 16, 1
	v_div_fixup_f32 v5, v12, v5, v7
	v_cmp_o_f32_e32 vcc_lo, v11, v11
	v_bfe_u32 v7, v13, 16, 1
	v_div_fixup_f32 v6, v15, v6, v8
	v_add3_u32 v8, v11, v14, 0x7fff
	v_bfe_u32 v12, v5, 16, 1
	v_cmp_o_f32_e64 s5, v13, v13
	v_add3_u32 v7, v13, v7, 0x7fff
	v_bfe_u32 v14, v6, 16, 1
	v_lshrrev_b32_e32 v8, 16, v8
	v_add3_u32 v12, v5, v12, 0x7fff
	s_delay_alu instid0(VALU_DEP_4) | instskip(NEXT) | instid1(VALU_DEP_4)
	v_and_b32_e32 v7, 0xffff0000, v7
	v_add3_u32 v11, v6, v14, 0x7fff
	s_delay_alu instid0(VALU_DEP_4) | instskip(NEXT) | instid1(VALU_DEP_4)
	v_cndmask_b32_e32 v8, 0x7fc0, v8, vcc_lo
	v_lshrrev_b32_e32 v12, 16, v12
	v_cmp_o_f32_e32 vcc_lo, v5, v5
	v_cndmask_b32_e64 v7, 0x7fc00000, v7, s5
	v_and_b32_e32 v11, 0xffff0000, v11
	v_cmp_o_f32_e64 s5, v6, v6
	v_cndmask_b32_e32 v5, 0x7fc0, v12, vcc_lo
	s_delay_alu instid0(VALU_DEP_4) | instskip(SKIP_1) | instid1(VALU_DEP_4)
	v_or_b32_e32 v7, v8, v7
	v_add_co_ci_u32_e64 v2, vcc_lo, 0, v2, s4
	v_cndmask_b32_e64 v6, 0x7fc00000, v11, s5
	s_delay_alu instid0(VALU_DEP_1) | instskip(NEXT) | instid1(VALU_DEP_4)
	v_or3_b32 v6, 0, v5, v6
	v_or3_b32 v5, v7, 0, 0
	global_store_b64 v[9:10], v[5:6], off
	s_and_not1_b32 exec_lo, exec_lo, s20
	s_cbranch_execnz .LBB94_3
.LBB94_4:
	s_or_b32 exec_lo, exec_lo, s19
	s_mov_b32 s2, 0
.LBB94_5:
	s_delay_alu instid0(SALU_CYCLE_1)
	s_and_not1_b32 vcc_lo, exec_lo, s2
	s_cbranch_vccnz .LBB94_25
; %bb.6:
	v_cmp_lt_i64_e64 s2, s[10:11], 1
	s_delay_alu instid0(VALU_DEP_1)
	s_and_b32 vcc_lo, exec_lo, s2
	s_cbranch_vccnz .LBB94_25
; %bb.7:
	s_load_b32 s0, s[0:1], 0xc5c
	v_dual_mov_b32 v2, 0 :: v_dual_lshlrev_b32 v1, 1, v0
	v_cmp_gt_u64_e64 s1, 0x10000, s[10:11]
	s_mov_b64 s[6:7], 0
	s_delay_alu instid0(VALU_DEP_2) | instskip(NEXT) | instid1(VALU_DEP_1)
	v_add_co_u32 v3, s2, s16, v1
	v_add_co_ci_u32_e64 v4, null, s17, 0, s2
	v_add_co_u32 v5, s2, s14, v1
	s_delay_alu instid0(VALU_DEP_1) | instskip(SKIP_1) | instid1(VALU_DEP_1)
	v_add_co_ci_u32_e64 v6, null, s15, 0, s2
	v_add_co_u32 v7, s2, s12, v1
	v_add_co_ci_u32_e64 v8, null, s13, 0, s2
	s_waitcnt lgkmcnt(0)
	s_and_b32 s0, s0, 0xffff
	s_and_b32 s1, s1, exec_lo
	v_mad_u64_u32 v[13:14], null, s0, 6, v[1:2]
	s_cselect_b32 s5, s11, 0
	s_cselect_b32 s4, s10, 0x10000
	s_lshl_b32 s19, s0, 2
	s_mul_i32 s2, s0, 3
	v_add_co_u32 v1, s3, s19, v1
	s_delay_alu instid0(VALU_DEP_2) | instskip(NEXT) | instid1(VALU_DEP_3)
	v_add_co_u32 v9, vcc_lo, s16, v13
	v_add_co_ci_u32_e32 v10, vcc_lo, s17, v14, vcc_lo
	v_add_co_u32 v11, vcc_lo, s14, v13
	v_add_co_ci_u32_e32 v12, vcc_lo, s15, v14, vcc_lo
	v_add_co_u32 v13, vcc_lo, s12, v13
	v_add_co_ci_u32_e64 v2, null, 0, 0, s3
	v_add_co_ci_u32_e32 v14, vcc_lo, s13, v14, vcc_lo
	v_add_co_u32 v15, s2, s2, v0
	v_add_co_u32 v17, vcc_lo, s16, v1
	v_add_co_ci_u32_e64 v16, null, 0, 0, s2
	v_add_co_u32 v21, s2, v0, s0
	v_add_co_ci_u32_e32 v18, vcc_lo, s17, v2, vcc_lo
	v_add_co_u32 v19, vcc_lo, s14, v1
	v_add_co_ci_u32_e32 v20, vcc_lo, s15, v2, vcc_lo
	v_add_co_u32 v22, vcc_lo, s12, v1
	v_lshlrev_b32_e32 v1, 1, v21
	s_lshl_b32 s1, s0, 1
	v_add_co_ci_u32_e32 v23, vcc_lo, s13, v2, vcc_lo
	v_add_co_u32 v25, s1, s1, v0
	s_delay_alu instid0(VALU_DEP_1) | instskip(SKIP_1) | instid1(VALU_DEP_1)
	v_add_co_ci_u32_e64 v26, null, 0, 0, s1
	v_add_co_u32 v27, s1, s16, v1
	v_add_co_ci_u32_e64 v28, null, s17, 0, s1
	v_add_co_u32 v29, s1, s14, v1
	s_delay_alu instid0(VALU_DEP_1)
	v_add_co_ci_u32_e64 v30, null, s15, 0, s1
	v_add_co_u32 v31, s1, s12, v1
	v_add_co_ci_u32_e64 v24, null, 0, 0, s2
	v_add_co_ci_u32_e64 v32, null, s13, 0, s1
	s_mov_b32 s12, 0
	s_lshl_b32 s13, s0, 3
	s_branch .LBB94_9
.LBB94_8:                               ;   in Loop: Header=BB94_9 Depth=1
	s_or_b32 exec_lo, exec_lo, s1
	v_add_co_u32 v3, vcc_lo, v3, s13
	v_add_co_ci_u32_e32 v4, vcc_lo, 0, v4, vcc_lo
	v_add_co_u32 v5, vcc_lo, v5, s13
	v_add_co_ci_u32_e32 v6, vcc_lo, 0, v6, vcc_lo
	;; [unrolled: 2-line block ×9, first 2 shown]
	s_add_u32 s6, s6, s19
	v_add_co_u32 v27, vcc_lo, v27, s13
	s_addc_u32 s7, s7, 0
	v_add_co_ci_u32_e32 v28, vcc_lo, 0, v28, vcc_lo
	v_cmp_ge_i64_e64 s0, s[6:7], s[10:11]
	v_cmp_lt_u64_e64 s1, 0xffff, s[6:7]
	v_add_co_u32 v29, vcc_lo, v29, s13
	v_add_co_ci_u32_e32 v30, vcc_lo, 0, v30, vcc_lo
	v_add_co_u32 v31, vcc_lo, v31, s13
	v_add_co_ci_u32_e32 v32, vcc_lo, 0, v32, vcc_lo
	s_or_b32 s0, s0, s1
	s_delay_alu instid0(SALU_CYCLE_1)
	s_and_b32 vcc_lo, exec_lo, s0
	s_cbranch_vccnz .LBB94_25
.LBB94_9:                               ; =>This Inner Loop Header: Depth=1
	v_add_co_u32 v1, s0, v0, s6
	s_delay_alu instid0(VALU_DEP_1) | instskip(SKIP_2) | instid1(VALU_DEP_2)
	v_add_co_ci_u32_e64 v2, null, 0, s7, s0
	s_waitcnt vmcnt(0)
	v_mov_b32_e32 v36, 0
	v_cmp_gt_u64_e32 vcc_lo, s[4:5], v[1:2]
	v_mov_b32_e32 v1, 0
	v_mov_b32_e32 v2, 0
	s_and_saveexec_b32 s1, vcc_lo
	s_cbranch_execz .LBB94_11
; %bb.10:                               ;   in Loop: Header=BB94_9 Depth=1
	v_add_co_u32 v1, s0, v3, s8
	s_delay_alu instid0(VALU_DEP_1) | instskip(SKIP_2) | instid1(VALU_DEP_1)
	v_add_co_ci_u32_e64 v2, s0, s9, v4, s0
	global_load_u16 v33, v[1:2], off
	v_add_co_u32 v1, s0, v5, s8
	v_add_co_ci_u32_e64 v2, s0, s9, v6, s0
	global_load_u16 v36, v[1:2], off
	s_waitcnt vmcnt(1)
	v_dual_mov_b32 v2, s12 :: v_dual_and_b32 v1, 0xffff, v33
.LBB94_11:                              ;   in Loop: Header=BB94_9 Depth=1
	s_or_b32 exec_lo, exec_lo, s1
	v_add_co_u32 v33, s0, v21, s6
	s_delay_alu instid0(VALU_DEP_1) | instskip(SKIP_1) | instid1(VALU_DEP_2)
	v_add_co_ci_u32_e64 v34, s0, s7, v24, s0
	v_mov_b32_e32 v35, 0
	v_cmp_gt_u64_e64 s2, s[4:5], v[33:34]
	v_mov_b32_e32 v33, 0
	s_delay_alu instid0(VALU_DEP_2)
	s_and_saveexec_b32 s1, s2
	s_cbranch_execz .LBB94_13
; %bb.12:                               ;   in Loop: Header=BB94_9 Depth=1
	v_add_co_u32 v34, s0, v27, s8
	s_delay_alu instid0(VALU_DEP_1) | instskip(SKIP_2) | instid1(VALU_DEP_1)
	v_add_co_ci_u32_e64 v35, s0, s9, v28, s0
	global_load_u16 v37, v[34:35], off
	v_add_co_u32 v34, s0, v29, s8
	v_add_co_ci_u32_e64 v35, s0, s9, v30, s0
	global_load_u16 v35, v[34:35], off
	s_waitcnt vmcnt(1)
	v_lshl_or_b32 v1, v37, 16, v1
.LBB94_13:                              ;   in Loop: Header=BB94_9 Depth=1
	s_or_b32 exec_lo, exec_lo, s1
	v_add_co_u32 v37, s0, v25, s6
	s_delay_alu instid0(VALU_DEP_1) | instskip(NEXT) | instid1(VALU_DEP_1)
	v_add_co_ci_u32_e64 v38, s0, s7, v26, s0
	v_cmp_gt_u64_e64 s1, s[4:5], v[37:38]
	s_delay_alu instid0(VALU_DEP_1)
	s_and_saveexec_b32 s3, s1
	s_cbranch_execz .LBB94_15
; %bb.14:                               ;   in Loop: Header=BB94_9 Depth=1
	v_add_co_u32 v33, s0, v17, s8
	s_delay_alu instid0(VALU_DEP_1) | instskip(SKIP_2) | instid1(VALU_DEP_1)
	v_add_co_ci_u32_e64 v34, s0, s9, v18, s0
	global_load_u16 v37, v[33:34], off
	v_add_co_u32 v33, s0, v19, s8
	v_add_co_ci_u32_e64 v34, s0, s9, v20, s0
	global_load_u16 v33, v[33:34], off
	s_waitcnt vmcnt(1)
	v_or_b32_e32 v2, v37, v2
.LBB94_15:                              ;   in Loop: Header=BB94_9 Depth=1
	s_or_b32 exec_lo, exec_lo, s3
	v_add_co_u32 v37, s0, v15, s6
	s_delay_alu instid0(VALU_DEP_1) | instskip(SKIP_1) | instid1(VALU_DEP_2)
	v_add_co_ci_u32_e64 v38, s0, s7, v16, s0
	v_mov_b32_e32 v34, 0
	v_cmp_gt_u64_e64 s0, s[4:5], v[37:38]
	s_delay_alu instid0(VALU_DEP_1)
	s_and_saveexec_b32 s14, s0
	s_cbranch_execnz .LBB94_20
; %bb.16:                               ;   in Loop: Header=BB94_9 Depth=1
	s_or_b32 exec_lo, exec_lo, s14
	s_and_saveexec_b32 s3, vcc_lo
	s_cbranch_execnz .LBB94_21
.LBB94_17:                              ;   in Loop: Header=BB94_9 Depth=1
	s_or_b32 exec_lo, exec_lo, s3
	s_and_saveexec_b32 s3, s2
	s_cbranch_execnz .LBB94_22
.LBB94_18:                              ;   in Loop: Header=BB94_9 Depth=1
	s_or_b32 exec_lo, exec_lo, s3
	s_and_saveexec_b32 s2, s1
	s_cbranch_execnz .LBB94_23
.LBB94_19:                              ;   in Loop: Header=BB94_9 Depth=1
	s_or_b32 exec_lo, exec_lo, s2
	s_and_saveexec_b32 s1, s0
	s_cbranch_execz .LBB94_8
	s_branch .LBB94_24
.LBB94_20:                              ;   in Loop: Header=BB94_9 Depth=1
	v_add_co_u32 v37, s3, v9, s8
	s_delay_alu instid0(VALU_DEP_1) | instskip(SKIP_3) | instid1(VALU_DEP_1)
	v_add_co_ci_u32_e64 v38, s3, s9, v10, s3
	v_mov_b32_e32 v39, 0
	global_load_d16_hi_b16 v39, v[37:38], off
	v_add_co_u32 v37, s3, v11, s8
	v_add_co_ci_u32_e64 v38, s3, s9, v12, s3
	global_load_u16 v34, v[37:38], off
	s_waitcnt vmcnt(1)
	v_or_b32_e32 v2, v39, v2
	s_or_b32 exec_lo, exec_lo, s14
	s_and_saveexec_b32 s3, vcc_lo
	s_cbranch_execz .LBB94_17
.LBB94_21:                              ;   in Loop: Header=BB94_9 Depth=1
	s_waitcnt vmcnt(0)
	v_lshlrev_b32_e32 v36, 16, v36
	s_delay_alu instid0(VALU_DEP_1) | instskip(NEXT) | instid1(VALU_DEP_1)
	v_dual_mul_f32 v36, s18, v36 :: v_dual_lshlrev_b32 v37, 16, v1
	v_div_scale_f32 v38, null, v36, v36, v37
	v_div_scale_f32 v41, vcc_lo, v37, v36, v37
	s_delay_alu instid0(VALU_DEP_2) | instskip(SKIP_2) | instid1(VALU_DEP_1)
	v_rcp_f32_e32 v39, v38
	s_waitcnt_depctr 0xfff
	v_fma_f32 v40, -v38, v39, 1.0
	v_fmac_f32_e32 v39, v40, v39
	s_delay_alu instid0(VALU_DEP_1) | instskip(NEXT) | instid1(VALU_DEP_1)
	v_mul_f32_e32 v40, v41, v39
	v_fma_f32 v42, -v38, v40, v41
	s_delay_alu instid0(VALU_DEP_1) | instskip(NEXT) | instid1(VALU_DEP_1)
	v_fmac_f32_e32 v40, v42, v39
	v_fma_f32 v38, -v38, v40, v41
	s_delay_alu instid0(VALU_DEP_1) | instskip(NEXT) | instid1(VALU_DEP_1)
	v_div_fmas_f32 v38, v38, v39, v40
	v_div_fixup_f32 v38, v38, v36, v37
	s_delay_alu instid0(VALU_DEP_1) | instskip(NEXT) | instid1(VALU_DEP_1)
	v_bfe_u32 v36, v38, 16, 1
	v_add3_u32 v36, v38, v36, 0x7fff
	s_delay_alu instid0(VALU_DEP_1) | instskip(SKIP_3) | instid1(VALU_DEP_4)
	v_lshrrev_b32_e32 v39, 16, v36
	v_add_co_u32 v36, vcc_lo, v7, s8
	v_add_co_ci_u32_e32 v37, vcc_lo, s9, v8, vcc_lo
	v_cmp_o_f32_e32 vcc_lo, v38, v38
	v_cndmask_b32_e32 v38, 0x7fc0, v39, vcc_lo
	global_store_b16 v[36:37], v38, off
	s_or_b32 exec_lo, exec_lo, s3
	s_and_saveexec_b32 s3, s2
	s_cbranch_execz .LBB94_18
.LBB94_22:                              ;   in Loop: Header=BB94_9 Depth=1
	s_waitcnt vmcnt(0)
	v_lshlrev_b32_e32 v35, 16, v35
	s_delay_alu instid0(VALU_DEP_1) | instskip(NEXT) | instid1(VALU_DEP_1)
	v_dual_mul_f32 v35, s18, v35 :: v_dual_and_b32 v36, 0xffff0000, v1
	v_div_scale_f32 v37, null, v35, v35, v36
	v_div_scale_f32 v40, vcc_lo, v36, v35, v36
	s_delay_alu instid0(VALU_DEP_2) | instskip(SKIP_2) | instid1(VALU_DEP_1)
	v_rcp_f32_e32 v38, v37
	s_waitcnt_depctr 0xfff
	v_fma_f32 v39, -v37, v38, 1.0
	v_fmac_f32_e32 v38, v39, v38
	s_delay_alu instid0(VALU_DEP_1) | instskip(NEXT) | instid1(VALU_DEP_1)
	v_mul_f32_e32 v39, v40, v38
	v_fma_f32 v41, -v37, v39, v40
	s_delay_alu instid0(VALU_DEP_1) | instskip(NEXT) | instid1(VALU_DEP_1)
	v_fmac_f32_e32 v39, v41, v38
	v_fma_f32 v37, -v37, v39, v40
	s_delay_alu instid0(VALU_DEP_1) | instskip(NEXT) | instid1(VALU_DEP_1)
	v_div_fmas_f32 v37, v37, v38, v39
	v_div_fixup_f32 v35, v37, v35, v36
	s_delay_alu instid0(VALU_DEP_1) | instskip(SKIP_1) | instid1(VALU_DEP_2)
	v_bfe_u32 v36, v35, 16, 1
	v_cmp_o_f32_e32 vcc_lo, v35, v35
	v_add3_u32 v36, v35, v36, 0x7fff
	s_delay_alu instid0(VALU_DEP_1) | instskip(NEXT) | instid1(VALU_DEP_1)
	v_lshrrev_b32_e32 v36, 16, v36
	v_cndmask_b32_e32 v37, 0x7fc0, v36, vcc_lo
	v_add_co_u32 v35, vcc_lo, v31, s8
	v_add_co_ci_u32_e32 v36, vcc_lo, s9, v32, vcc_lo
	global_store_b16 v[35:36], v37, off
	s_or_b32 exec_lo, exec_lo, s3
	s_and_saveexec_b32 s2, s1
	s_cbranch_execz .LBB94_19
.LBB94_23:                              ;   in Loop: Header=BB94_9 Depth=1
	v_alignbit_b32 v1, v2, v1, 16
	s_waitcnt vmcnt(0)
	v_lshlrev_b32_e32 v33, 16, v33
	s_delay_alu instid0(VALU_DEP_2) | instskip(NEXT) | instid1(VALU_DEP_2)
	v_and_b32_e32 v1, 0xffff0000, v1
	v_mul_f32_e32 v33, s18, v33
	s_delay_alu instid0(VALU_DEP_1) | instskip(SKIP_1) | instid1(VALU_DEP_2)
	v_div_scale_f32 v35, null, v33, v33, v1
	v_div_scale_f32 v38, vcc_lo, v1, v33, v1
	v_rcp_f32_e32 v36, v35
	s_waitcnt_depctr 0xfff
	v_fma_f32 v37, -v35, v36, 1.0
	s_delay_alu instid0(VALU_DEP_1) | instskip(NEXT) | instid1(VALU_DEP_1)
	v_fmac_f32_e32 v36, v37, v36
	v_mul_f32_e32 v37, v38, v36
	s_delay_alu instid0(VALU_DEP_1) | instskip(NEXT) | instid1(VALU_DEP_1)
	v_fma_f32 v39, -v35, v37, v38
	v_fmac_f32_e32 v37, v39, v36
	s_delay_alu instid0(VALU_DEP_1) | instskip(NEXT) | instid1(VALU_DEP_1)
	v_fma_f32 v35, -v35, v37, v38
	v_div_fmas_f32 v35, v35, v36, v37
	s_delay_alu instid0(VALU_DEP_1) | instskip(NEXT) | instid1(VALU_DEP_1)
	v_div_fixup_f32 v1, v35, v33, v1
	v_bfe_u32 v33, v1, 16, 1
	v_cmp_o_f32_e32 vcc_lo, v1, v1
	s_delay_alu instid0(VALU_DEP_2) | instskip(NEXT) | instid1(VALU_DEP_1)
	v_add3_u32 v33, v1, v33, 0x7fff
	v_lshrrev_b32_e32 v33, 16, v33
	s_delay_alu instid0(VALU_DEP_1)
	v_cndmask_b32_e32 v1, 0x7fc0, v33, vcc_lo
	v_add_co_u32 v35, vcc_lo, v22, s8
	v_add_co_ci_u32_e32 v36, vcc_lo, s9, v23, vcc_lo
	global_store_b16 v[35:36], v1, off
	s_or_b32 exec_lo, exec_lo, s2
	s_and_saveexec_b32 s1, s0
	s_cbranch_execz .LBB94_8
.LBB94_24:                              ;   in Loop: Header=BB94_9 Depth=1
	s_waitcnt vmcnt(0)
	v_lshlrev_b32_e32 v1, 16, v34
	s_delay_alu instid0(VALU_DEP_1) | instskip(NEXT) | instid1(VALU_DEP_1)
	v_dual_mul_f32 v1, s18, v1 :: v_dual_and_b32 v2, 0xffff0000, v2
	v_div_scale_f32 v33, null, v1, v1, v2
	v_div_scale_f32 v36, vcc_lo, v2, v1, v2
	s_delay_alu instid0(VALU_DEP_2) | instskip(SKIP_2) | instid1(VALU_DEP_1)
	v_rcp_f32_e32 v34, v33
	s_waitcnt_depctr 0xfff
	v_fma_f32 v35, -v33, v34, 1.0
	v_fmac_f32_e32 v34, v35, v34
	s_delay_alu instid0(VALU_DEP_1) | instskip(NEXT) | instid1(VALU_DEP_1)
	v_mul_f32_e32 v35, v36, v34
	v_fma_f32 v37, -v33, v35, v36
	s_delay_alu instid0(VALU_DEP_1) | instskip(NEXT) | instid1(VALU_DEP_1)
	v_fmac_f32_e32 v35, v37, v34
	v_fma_f32 v33, -v33, v35, v36
	s_delay_alu instid0(VALU_DEP_1) | instskip(NEXT) | instid1(VALU_DEP_1)
	v_div_fmas_f32 v33, v33, v34, v35
	v_div_fixup_f32 v1, v33, v1, v2
	s_delay_alu instid0(VALU_DEP_1) | instskip(SKIP_1) | instid1(VALU_DEP_2)
	v_bfe_u32 v2, v1, 16, 1
	v_cmp_o_f32_e32 vcc_lo, v1, v1
	v_add3_u32 v2, v1, v2, 0x7fff
	s_delay_alu instid0(VALU_DEP_1) | instskip(NEXT) | instid1(VALU_DEP_1)
	v_lshrrev_b32_e32 v2, 16, v2
	v_cndmask_b32_e32 v33, 0x7fc0, v2, vcc_lo
	v_add_co_u32 v1, vcc_lo, v13, s8
	v_add_co_ci_u32_e32 v2, vcc_lo, s9, v14, vcc_lo
	global_store_b16 v[1:2], v33, off
	s_branch .LBB94_8
.LBB94_25:
	s_nop 0
	s_sendmsg sendmsg(MSG_DEALLOC_VGPRS)
	s_endpgm
	.section	.rodata,"a",@progbits
	.p2align	6, 0x0
	.amdhsa_kernel _ZN2at6native12_GLOBAL__N_125multi_tensor_apply_kernelINS1_18TensorListMetadataILi3EEENS1_24BinaryOpListAlphaFunctorIN3c108BFloat16ELi3ELi2ELi2EEEJSt7dividesIfEfEEEvT_T0_DpT1_
		.amdhsa_group_segment_fixed_size 0
		.amdhsa_private_segment_fixed_size 0
		.amdhsa_kernarg_size 3408
		.amdhsa_user_sgpr_count 15
		.amdhsa_user_sgpr_dispatch_ptr 0
		.amdhsa_user_sgpr_queue_ptr 0
		.amdhsa_user_sgpr_kernarg_segment_ptr 1
		.amdhsa_user_sgpr_dispatch_id 0
		.amdhsa_user_sgpr_private_segment_size 0
		.amdhsa_wavefront_size32 1
		.amdhsa_uses_dynamic_stack 0
		.amdhsa_enable_private_segment 0
		.amdhsa_system_sgpr_workgroup_id_x 1
		.amdhsa_system_sgpr_workgroup_id_y 0
		.amdhsa_system_sgpr_workgroup_id_z 0
		.amdhsa_system_sgpr_workgroup_info 0
		.amdhsa_system_vgpr_workitem_id 0
		.amdhsa_next_free_vgpr 43
		.amdhsa_next_free_sgpr 23
		.amdhsa_reserve_vcc 1
		.amdhsa_float_round_mode_32 0
		.amdhsa_float_round_mode_16_64 0
		.amdhsa_float_denorm_mode_32 3
		.amdhsa_float_denorm_mode_16_64 3
		.amdhsa_dx10_clamp 1
		.amdhsa_ieee_mode 1
		.amdhsa_fp16_overflow 0
		.amdhsa_workgroup_processor_mode 1
		.amdhsa_memory_ordered 1
		.amdhsa_forward_progress 0
		.amdhsa_shared_vgpr_count 0
		.amdhsa_exception_fp_ieee_invalid_op 0
		.amdhsa_exception_fp_denorm_src 0
		.amdhsa_exception_fp_ieee_div_zero 0
		.amdhsa_exception_fp_ieee_overflow 0
		.amdhsa_exception_fp_ieee_underflow 0
		.amdhsa_exception_fp_ieee_inexact 0
		.amdhsa_exception_int_div_zero 0
	.end_amdhsa_kernel
	.section	.text._ZN2at6native12_GLOBAL__N_125multi_tensor_apply_kernelINS1_18TensorListMetadataILi3EEENS1_24BinaryOpListAlphaFunctorIN3c108BFloat16ELi3ELi2ELi2EEEJSt7dividesIfEfEEEvT_T0_DpT1_,"axG",@progbits,_ZN2at6native12_GLOBAL__N_125multi_tensor_apply_kernelINS1_18TensorListMetadataILi3EEENS1_24BinaryOpListAlphaFunctorIN3c108BFloat16ELi3ELi2ELi2EEEJSt7dividesIfEfEEEvT_T0_DpT1_,comdat
.Lfunc_end94:
	.size	_ZN2at6native12_GLOBAL__N_125multi_tensor_apply_kernelINS1_18TensorListMetadataILi3EEENS1_24BinaryOpListAlphaFunctorIN3c108BFloat16ELi3ELi2ELi2EEEJSt7dividesIfEfEEEvT_T0_DpT1_, .Lfunc_end94-_ZN2at6native12_GLOBAL__N_125multi_tensor_apply_kernelINS1_18TensorListMetadataILi3EEENS1_24BinaryOpListAlphaFunctorIN3c108BFloat16ELi3ELi2ELi2EEEJSt7dividesIfEfEEEvT_T0_DpT1_
                                        ; -- End function
	.section	.AMDGPU.csdata,"",@progbits
; Kernel info:
; codeLenInByte = 2976
; NumSgprs: 25
; NumVgprs: 43
; ScratchSize: 0
; MemoryBound: 0
; FloatMode: 240
; IeeeMode: 1
; LDSByteSize: 0 bytes/workgroup (compile time only)
; SGPRBlocks: 3
; VGPRBlocks: 5
; NumSGPRsForWavesPerEU: 25
; NumVGPRsForWavesPerEU: 43
; Occupancy: 16
; WaveLimiterHint : 0
; COMPUTE_PGM_RSRC2:SCRATCH_EN: 0
; COMPUTE_PGM_RSRC2:USER_SGPR: 15
; COMPUTE_PGM_RSRC2:TRAP_HANDLER: 0
; COMPUTE_PGM_RSRC2:TGID_X_EN: 1
; COMPUTE_PGM_RSRC2:TGID_Y_EN: 0
; COMPUTE_PGM_RSRC2:TGID_Z_EN: 0
; COMPUTE_PGM_RSRC2:TIDIG_COMP_CNT: 0
	.section	.text._ZN2at6native12_GLOBAL__N_125multi_tensor_apply_kernelINS1_18TensorListMetadataILi3EEENS1_24BinaryOpListAlphaFunctorIN3c104HalfELi3ELi2ELi2EEEJSt7dividesIfEfEEEvT_T0_DpT1_,"axG",@progbits,_ZN2at6native12_GLOBAL__N_125multi_tensor_apply_kernelINS1_18TensorListMetadataILi3EEENS1_24BinaryOpListAlphaFunctorIN3c104HalfELi3ELi2ELi2EEEJSt7dividesIfEfEEEvT_T0_DpT1_,comdat
	.globl	_ZN2at6native12_GLOBAL__N_125multi_tensor_apply_kernelINS1_18TensorListMetadataILi3EEENS1_24BinaryOpListAlphaFunctorIN3c104HalfELi3ELi2ELi2EEEJSt7dividesIfEfEEEvT_T0_DpT1_ ; -- Begin function _ZN2at6native12_GLOBAL__N_125multi_tensor_apply_kernelINS1_18TensorListMetadataILi3EEENS1_24BinaryOpListAlphaFunctorIN3c104HalfELi3ELi2ELi2EEEJSt7dividesIfEfEEEvT_T0_DpT1_
	.p2align	8
	.type	_ZN2at6native12_GLOBAL__N_125multi_tensor_apply_kernelINS1_18TensorListMetadataILi3EEENS1_24BinaryOpListAlphaFunctorIN3c104HalfELi3ELi2ELi2EEEJSt7dividesIfEfEEEvT_T0_DpT1_,@function
_ZN2at6native12_GLOBAL__N_125multi_tensor_apply_kernelINS1_18TensorListMetadataILi3EEENS1_24BinaryOpListAlphaFunctorIN3c104HalfELi3ELi2ELi2EEEJSt7dividesIfEfEEEvT_T0_DpT1_: ; @_ZN2at6native12_GLOBAL__N_125multi_tensor_apply_kernelINS1_18TensorListMetadataILi3EEENS1_24BinaryOpListAlphaFunctorIN3c104HalfELi3ELi2ELi2EEEJSt7dividesIfEfEEEvT_T0_DpT1_
; %bb.0:
	v_mov_b32_e32 v1, s15
	s_add_u32 s2, s0, s15
	s_mul_hi_u32 s3, s15, 3
	s_mul_i32 s15, s15, 3
	s_addc_u32 s4, s1, 0
	global_load_u8 v1, v1, s[0:1] offset:1536
	s_load_b32 s18, s[0:1], 0xc4c
	s_add_u32 s2, s2, s15
	s_addc_u32 s3, s4, s3
	s_load_b32 s2, s[2:3], 0x740
	s_waitcnt vmcnt(0)
	v_readfirstlane_b32 s3, v1
	s_delay_alu instid0(VALU_DEP_1)
	s_lshl_b32 s3, s3, 3
	s_clause 0x3
	s_load_b64 s[14:15], s[0:1], s3 offset:0x180
	s_load_b64 s[12:13], s[0:1], s3 offset:0x300
	;; [unrolled: 1-line block ×4, first 2 shown]
	s_waitcnt lgkmcnt(0)
	s_ashr_i32 s3, s2, 31
	s_delay_alu instid0(SALU_CYCLE_1) | instskip(NEXT) | instid1(SALU_CYCLE_1)
	s_lshl_b64 s[8:9], s[2:3], 17
	s_add_u32 s6, s14, s8
	s_delay_alu instid0(SALU_CYCLE_1) | instskip(NEXT) | instid1(SALU_CYCLE_1)
	s_or_b32 s6, s12, s6
	s_and_b32 s7, s6, 7
	s_and_b32 s6, s16, 7
	s_cmp_lg_u32 s7, 0
	s_mov_b32 s7, 0
	s_cselect_b32 s19, -1, 0
	s_lshl_b64 s[2:3], s[2:3], 16
	s_mov_b32 s21, s7
	s_sub_u32 s10, s4, s2
	s_subb_u32 s11, s5, s3
	s_and_b32 s20, s4, 3
	s_delay_alu instid0(SALU_CYCLE_1) | instskip(NEXT) | instid1(SALU_CYCLE_1)
	s_or_b64 s[2:3], s[6:7], s[20:21]
	s_cmp_lg_u64 s[2:3], 0
	s_cselect_b32 s2, -1, 0
	s_delay_alu instid0(SALU_CYCLE_1) | instskip(NEXT) | instid1(SALU_CYCLE_1)
	s_or_b32 s2, s19, s2
	s_and_not1_b32 vcc_lo, exec_lo, s2
	s_mov_b32 s2, -1
	s_cbranch_vccz .LBB95_5
; %bb.1:
	v_dual_mov_b32 v2, 0 :: v_dual_lshlrev_b32 v1, 2, v0
	s_mov_b32 s7, exec_lo
	s_delay_alu instid0(VALU_DEP_1)
	v_cmpx_gt_i64_e64 s[10:11], v[1:2]
	s_cbranch_execz .LBB95_4
; %bb.2:
	s_load_b32 s2, s[0:1], 0xc5c
	v_lshlrev_b32_e32 v1, 3, v0
	s_mov_b32 s19, s18
	s_mov_b32 s20, 0
	s_delay_alu instid0(VALU_DEP_1) | instskip(NEXT) | instid1(VALU_DEP_1)
	v_add_co_u32 v3, s3, s8, v1
	v_add_co_ci_u32_e64 v4, null, s9, 0, s3
	s_waitcnt lgkmcnt(0)
	s_and_b32 s2, s2, 0xffff
	s_delay_alu instid0(SALU_CYCLE_1)
	s_lshl_b32 s21, s2, 2
	v_add_lshl_u32 v1, v0, s2, 2
	s_add_u32 s22, s16, 4
	s_addc_u32 s23, s17, 0
	s_lshl_b32 s24, s2, 3
	s_add_u32 s25, s14, 4
	s_addc_u32 s26, s15, 0
.LBB95_3:                               ; =>This Inner Loop Header: Depth=1
	v_add_co_u32 v5, vcc_lo, s25, v3
	v_add_co_ci_u32_e32 v6, vcc_lo, s26, v4, vcc_lo
	v_add_co_u32 v7, vcc_lo, s22, v3
	v_add_co_ci_u32_e32 v8, vcc_lo, s23, v4, vcc_lo
	v_add_co_u32 v9, vcc_lo, s12, v3
	global_load_b64 v[5:6], v[5:6], off offset:-4
	global_load_b64 v[7:8], v[7:8], off offset:-4
	v_add_co_ci_u32_e32 v10, vcc_lo, s13, v4, vcc_lo
	v_cmp_le_i64_e64 s2, s[10:11], v[1:2]
	v_cmp_lt_u64_e64 s3, 0xffff, v[1:2]
	v_add_co_u32 v1, vcc_lo, v1, s21
	v_add_co_ci_u32_e32 v2, vcc_lo, 0, v2, vcc_lo
	s_delay_alu instid0(VALU_DEP_3) | instskip(NEXT) | instid1(SALU_CYCLE_1)
	s_or_b32 s2, s2, s3
	s_and_b32 s2, exec_lo, s2
	s_delay_alu instid0(SALU_CYCLE_1)
	s_or_b32 s20, s2, s20
	s_waitcnt vmcnt(1)
	v_lshrrev_b32_e32 v12, 16, v5
	v_cvt_f32_f16_e32 v5, v5
	s_waitcnt vmcnt(0)
	v_cvt_f32_f16_e32 v11, v7
	v_lshrrev_b32_e32 v14, 16, v6
	v_cvt_f32_f16_e32 v6, v6
	v_lshrrev_b32_e32 v7, 16, v7
	v_mul_f32_e32 v5, s18, v5
	v_cvt_f32_f16_e32 v12, v12
	v_cvt_f32_f16_e32 v13, v8
	v_mul_f32_e32 v6, s18, v6
	v_cvt_f32_f16_e32 v7, v7
	v_div_scale_f32 v15, null, v5, v5, v11
	v_lshrrev_b32_e32 v8, 16, v8
	v_cvt_f32_f16_e32 v14, v14
	v_div_scale_f32 v17, null, v6, v6, v13
	s_delay_alu instid0(VALU_DEP_4) | instskip(NEXT) | instid1(VALU_DEP_3)
	v_rcp_f32_e32 v21, v15
	v_cvt_f32_f16_e32 v8, v8
	v_div_scale_f32 v16, s4, v11, v5, v11
	s_delay_alu instid0(VALU_DEP_3)
	v_rcp_f32_e32 v24, v17
	v_div_scale_f32 v18, s5, v13, v6, v13
	s_waitcnt_depctr 0xfff
	v_fma_f32 v27, -v15, v21, 1.0
	v_mul_f32_e32 v12, s19, v12
	v_fma_f32 v28, -v17, v24, 1.0
	s_delay_alu instid0(VALU_DEP_3) | instskip(NEXT) | instid1(VALU_DEP_3)
	v_fmac_f32_e32 v21, v27, v21
	v_div_scale_f32 v19, null, v12, v12, v7
	v_div_scale_f32 v20, vcc_lo, v7, v12, v7
	s_delay_alu instid0(VALU_DEP_3) | instskip(NEXT) | instid1(VALU_DEP_3)
	v_mul_f32_e32 v27, v16, v21
	v_rcp_f32_e32 v25, v19
	s_delay_alu instid0(VALU_DEP_1) | instskip(NEXT) | instid1(VALU_DEP_1)
	v_fma_f32 v31, -v15, v27, v16
	v_dual_fmac_f32 v24, v28, v24 :: v_dual_fmac_f32 v27, v31, v21
	s_waitcnt_depctr 0xfff
	v_fma_f32 v29, -v19, v25, 1.0
	v_mul_f32_e32 v14, s19, v14
	v_fma_f32 v15, -v15, v27, v16
	s_delay_alu instid0(VALU_DEP_3) | instskip(NEXT) | instid1(VALU_DEP_3)
	v_fmac_f32_e32 v25, v29, v25
	v_div_scale_f32 v22, null, v14, v14, v8
	v_div_scale_f32 v23, s6, v8, v14, v8
	s_delay_alu instid0(VALU_DEP_3) | instskip(NEXT) | instid1(VALU_DEP_3)
	v_dual_mul_f32 v28, v18, v24 :: v_dual_mul_f32 v29, v20, v25
	v_rcp_f32_e32 v26, v22
	s_delay_alu instid0(VALU_DEP_1) | instskip(NEXT) | instid1(VALU_DEP_2)
	v_fma_f32 v32, -v17, v28, v18
	v_fma_f32 v33, -v19, v29, v20
	s_delay_alu instid0(VALU_DEP_1) | instskip(SKIP_4) | instid1(VALU_DEP_3)
	v_dual_fmac_f32 v28, v32, v24 :: v_dual_fmac_f32 v29, v33, v25
	s_waitcnt_depctr 0xfff
	v_fma_f32 v30, -v22, v26, 1.0
	v_fma_f32 v16, -v17, v28, v18
	v_fma_f32 v17, -v19, v29, v20
	v_fmac_f32_e32 v26, v30, v26
	s_delay_alu instid0(VALU_DEP_2) | instskip(NEXT) | instid1(VALU_DEP_2)
	v_div_fmas_f32 v17, v17, v25, v29
	v_mul_f32_e32 v30, v23, v26
	s_mov_b32 vcc_lo, s4
	v_div_fmas_f32 v15, v15, v21, v27
	s_mov_b32 vcc_lo, s6
	s_delay_alu instid0(VALU_DEP_2) | instskip(SKIP_1) | instid1(VALU_DEP_3)
	v_fma_f32 v34, -v22, v30, v23
	v_div_fixup_f32 v7, v17, v12, v7
	v_div_fixup_f32 v5, v15, v5, v11
	s_delay_alu instid0(VALU_DEP_3) | instskip(NEXT) | instid1(VALU_DEP_3)
	v_fmac_f32_e32 v30, v34, v26
	v_cvt_f16_f32_e32 v7, v7
	s_delay_alu instid0(VALU_DEP_3) | instskip(NEXT) | instid1(VALU_DEP_3)
	v_cvt_f16_f32_e32 v5, v5
	v_fma_f32 v18, -v22, v30, v23
	s_delay_alu instid0(VALU_DEP_2) | instskip(NEXT) | instid1(VALU_DEP_2)
	v_pack_b32_f16 v5, v5, v7
	v_div_fmas_f32 v18, v18, v26, v30
	s_mov_b32 vcc_lo, s5
	v_div_fmas_f32 v16, v16, v24, v28
	v_add_co_u32 v3, vcc_lo, v3, s24
	s_delay_alu instid0(VALU_DEP_3) | instskip(SKIP_1) | instid1(VALU_DEP_4)
	v_div_fixup_f32 v8, v18, v14, v8
	v_add_co_ci_u32_e32 v4, vcc_lo, 0, v4, vcc_lo
	v_div_fixup_f32 v6, v16, v6, v13
	s_delay_alu instid0(VALU_DEP_3) | instskip(NEXT) | instid1(VALU_DEP_2)
	v_cvt_f16_f32_e32 v8, v8
	v_cvt_f16_f32_e32 v6, v6
	s_delay_alu instid0(VALU_DEP_1)
	v_pack_b32_f16 v6, v6, v8
	global_store_b64 v[9:10], v[5:6], off
	s_and_not1_b32 exec_lo, exec_lo, s20
	s_cbranch_execnz .LBB95_3
.LBB95_4:
	s_or_b32 exec_lo, exec_lo, s7
	s_mov_b32 s2, 0
.LBB95_5:
	s_delay_alu instid0(SALU_CYCLE_1)
	s_and_not1_b32 vcc_lo, exec_lo, s2
	s_cbranch_vccnz .LBB95_25
; %bb.6:
	v_cmp_lt_i64_e64 s2, s[10:11], 1
	s_delay_alu instid0(VALU_DEP_1)
	s_and_b32 vcc_lo, exec_lo, s2
	s_cbranch_vccnz .LBB95_25
; %bb.7:
	s_load_b32 s0, s[0:1], 0xc5c
	v_dual_mov_b32 v14, 0 :: v_dual_lshlrev_b32 v13, 1, v0
	v_cmp_gt_u64_e64 s1, 0x10000, s[10:11]
	s_mov_b64 s[6:7], 0
	s_delay_alu instid0(VALU_DEP_2) | instskip(NEXT) | instid1(VALU_DEP_1)
	v_add_co_u32 v1, s2, s16, v13
	v_add_co_ci_u32_e64 v2, null, s17, 0, s2
	v_add_co_u32 v3, s2, s14, v13
	s_delay_alu instid0(VALU_DEP_1) | instskip(SKIP_1) | instid1(VALU_DEP_1)
	v_add_co_ci_u32_e64 v4, null, s15, 0, s2
	v_add_co_u32 v5, s2, s12, v13
	v_add_co_ci_u32_e64 v6, null, s13, 0, s2
	s_waitcnt lgkmcnt(0)
	s_and_b32 s0, s0, 0xffff
	s_and_b32 s1, s1, exec_lo
	v_mad_u64_u32 v[11:12], null, s0, 6, v[13:14]
	s_cselect_b32 s5, s11, 0
	s_cselect_b32 s4, s10, 0x10000
	s_mul_i32 s2, s0, 3
	s_lshl_b32 s19, s0, 2
	s_lshl_b32 s1, s0, 1
	v_add_co_u32 v20, s3, s19, v13
	v_add_co_u32 v13, s2, s2, v0
	v_add_co_u32 v7, vcc_lo, s16, v11
	v_add_co_ci_u32_e64 v14, null, 0, 0, s2
	v_add_co_u32 v19, s2, v0, s0
	v_add_co_ci_u32_e32 v8, vcc_lo, s17, v12, vcc_lo
	v_add_co_u32 v9, vcc_lo, s14, v11
	v_add_co_ci_u32_e32 v10, vcc_lo, s15, v12, vcc_lo
	v_add_co_u32 v11, vcc_lo, s12, v11
	v_add_co_ci_u32_e64 v21, null, 0, 0, s3
	v_lshlrev_b32_e32 v29, 1, v19
	v_add_co_ci_u32_e32 v12, vcc_lo, s13, v12, vcc_lo
	v_add_co_u32 v15, vcc_lo, s16, v20
	v_add_co_u32 v23, s1, s1, v0
	v_add_co_ci_u32_e32 v16, vcc_lo, s17, v21, vcc_lo
	v_add_co_ci_u32_e64 v24, null, 0, 0, s1
	v_add_co_u32 v25, s1, s16, v29
	v_add_co_u32 v17, vcc_lo, s14, v20
	v_add_co_ci_u32_e64 v26, null, s17, 0, s1
	v_add_co_u32 v27, s1, s14, v29
	v_add_co_ci_u32_e32 v18, vcc_lo, s15, v21, vcc_lo
	v_add_co_u32 v20, vcc_lo, s12, v20
	v_add_co_ci_u32_e64 v28, null, s15, 0, s1
	v_add_co_u32 v29, s1, s12, v29
	v_add_co_ci_u32_e32 v21, vcc_lo, s13, v21, vcc_lo
	v_add_co_ci_u32_e64 v22, null, 0, 0, s2
	v_add_co_ci_u32_e64 v30, null, s13, 0, s1
	s_lshl_b32 s12, s0, 3
	s_branch .LBB95_9
.LBB95_8:                               ;   in Loop: Header=BB95_9 Depth=1
	s_or_b32 exec_lo, exec_lo, s1
	v_add_co_u32 v1, vcc_lo, v1, s12
	v_add_co_ci_u32_e32 v2, vcc_lo, 0, v2, vcc_lo
	v_add_co_u32 v3, vcc_lo, v3, s12
	v_add_co_ci_u32_e32 v4, vcc_lo, 0, v4, vcc_lo
	;; [unrolled: 2-line block ×9, first 2 shown]
	s_add_u32 s6, s6, s19
	v_add_co_u32 v25, vcc_lo, v25, s12
	s_addc_u32 s7, s7, 0
	v_add_co_ci_u32_e32 v26, vcc_lo, 0, v26, vcc_lo
	v_cmp_ge_i64_e64 s0, s[6:7], s[10:11]
	v_cmp_lt_u64_e64 s1, 0xffff, s[6:7]
	v_add_co_u32 v27, vcc_lo, v27, s12
	v_add_co_ci_u32_e32 v28, vcc_lo, 0, v28, vcc_lo
	v_add_co_u32 v29, vcc_lo, v29, s12
	v_add_co_ci_u32_e32 v30, vcc_lo, 0, v30, vcc_lo
	s_or_b32 s0, s0, s1
	s_delay_alu instid0(SALU_CYCLE_1)
	s_and_b32 vcc_lo, exec_lo, s0
	s_cbranch_vccnz .LBB95_25
.LBB95_9:                               ; =>This Inner Loop Header: Depth=1
	s_waitcnt vmcnt(1)
	v_add_co_u32 v31, s0, v0, s6
	s_delay_alu instid0(VALU_DEP_1) | instskip(SKIP_3) | instid1(VALU_DEP_3)
	v_add_co_ci_u32_e64 v32, null, 0, s7, s0
	v_mov_b32_e32 v33, 0
	s_waitcnt vmcnt(0)
	v_mov_b32_e32 v37, 0
	v_cmp_gt_u64_e32 vcc_lo, s[4:5], v[31:32]
	s_and_saveexec_b32 s1, vcc_lo
	s_cbranch_execz .LBB95_11
; %bb.10:                               ;   in Loop: Header=BB95_9 Depth=1
	v_add_co_u32 v31, s0, v1, s8
	s_delay_alu instid0(VALU_DEP_1) | instskip(SKIP_1) | instid1(VALU_DEP_1)
	v_add_co_ci_u32_e64 v32, s0, s9, v2, s0
	v_add_co_u32 v34, s0, v3, s8
	v_add_co_ci_u32_e64 v35, s0, s9, v4, s0
	global_load_u16 v33, v[31:32], off
	global_load_u16 v37, v[34:35], off
.LBB95_11:                              ;   in Loop: Header=BB95_9 Depth=1
	s_or_b32 exec_lo, exec_lo, s1
	v_add_co_u32 v34, s0, v19, s6
	s_delay_alu instid0(VALU_DEP_1) | instskip(SKIP_1) | instid1(VALU_DEP_2)
	v_add_co_ci_u32_e64 v35, s0, s7, v22, s0
	v_dual_mov_b32 v31, 0 :: v_dual_mov_b32 v38, 0
	v_cmp_gt_u64_e64 s2, s[4:5], v[34:35]
	v_mov_b32_e32 v34, 0
	s_delay_alu instid0(VALU_DEP_2)
	s_and_saveexec_b32 s1, s2
	s_cbranch_execz .LBB95_13
; %bb.12:                               ;   in Loop: Header=BB95_9 Depth=1
	v_add_co_u32 v34, s0, v25, s8
	s_delay_alu instid0(VALU_DEP_1) | instskip(SKIP_1) | instid1(VALU_DEP_1)
	v_add_co_ci_u32_e64 v35, s0, s9, v26, s0
	v_add_co_u32 v38, s0, v27, s8
	v_add_co_ci_u32_e64 v39, s0, s9, v28, s0
	global_load_u16 v34, v[34:35], off
	global_load_u16 v38, v[38:39], off
.LBB95_13:                              ;   in Loop: Header=BB95_9 Depth=1
	s_or_b32 exec_lo, exec_lo, s1
	v_add_co_u32 v35, s0, v23, s6
	s_delay_alu instid0(VALU_DEP_1) | instskip(NEXT) | instid1(VALU_DEP_1)
	v_add_co_ci_u32_e64 v36, s0, s7, v24, s0
	v_cmp_gt_u64_e64 s1, s[4:5], v[35:36]
	v_mov_b32_e32 v36, 0
	s_delay_alu instid0(VALU_DEP_2)
	s_and_saveexec_b32 s3, s1
	s_cbranch_execz .LBB95_15
; %bb.14:                               ;   in Loop: Header=BB95_9 Depth=1
	v_add_co_u32 v31, s0, v15, s8
	s_delay_alu instid0(VALU_DEP_1) | instskip(SKIP_1) | instid1(VALU_DEP_1)
	v_add_co_ci_u32_e64 v32, s0, s9, v16, s0
	v_add_co_u32 v35, s0, v17, s8
	v_add_co_ci_u32_e64 v36, s0, s9, v18, s0
	global_load_u16 v31, v[31:32], off
	global_load_u16 v36, v[35:36], off
.LBB95_15:                              ;   in Loop: Header=BB95_9 Depth=1
	s_or_b32 exec_lo, exec_lo, s3
	v_add_co_u32 v39, s0, v13, s6
	s_delay_alu instid0(VALU_DEP_1) | instskip(SKIP_1) | instid1(VALU_DEP_2)
	v_add_co_ci_u32_e64 v40, s0, s7, v14, s0
	v_dual_mov_b32 v32, 0 :: v_dual_mov_b32 v35, 0
	v_cmp_gt_u64_e64 s0, s[4:5], v[39:40]
	s_delay_alu instid0(VALU_DEP_1)
	s_and_saveexec_b32 s13, s0
	s_cbranch_execnz .LBB95_20
; %bb.16:                               ;   in Loop: Header=BB95_9 Depth=1
	s_or_b32 exec_lo, exec_lo, s13
	s_and_saveexec_b32 s3, vcc_lo
	s_cbranch_execnz .LBB95_21
.LBB95_17:                              ;   in Loop: Header=BB95_9 Depth=1
	s_or_b32 exec_lo, exec_lo, s3
	s_and_saveexec_b32 s3, s2
	s_cbranch_execnz .LBB95_22
.LBB95_18:                              ;   in Loop: Header=BB95_9 Depth=1
	s_or_b32 exec_lo, exec_lo, s3
	s_and_saveexec_b32 s2, s1
	s_cbranch_execnz .LBB95_23
.LBB95_19:                              ;   in Loop: Header=BB95_9 Depth=1
	s_or_b32 exec_lo, exec_lo, s2
	s_and_saveexec_b32 s1, s0
	s_cbranch_execz .LBB95_8
	s_branch .LBB95_24
.LBB95_20:                              ;   in Loop: Header=BB95_9 Depth=1
	v_add_co_u32 v39, s3, v7, s8
	s_delay_alu instid0(VALU_DEP_1) | instskip(SKIP_1) | instid1(VALU_DEP_1)
	v_add_co_ci_u32_e64 v40, s3, s9, v8, s3
	v_add_co_u32 v41, s3, v9, s8
	v_add_co_ci_u32_e64 v42, s3, s9, v10, s3
	global_load_u16 v32, v[39:40], off
	global_load_u16 v35, v[41:42], off
	s_or_b32 exec_lo, exec_lo, s13
	s_and_saveexec_b32 s3, vcc_lo
	s_cbranch_execz .LBB95_17
.LBB95_21:                              ;   in Loop: Header=BB95_9 Depth=1
	s_waitcnt vmcnt(0)
	v_cvt_f32_f16_e32 v37, v37
	v_cvt_f32_f16_e32 v33, v33
	s_delay_alu instid0(VALU_DEP_2) | instskip(NEXT) | instid1(VALU_DEP_1)
	v_mul_f32_e32 v37, s18, v37
	v_div_scale_f32 v39, null, v37, v37, v33
	s_delay_alu instid0(VALU_DEP_1) | instskip(SKIP_2) | instid1(VALU_DEP_1)
	v_rcp_f32_e32 v40, v39
	s_waitcnt_depctr 0xfff
	v_fma_f32 v41, -v39, v40, 1.0
	v_fmac_f32_e32 v40, v41, v40
	v_div_scale_f32 v42, vcc_lo, v33, v37, v33
	s_delay_alu instid0(VALU_DEP_1) | instskip(NEXT) | instid1(VALU_DEP_1)
	v_mul_f32_e32 v41, v42, v40
	v_fma_f32 v43, -v39, v41, v42
	s_delay_alu instid0(VALU_DEP_1) | instskip(NEXT) | instid1(VALU_DEP_1)
	v_fmac_f32_e32 v41, v43, v40
	v_fma_f32 v39, -v39, v41, v42
	s_delay_alu instid0(VALU_DEP_1) | instskip(NEXT) | instid1(VALU_DEP_1)
	v_div_fmas_f32 v39, v39, v40, v41
	v_div_fixup_f32 v33, v39, v37, v33
	v_add_co_u32 v39, vcc_lo, v5, s8
	v_add_co_ci_u32_e32 v40, vcc_lo, s9, v6, vcc_lo
	s_delay_alu instid0(VALU_DEP_3)
	v_cvt_f16_f32_e32 v33, v33
	global_store_b16 v[39:40], v33, off
	s_or_b32 exec_lo, exec_lo, s3
	s_and_saveexec_b32 s3, s2
	s_cbranch_execz .LBB95_18
.LBB95_22:                              ;   in Loop: Header=BB95_9 Depth=1
	s_waitcnt vmcnt(0)
	v_cvt_f32_f16_e32 v33, v38
	v_cvt_f32_f16_e32 v34, v34
	s_delay_alu instid0(VALU_DEP_2) | instskip(NEXT) | instid1(VALU_DEP_1)
	v_mul_f32_e32 v33, s18, v33
	v_div_scale_f32 v37, null, v33, v33, v34
	s_delay_alu instid0(VALU_DEP_1) | instskip(SKIP_2) | instid1(VALU_DEP_1)
	v_rcp_f32_e32 v38, v37
	s_waitcnt_depctr 0xfff
	v_fma_f32 v39, -v37, v38, 1.0
	v_fmac_f32_e32 v38, v39, v38
	v_div_scale_f32 v40, vcc_lo, v34, v33, v34
	s_delay_alu instid0(VALU_DEP_1) | instskip(NEXT) | instid1(VALU_DEP_1)
	v_mul_f32_e32 v39, v40, v38
	v_fma_f32 v41, -v37, v39, v40
	s_delay_alu instid0(VALU_DEP_1) | instskip(NEXT) | instid1(VALU_DEP_1)
	v_fmac_f32_e32 v39, v41, v38
	v_fma_f32 v37, -v37, v39, v40
	s_delay_alu instid0(VALU_DEP_1) | instskip(NEXT) | instid1(VALU_DEP_1)
	v_div_fmas_f32 v37, v37, v38, v39
	v_div_fixup_f32 v33, v37, v33, v34
	s_delay_alu instid0(VALU_DEP_1)
	v_cvt_f16_f32_e32 v37, v33
	v_add_co_u32 v33, vcc_lo, v29, s8
	v_add_co_ci_u32_e32 v34, vcc_lo, s9, v30, vcc_lo
	global_store_b16 v[33:34], v37, off
	s_or_b32 exec_lo, exec_lo, s3
	s_and_saveexec_b32 s2, s1
	s_cbranch_execz .LBB95_19
.LBB95_23:                              ;   in Loop: Header=BB95_9 Depth=1
	s_waitcnt vmcnt(0)
	v_cvt_f32_f16_e32 v33, v36
	v_cvt_f32_f16_e32 v31, v31
	s_delay_alu instid0(VALU_DEP_2) | instskip(NEXT) | instid1(VALU_DEP_1)
	v_mul_f32_e32 v33, s18, v33
	v_div_scale_f32 v34, null, v33, v33, v31
	s_delay_alu instid0(VALU_DEP_1) | instskip(SKIP_2) | instid1(VALU_DEP_1)
	v_rcp_f32_e32 v36, v34
	s_waitcnt_depctr 0xfff
	v_fma_f32 v37, -v34, v36, 1.0
	v_fmac_f32_e32 v36, v37, v36
	v_div_scale_f32 v38, vcc_lo, v31, v33, v31
	s_delay_alu instid0(VALU_DEP_1) | instskip(NEXT) | instid1(VALU_DEP_1)
	v_mul_f32_e32 v37, v38, v36
	v_fma_f32 v39, -v34, v37, v38
	s_delay_alu instid0(VALU_DEP_1) | instskip(NEXT) | instid1(VALU_DEP_1)
	v_fmac_f32_e32 v37, v39, v36
	v_fma_f32 v34, -v34, v37, v38
	s_delay_alu instid0(VALU_DEP_1) | instskip(NEXT) | instid1(VALU_DEP_1)
	v_div_fmas_f32 v34, v34, v36, v37
	v_div_fixup_f32 v31, v34, v33, v31
	v_add_co_u32 v33, vcc_lo, v20, s8
	v_add_co_ci_u32_e32 v34, vcc_lo, s9, v21, vcc_lo
	s_delay_alu instid0(VALU_DEP_3)
	v_cvt_f16_f32_e32 v31, v31
	global_store_b16 v[33:34], v31, off
	s_or_b32 exec_lo, exec_lo, s2
	s_and_saveexec_b32 s1, s0
	s_cbranch_execz .LBB95_8
.LBB95_24:                              ;   in Loop: Header=BB95_9 Depth=1
	s_waitcnt vmcnt(0)
	v_cvt_f32_f16_e32 v31, v35
	v_cvt_f32_f16_e32 v32, v32
	s_delay_alu instid0(VALU_DEP_2) | instskip(NEXT) | instid1(VALU_DEP_1)
	v_mul_f32_e32 v31, s18, v31
	v_div_scale_f32 v33, null, v31, v31, v32
	s_delay_alu instid0(VALU_DEP_1) | instskip(SKIP_2) | instid1(VALU_DEP_1)
	v_rcp_f32_e32 v34, v33
	s_waitcnt_depctr 0xfff
	v_fma_f32 v35, -v33, v34, 1.0
	v_fmac_f32_e32 v34, v35, v34
	v_div_scale_f32 v36, vcc_lo, v32, v31, v32
	s_delay_alu instid0(VALU_DEP_1) | instskip(NEXT) | instid1(VALU_DEP_1)
	v_mul_f32_e32 v35, v36, v34
	v_fma_f32 v37, -v33, v35, v36
	s_delay_alu instid0(VALU_DEP_1) | instskip(NEXT) | instid1(VALU_DEP_1)
	v_fmac_f32_e32 v35, v37, v34
	v_fma_f32 v33, -v33, v35, v36
	s_delay_alu instid0(VALU_DEP_1) | instskip(NEXT) | instid1(VALU_DEP_1)
	v_div_fmas_f32 v33, v33, v34, v35
	v_div_fixup_f32 v31, v33, v31, v32
	s_delay_alu instid0(VALU_DEP_1)
	v_cvt_f16_f32_e32 v33, v31
	v_add_co_u32 v31, vcc_lo, v11, s8
	v_add_co_ci_u32_e32 v32, vcc_lo, s9, v12, vcc_lo
	global_store_b16 v[31:32], v33, off
	s_branch .LBB95_8
.LBB95_25:
	s_nop 0
	s_sendmsg sendmsg(MSG_DEALLOC_VGPRS)
	s_endpgm
	.section	.rodata,"a",@progbits
	.p2align	6, 0x0
	.amdhsa_kernel _ZN2at6native12_GLOBAL__N_125multi_tensor_apply_kernelINS1_18TensorListMetadataILi3EEENS1_24BinaryOpListAlphaFunctorIN3c104HalfELi3ELi2ELi2EEEJSt7dividesIfEfEEEvT_T0_DpT1_
		.amdhsa_group_segment_fixed_size 0
		.amdhsa_private_segment_fixed_size 0
		.amdhsa_kernarg_size 3408
		.amdhsa_user_sgpr_count 15
		.amdhsa_user_sgpr_dispatch_ptr 0
		.amdhsa_user_sgpr_queue_ptr 0
		.amdhsa_user_sgpr_kernarg_segment_ptr 1
		.amdhsa_user_sgpr_dispatch_id 0
		.amdhsa_user_sgpr_private_segment_size 0
		.amdhsa_wavefront_size32 1
		.amdhsa_uses_dynamic_stack 0
		.amdhsa_enable_private_segment 0
		.amdhsa_system_sgpr_workgroup_id_x 1
		.amdhsa_system_sgpr_workgroup_id_y 0
		.amdhsa_system_sgpr_workgroup_id_z 0
		.amdhsa_system_sgpr_workgroup_info 0
		.amdhsa_system_vgpr_workitem_id 0
		.amdhsa_next_free_vgpr 44
		.amdhsa_next_free_sgpr 27
		.amdhsa_reserve_vcc 1
		.amdhsa_float_round_mode_32 0
		.amdhsa_float_round_mode_16_64 0
		.amdhsa_float_denorm_mode_32 3
		.amdhsa_float_denorm_mode_16_64 3
		.amdhsa_dx10_clamp 1
		.amdhsa_ieee_mode 1
		.amdhsa_fp16_overflow 0
		.amdhsa_workgroup_processor_mode 1
		.amdhsa_memory_ordered 1
		.amdhsa_forward_progress 0
		.amdhsa_shared_vgpr_count 0
		.amdhsa_exception_fp_ieee_invalid_op 0
		.amdhsa_exception_fp_denorm_src 0
		.amdhsa_exception_fp_ieee_div_zero 0
		.amdhsa_exception_fp_ieee_overflow 0
		.amdhsa_exception_fp_ieee_underflow 0
		.amdhsa_exception_fp_ieee_inexact 0
		.amdhsa_exception_int_div_zero 0
	.end_amdhsa_kernel
	.section	.text._ZN2at6native12_GLOBAL__N_125multi_tensor_apply_kernelINS1_18TensorListMetadataILi3EEENS1_24BinaryOpListAlphaFunctorIN3c104HalfELi3ELi2ELi2EEEJSt7dividesIfEfEEEvT_T0_DpT1_,"axG",@progbits,_ZN2at6native12_GLOBAL__N_125multi_tensor_apply_kernelINS1_18TensorListMetadataILi3EEENS1_24BinaryOpListAlphaFunctorIN3c104HalfELi3ELi2ELi2EEEJSt7dividesIfEfEEEvT_T0_DpT1_,comdat
.Lfunc_end95:
	.size	_ZN2at6native12_GLOBAL__N_125multi_tensor_apply_kernelINS1_18TensorListMetadataILi3EEENS1_24BinaryOpListAlphaFunctorIN3c104HalfELi3ELi2ELi2EEEJSt7dividesIfEfEEEvT_T0_DpT1_, .Lfunc_end95-_ZN2at6native12_GLOBAL__N_125multi_tensor_apply_kernelINS1_18TensorListMetadataILi3EEENS1_24BinaryOpListAlphaFunctorIN3c104HalfELi3ELi2ELi2EEEJSt7dividesIfEfEEEvT_T0_DpT1_
                                        ; -- End function
	.section	.AMDGPU.csdata,"",@progbits
; Kernel info:
; codeLenInByte = 2592
; NumSgprs: 29
; NumVgprs: 44
; ScratchSize: 0
; MemoryBound: 0
; FloatMode: 240
; IeeeMode: 1
; LDSByteSize: 0 bytes/workgroup (compile time only)
; SGPRBlocks: 3
; VGPRBlocks: 5
; NumSGPRsForWavesPerEU: 29
; NumVGPRsForWavesPerEU: 44
; Occupancy: 16
; WaveLimiterHint : 0
; COMPUTE_PGM_RSRC2:SCRATCH_EN: 0
; COMPUTE_PGM_RSRC2:USER_SGPR: 15
; COMPUTE_PGM_RSRC2:TRAP_HANDLER: 0
; COMPUTE_PGM_RSRC2:TGID_X_EN: 1
; COMPUTE_PGM_RSRC2:TGID_Y_EN: 0
; COMPUTE_PGM_RSRC2:TGID_Z_EN: 0
; COMPUTE_PGM_RSRC2:TIDIG_COMP_CNT: 0
	.section	.text._ZN2at6native12_GLOBAL__N_125multi_tensor_apply_kernelINS1_18TensorListMetadataILi2EEENS1_24BinaryOpListAlphaFunctorIhLi2ELi2ELi0EEEJNS0_7minimumIhEEhEEEvT_T0_DpT1_,"axG",@progbits,_ZN2at6native12_GLOBAL__N_125multi_tensor_apply_kernelINS1_18TensorListMetadataILi2EEENS1_24BinaryOpListAlphaFunctorIhLi2ELi2ELi0EEEJNS0_7minimumIhEEhEEEvT_T0_DpT1_,comdat
	.globl	_ZN2at6native12_GLOBAL__N_125multi_tensor_apply_kernelINS1_18TensorListMetadataILi2EEENS1_24BinaryOpListAlphaFunctorIhLi2ELi2ELi0EEEJNS0_7minimumIhEEhEEEvT_T0_DpT1_ ; -- Begin function _ZN2at6native12_GLOBAL__N_125multi_tensor_apply_kernelINS1_18TensorListMetadataILi2EEENS1_24BinaryOpListAlphaFunctorIhLi2ELi2ELi0EEEJNS0_7minimumIhEEhEEEvT_T0_DpT1_
	.p2align	8
	.type	_ZN2at6native12_GLOBAL__N_125multi_tensor_apply_kernelINS1_18TensorListMetadataILi2EEENS1_24BinaryOpListAlphaFunctorIhLi2ELi2ELi0EEEJNS0_7minimumIhEEhEEEvT_T0_DpT1_,@function
_ZN2at6native12_GLOBAL__N_125multi_tensor_apply_kernelINS1_18TensorListMetadataILi2EEENS1_24BinaryOpListAlphaFunctorIhLi2ELi2ELi0EEEJNS0_7minimumIhEEhEEEvT_T0_DpT1_: ; @_ZN2at6native12_GLOBAL__N_125multi_tensor_apply_kernelINS1_18TensorListMetadataILi2EEENS1_24BinaryOpListAlphaFunctorIhLi2ELi2ELi0EEEJNS0_7minimumIhEEhEEEvT_T0_DpT1_
; %bb.0:
	v_mov_b32_e32 v1, s15
	s_add_u32 s2, s0, s15
	s_mul_hi_u32 s3, s15, 3
	s_mul_i32 s15, s15, 3
	s_addc_u32 s4, s1, 0
	global_load_u8 v1, v1, s[0:1] offset:1536
	s_add_u32 s2, s2, s15
	s_addc_u32 s3, s4, s3
	s_load_b32 s4, s[2:3], 0x740
	s_waitcnt lgkmcnt(0)
	s_ashr_i32 s5, s4, 31
	s_delay_alu instid0(SALU_CYCLE_1) | instskip(SKIP_2) | instid1(VALU_DEP_1)
	s_lshl_b64 s[12:13], s[4:5], 16
	s_waitcnt vmcnt(0)
	v_readfirstlane_b32 s2, v1
	s_lshl_b32 s2, s2, 3
	s_clause 0x3
	s_load_b64 s[8:9], s[0:1], s2 offset:0x0
	s_load_b64 s[10:11], s[0:1], s2 offset:0x200
	;; [unrolled: 1-line block ×3, first 2 shown]
	s_load_b32 s3, s[0:1], 0xc48
	s_waitcnt lgkmcnt(0)
	s_add_u32 s6, s8, s12
	s_addc_u32 s7, s9, s13
	s_add_u32 s14, s10, s12
	s_addc_u32 s15, s11, s13
	s_or_b64 s[4:5], s[16:17], s[6:7]
	s_delay_alu instid0(SALU_CYCLE_1) | instskip(NEXT) | instid1(SALU_CYCLE_1)
	s_or_b32 s2, s14, s4
	s_and_b32 s2, s2, 3
	s_sub_u32 s4, s16, s12
	s_subb_u32 s5, s17, s13
	s_cmp_eq_u32 s2, 0
	s_mov_b32 s2, -1
	s_cbranch_scc0 .LBB96_5
; %bb.1:
	v_dual_mov_b32 v2, 0 :: v_dual_lshlrev_b32 v1, 2, v0
	s_mov_b32 s16, exec_lo
	s_delay_alu instid0(VALU_DEP_1)
	v_cmpx_gt_i64_e64 s[4:5], v[1:2]
	s_cbranch_execz .LBB96_4
; %bb.2:
	s_load_b32 s2, s[0:1], 0xc5c
	s_mov_b32 s17, 0
	s_lshr_b32 s19, s3, 16
	s_waitcnt lgkmcnt(0)
	s_and_b32 s2, s2, 0xffff
	s_delay_alu instid0(SALU_CYCLE_1)
	s_lshl_b32 s18, s2, 2
.LBB96_3:                               ; =>This Inner Loop Header: Depth=1
	v_add_co_u32 v3, vcc_lo, s14, v1
	v_add_co_ci_u32_e32 v4, vcc_lo, s15, v2, vcc_lo
	v_add_co_u32 v5, vcc_lo, s6, v1
	v_add_co_ci_u32_e32 v6, vcc_lo, s7, v2, vcc_lo
	v_add_co_u32 v1, vcc_lo, s18, v1
	global_load_b32 v3, v[3:4], off
	global_load_b32 v4, v[5:6], off
	v_add_co_ci_u32_e32 v2, vcc_lo, 0, v2, vcc_lo
	s_delay_alu instid0(VALU_DEP_1) | instskip(SKIP_1) | instid1(VALU_DEP_1)
	v_cmp_le_i64_e32 vcc_lo, s[4:5], v[1:2]
	v_cmp_lt_u64_e64 s2, 0xffff, v[1:2]
	s_or_b32 s2, vcc_lo, s2
	s_delay_alu instid0(SALU_CYCLE_1) | instskip(NEXT) | instid1(SALU_CYCLE_1)
	s_and_b32 s2, exec_lo, s2
	s_or_b32 s17, s2, s17
	s_waitcnt vmcnt(1)
	v_lshrrev_b32_e32 v10, 8, v3
	v_mul_lo_u16 v8, v3, s19
	s_waitcnt vmcnt(0)
	v_lshrrev_b32_e32 v9, 8, v4
	v_lshrrev_b32_e32 v12, 16, v3
	;; [unrolled: 1-line block ×3, first 2 shown]
	v_mul_lo_u16 v10, v10, s19
	v_and_b32_e32 v7, 0xff, v4
	v_lshrrev_b32_e32 v11, 16, v4
	v_and_b32_e32 v8, 0xff, v8
	v_and_b32_e32 v9, 0xff, v9
	v_mul_lo_u16 v12, v12, s19
	v_mul_lo_u16 v3, v3, s19
	v_and_b32_e32 v10, 0xff, v10
	v_lshrrev_b32_e32 v4, 24, v4
	v_and_b32_e32 v11, 0xff, v11
	v_min_u16 v7, v7, v8
	v_and_b32_e32 v8, 0xff, v12
	v_and_b32_e32 v3, 0xff, v3
	v_min_u16 v9, v9, v10
	s_delay_alu instid0(VALU_DEP_4) | instskip(NEXT) | instid1(VALU_DEP_4)
	v_and_b32_e32 v7, 0xffff, v7
	v_min_u16 v8, v11, v8
	s_delay_alu instid0(VALU_DEP_4) | instskip(NEXT) | instid1(VALU_DEP_4)
	v_min_u16 v3, v4, v3
	v_and_b32_e32 v4, 0xffff, v9
	s_delay_alu instid0(VALU_DEP_3) | instskip(NEXT) | instid1(VALU_DEP_3)
	v_lshlrev_b32_e32 v8, 16, v8
	v_lshlrev_b32_e32 v3, 24, v3
	s_delay_alu instid0(VALU_DEP_3) | instskip(NEXT) | instid1(VALU_DEP_1)
	v_lshl_or_b32 v4, v4, 8, v7
	v_or3_b32 v3, v4, v8, v3
	global_store_b32 v[5:6], v3, off
	s_and_not1_b32 exec_lo, exec_lo, s17
	s_cbranch_execnz .LBB96_3
.LBB96_4:
	s_or_b32 exec_lo, exec_lo, s16
	s_mov_b32 s2, 0
.LBB96_5:
	s_delay_alu instid0(SALU_CYCLE_1)
	s_and_not1_b32 vcc_lo, exec_lo, s2
	s_cbranch_vccnz .LBB96_25
; %bb.6:
	v_cmp_lt_i64_e64 s2, s[4:5], 1
	s_delay_alu instid0(VALU_DEP_1)
	s_and_b32 vcc_lo, exec_lo, s2
	s_cbranch_vccnz .LBB96_25
; %bb.7:
	s_load_b32 s0, s[0:1], 0xc5c
	v_add_co_u32 v15, s1, s12, v0
	s_delay_alu instid0(VALU_DEP_1) | instskip(SKIP_1) | instid1(VALU_DEP_3)
	v_add_co_ci_u32_e64 v16, null, s13, 0, s1
	v_cmp_gt_u64_e64 s1, 0x10000, s[4:5]
	v_add_co_u32 v1, vcc_lo, s8, v15
	s_delay_alu instid0(VALU_DEP_3)
	v_add_co_ci_u32_e32 v2, vcc_lo, s9, v16, vcc_lo
	v_add_co_u32 v3, vcc_lo, s10, v15
	v_add_co_ci_u32_e32 v4, vcc_lo, s11, v16, vcc_lo
	s_waitcnt lgkmcnt(0)
	s_and_b32 s0, s0, 0xffff
	s_and_b32 s1, s1, exec_lo
	s_mul_i32 s2, s0, 3
	s_cselect_b32 s7, s5, 0
	s_cselect_b32 s6, s4, 0x10000
	s_lshl_b32 s1, s0, 1
	s_lshl_b32 s14, s0, 2
	s_add_u32 s15, s12, s2
	s_addc_u32 s16, s13, 0
	v_add_co_u32 v7, s15, s15, v0
	s_delay_alu instid0(VALU_DEP_1) | instskip(SKIP_1) | instid1(VALU_DEP_2)
	v_add_co_ci_u32_e64 v8, null, s16, 0, s15
	s_add_u32 s12, s12, s1
	v_add_co_u32 v5, vcc_lo, s8, v7
	s_addc_u32 s13, s13, 0
	v_add_co_u32 v13, s12, s12, v0
	v_add_co_ci_u32_e32 v6, vcc_lo, s9, v8, vcc_lo
	v_add_co_u32 v7, vcc_lo, s10, v7
	v_add_co_ci_u32_e64 v14, null, s13, 0, s12
	v_add_co_ci_u32_e32 v8, vcc_lo, s11, v8, vcc_lo
	v_add_co_u32 v11, vcc_lo, s8, v13
	s_delay_alu instid0(VALU_DEP_3)
	v_add_co_ci_u32_e32 v12, vcc_lo, s9, v14, vcc_lo
	v_add_co_u32 v13, vcc_lo, s10, v13
	v_add_co_ci_u32_e32 v14, vcc_lo, s11, v14, vcc_lo
	v_add_co_u32 v19, vcc_lo, v15, s0
	v_add_co_ci_u32_e32 v20, vcc_lo, 0, v16, vcc_lo
	v_add_co_u32 v9, s2, s2, v0
	s_delay_alu instid0(VALU_DEP_3) | instskip(NEXT) | instid1(VALU_DEP_3)
	v_add_co_u32 v17, vcc_lo, s8, v19
	v_add_co_ci_u32_e32 v18, vcc_lo, s9, v20, vcc_lo
	v_add_co_u32 v15, s1, s1, v0
	v_add_co_u32 v19, vcc_lo, s10, v19
	v_add_co_u32 v21, s0, v0, s0
	v_add_co_ci_u32_e64 v10, null, 0, 0, s2
	v_add_co_ci_u32_e64 v16, null, 0, 0, s1
	v_add_co_ci_u32_e32 v20, vcc_lo, s11, v20, vcc_lo
	v_add_co_ci_u32_e64 v22, null, 0, 0, s0
	s_mov_b64 s[8:9], 0
	s_lshr_b32 s10, s3, 16
	s_branch .LBB96_9
.LBB96_8:                               ;   in Loop: Header=BB96_9 Depth=1
	s_or_b32 exec_lo, exec_lo, s0
	s_add_u32 s8, s8, s14
	s_addc_u32 s9, s9, 0
	s_delay_alu instid0(SALU_CYCLE_1) | instskip(SKIP_1) | instid1(VALU_DEP_1)
	v_cmp_ge_i64_e64 s0, s[8:9], s[4:5]
	v_cmp_lt_u64_e64 s1, 0xffff, s[8:9]
	s_or_b32 s0, s0, s1
	s_delay_alu instid0(SALU_CYCLE_1)
	s_and_b32 vcc_lo, exec_lo, s0
	s_cbranch_vccnz .LBB96_25
.LBB96_9:                               ; =>This Inner Loop Header: Depth=1
	s_waitcnt vmcnt(0)
	v_add_co_u32 v25, s0, v0, s8
	s_delay_alu instid0(VALU_DEP_1) | instskip(SKIP_1) | instid1(VALU_DEP_2)
	v_add_co_ci_u32_e64 v26, null, 0, s9, s0
	v_dual_mov_b32 v24, 0 :: v_dual_mov_b32 v23, 0
	v_cmp_gt_u64_e32 vcc_lo, s[6:7], v[25:26]
	v_mov_b32_e32 v25, 0
	s_and_saveexec_b32 s1, vcc_lo
	s_cbranch_execz .LBB96_11
; %bb.10:                               ;   in Loop: Header=BB96_9 Depth=1
	v_add_co_u32 v25, s0, v1, s8
	s_delay_alu instid0(VALU_DEP_1) | instskip(SKIP_1) | instid1(VALU_DEP_1)
	v_add_co_ci_u32_e64 v26, s0, s9, v2, s0
	v_add_co_u32 v27, s0, v3, s8
	v_add_co_ci_u32_e64 v28, s0, s9, v4, s0
	global_load_u8 v23, v[25:26], off
	global_load_u8 v25, v[27:28], off
.LBB96_11:                              ;   in Loop: Header=BB96_9 Depth=1
	s_or_b32 exec_lo, exec_lo, s1
	v_add_co_u32 v26, s0, v21, s8
	s_delay_alu instid0(VALU_DEP_1) | instskip(NEXT) | instid1(VALU_DEP_1)
	v_add_co_ci_u32_e64 v27, s0, s9, v22, s0
	v_cmp_gt_u64_e64 s0, s[6:7], v[26:27]
	s_delay_alu instid0(VALU_DEP_1)
	s_and_saveexec_b32 s2, s0
	s_cbranch_execz .LBB96_13
; %bb.12:                               ;   in Loop: Header=BB96_9 Depth=1
	v_add_co_u32 v26, s1, v17, s8
	s_delay_alu instid0(VALU_DEP_1) | instskip(SKIP_2) | instid1(VALU_DEP_1)
	v_add_co_ci_u32_e64 v27, s1, s9, v18, s1
	global_load_u8 v28, v[26:27], off
	v_add_co_u32 v26, s1, v19, s8
	v_add_co_ci_u32_e64 v27, s1, s9, v20, s1
	global_load_u8 v24, v[26:27], off
	s_waitcnt vmcnt(1)
	v_lshl_or_b32 v23, v28, 8, v23
.LBB96_13:                              ;   in Loop: Header=BB96_9 Depth=1
	s_or_b32 exec_lo, exec_lo, s2
	v_add_co_u32 v26, s1, v15, s8
	s_delay_alu instid0(VALU_DEP_1) | instskip(NEXT) | instid1(VALU_DEP_1)
	v_add_co_ci_u32_e64 v27, s1, s9, v16, s1
	v_cmp_gt_u64_e64 s1, s[6:7], v[26:27]
	v_dual_mov_b32 v26, 0 :: v_dual_mov_b32 v27, 0
	s_delay_alu instid0(VALU_DEP_2)
	s_and_saveexec_b32 s3, s1
	s_cbranch_execz .LBB96_15
; %bb.14:                               ;   in Loop: Header=BB96_9 Depth=1
	v_add_co_u32 v27, s2, v11, s8
	s_delay_alu instid0(VALU_DEP_1) | instskip(SKIP_2) | instid1(VALU_DEP_1)
	v_add_co_ci_u32_e64 v28, s2, s9, v12, s2
	global_load_u8 v29, v[27:28], off
	v_add_co_u32 v27, s2, v13, s8
	v_add_co_ci_u32_e64 v28, s2, s9, v14, s2
	global_load_u8 v27, v[27:28], off
	s_waitcnt vmcnt(1)
	v_lshl_or_b32 v23, v29, 16, v23
.LBB96_15:                              ;   in Loop: Header=BB96_9 Depth=1
	s_or_b32 exec_lo, exec_lo, s3
	v_add_co_u32 v28, s2, v9, s8
	s_delay_alu instid0(VALU_DEP_1) | instskip(NEXT) | instid1(VALU_DEP_1)
	v_add_co_ci_u32_e64 v29, s2, s9, v10, s2
	v_cmp_gt_u64_e64 s2, s[6:7], v[28:29]
	s_delay_alu instid0(VALU_DEP_1)
	s_and_saveexec_b32 s11, s2
	s_cbranch_execnz .LBB96_20
; %bb.16:                               ;   in Loop: Header=BB96_9 Depth=1
	s_or_b32 exec_lo, exec_lo, s11
	s_and_saveexec_b32 s3, vcc_lo
	s_cbranch_execnz .LBB96_21
.LBB96_17:                              ;   in Loop: Header=BB96_9 Depth=1
	s_or_b32 exec_lo, exec_lo, s3
	s_and_saveexec_b32 s3, s0
	s_cbranch_execnz .LBB96_22
.LBB96_18:                              ;   in Loop: Header=BB96_9 Depth=1
	s_or_b32 exec_lo, exec_lo, s3
	s_and_saveexec_b32 s0, s1
	s_cbranch_execnz .LBB96_23
.LBB96_19:                              ;   in Loop: Header=BB96_9 Depth=1
	s_or_b32 exec_lo, exec_lo, s0
	s_and_saveexec_b32 s0, s2
	s_cbranch_execz .LBB96_8
	s_branch .LBB96_24
.LBB96_20:                              ;   in Loop: Header=BB96_9 Depth=1
	v_add_co_u32 v28, s3, v5, s8
	s_delay_alu instid0(VALU_DEP_1) | instskip(SKIP_2) | instid1(VALU_DEP_1)
	v_add_co_ci_u32_e64 v29, s3, s9, v6, s3
	global_load_u8 v30, v[28:29], off
	v_add_co_u32 v28, s3, v7, s8
	v_add_co_ci_u32_e64 v29, s3, s9, v8, s3
	global_load_u8 v26, v[28:29], off
	s_waitcnt vmcnt(1)
	v_lshl_or_b32 v23, v30, 24, v23
	s_or_b32 exec_lo, exec_lo, s11
	s_and_saveexec_b32 s3, vcc_lo
	s_cbranch_execz .LBB96_17
.LBB96_21:                              ;   in Loop: Header=BB96_9 Depth=1
	s_waitcnt vmcnt(0)
	v_mul_lo_u16 v25, v25, s10
	v_and_b32_e32 v28, 0xff, v23
	s_delay_alu instid0(VALU_DEP_2) | instskip(NEXT) | instid1(VALU_DEP_1)
	v_and_b32_e32 v25, 0xff, v25
	v_min_u16 v25, v28, v25
	v_add_co_u32 v28, vcc_lo, v1, s8
	v_add_co_ci_u32_e32 v29, vcc_lo, s9, v2, vcc_lo
	global_store_b8 v[28:29], v25, off
	s_or_b32 exec_lo, exec_lo, s3
	s_and_saveexec_b32 s3, s0
	s_cbranch_execz .LBB96_18
.LBB96_22:                              ;   in Loop: Header=BB96_9 Depth=1
	s_waitcnt vmcnt(0)
	v_lshrrev_b32_e32 v25, 8, v23
	v_mul_lo_u16 v24, v24, s10
	s_delay_alu instid0(VALU_DEP_2) | instskip(NEXT) | instid1(VALU_DEP_2)
	v_and_b32_e32 v25, 0xff, v25
	v_and_b32_e32 v24, 0xff, v24
	s_delay_alu instid0(VALU_DEP_1)
	v_min_u16 v28, v25, v24
	v_add_co_u32 v24, vcc_lo, v17, s8
	v_add_co_ci_u32_e32 v25, vcc_lo, s9, v18, vcc_lo
	global_store_b8 v[24:25], v28, off
	s_or_b32 exec_lo, exec_lo, s3
	s_and_saveexec_b32 s0, s1
	s_cbranch_execz .LBB96_19
.LBB96_23:                              ;   in Loop: Header=BB96_9 Depth=1
	s_waitcnt vmcnt(0)
	v_lshrrev_b32_e32 v24, 16, v23
	v_mul_lo_u16 v25, v27, s10
	s_delay_alu instid0(VALU_DEP_2) | instskip(NEXT) | instid1(VALU_DEP_2)
	v_and_b32_e32 v24, 0xff, v24
	v_and_b32_e32 v25, 0xff, v25
	s_delay_alu instid0(VALU_DEP_1)
	v_min_u16 v27, v24, v25
	v_add_co_u32 v24, vcc_lo, v11, s8
	v_add_co_ci_u32_e32 v25, vcc_lo, s9, v12, vcc_lo
	global_store_b8 v[24:25], v27, off
	s_or_b32 exec_lo, exec_lo, s0
	s_and_saveexec_b32 s0, s2
	s_cbranch_execz .LBB96_8
.LBB96_24:                              ;   in Loop: Header=BB96_9 Depth=1
	s_waitcnt vmcnt(0)
	v_mul_lo_u16 v24, v26, s10
	v_lshrrev_b32_e32 v23, 24, v23
	s_delay_alu instid0(VALU_DEP_2) | instskip(NEXT) | instid1(VALU_DEP_1)
	v_and_b32_e32 v24, 0xff, v24
	v_min_u16 v25, v23, v24
	v_add_co_u32 v23, vcc_lo, v5, s8
	v_add_co_ci_u32_e32 v24, vcc_lo, s9, v6, vcc_lo
	global_store_b8 v[23:24], v25, off
	s_branch .LBB96_8
.LBB96_25:
	s_nop 0
	s_sendmsg sendmsg(MSG_DEALLOC_VGPRS)
	s_endpgm
	.section	.rodata,"a",@progbits
	.p2align	6, 0x0
	.amdhsa_kernel _ZN2at6native12_GLOBAL__N_125multi_tensor_apply_kernelINS1_18TensorListMetadataILi2EEENS1_24BinaryOpListAlphaFunctorIhLi2ELi2ELi0EEEJNS0_7minimumIhEEhEEEvT_T0_DpT1_
		.amdhsa_group_segment_fixed_size 0
		.amdhsa_private_segment_fixed_size 0
		.amdhsa_kernarg_size 3408
		.amdhsa_user_sgpr_count 15
		.amdhsa_user_sgpr_dispatch_ptr 0
		.amdhsa_user_sgpr_queue_ptr 0
		.amdhsa_user_sgpr_kernarg_segment_ptr 1
		.amdhsa_user_sgpr_dispatch_id 0
		.amdhsa_user_sgpr_private_segment_size 0
		.amdhsa_wavefront_size32 1
		.amdhsa_uses_dynamic_stack 0
		.amdhsa_enable_private_segment 0
		.amdhsa_system_sgpr_workgroup_id_x 1
		.amdhsa_system_sgpr_workgroup_id_y 0
		.amdhsa_system_sgpr_workgroup_id_z 0
		.amdhsa_system_sgpr_workgroup_info 0
		.amdhsa_system_vgpr_workitem_id 0
		.amdhsa_next_free_vgpr 31
		.amdhsa_next_free_sgpr 20
		.amdhsa_reserve_vcc 1
		.amdhsa_float_round_mode_32 0
		.amdhsa_float_round_mode_16_64 0
		.amdhsa_float_denorm_mode_32 3
		.amdhsa_float_denorm_mode_16_64 3
		.amdhsa_dx10_clamp 1
		.amdhsa_ieee_mode 1
		.amdhsa_fp16_overflow 0
		.amdhsa_workgroup_processor_mode 1
		.amdhsa_memory_ordered 1
		.amdhsa_forward_progress 0
		.amdhsa_shared_vgpr_count 0
		.amdhsa_exception_fp_ieee_invalid_op 0
		.amdhsa_exception_fp_denorm_src 0
		.amdhsa_exception_fp_ieee_div_zero 0
		.amdhsa_exception_fp_ieee_overflow 0
		.amdhsa_exception_fp_ieee_underflow 0
		.amdhsa_exception_fp_ieee_inexact 0
		.amdhsa_exception_int_div_zero 0
	.end_amdhsa_kernel
	.section	.text._ZN2at6native12_GLOBAL__N_125multi_tensor_apply_kernelINS1_18TensorListMetadataILi2EEENS1_24BinaryOpListAlphaFunctorIhLi2ELi2ELi0EEEJNS0_7minimumIhEEhEEEvT_T0_DpT1_,"axG",@progbits,_ZN2at6native12_GLOBAL__N_125multi_tensor_apply_kernelINS1_18TensorListMetadataILi2EEENS1_24BinaryOpListAlphaFunctorIhLi2ELi2ELi0EEEJNS0_7minimumIhEEhEEEvT_T0_DpT1_,comdat
.Lfunc_end96:
	.size	_ZN2at6native12_GLOBAL__N_125multi_tensor_apply_kernelINS1_18TensorListMetadataILi2EEENS1_24BinaryOpListAlphaFunctorIhLi2ELi2ELi0EEEJNS0_7minimumIhEEhEEEvT_T0_DpT1_, .Lfunc_end96-_ZN2at6native12_GLOBAL__N_125multi_tensor_apply_kernelINS1_18TensorListMetadataILi2EEENS1_24BinaryOpListAlphaFunctorIhLi2ELi2ELi0EEEJNS0_7minimumIhEEhEEEvT_T0_DpT1_
                                        ; -- End function
	.section	.AMDGPU.csdata,"",@progbits
; Kernel info:
; codeLenInByte = 1744
; NumSgprs: 22
; NumVgprs: 31
; ScratchSize: 0
; MemoryBound: 0
; FloatMode: 240
; IeeeMode: 1
; LDSByteSize: 0 bytes/workgroup (compile time only)
; SGPRBlocks: 2
; VGPRBlocks: 3
; NumSGPRsForWavesPerEU: 22
; NumVGPRsForWavesPerEU: 31
; Occupancy: 16
; WaveLimiterHint : 0
; COMPUTE_PGM_RSRC2:SCRATCH_EN: 0
; COMPUTE_PGM_RSRC2:USER_SGPR: 15
; COMPUTE_PGM_RSRC2:TRAP_HANDLER: 0
; COMPUTE_PGM_RSRC2:TGID_X_EN: 1
; COMPUTE_PGM_RSRC2:TGID_Y_EN: 0
; COMPUTE_PGM_RSRC2:TGID_Z_EN: 0
; COMPUTE_PGM_RSRC2:TIDIG_COMP_CNT: 0
	.section	.text._ZN2at6native12_GLOBAL__N_125multi_tensor_apply_kernelINS1_18TensorListMetadataILi2EEENS1_24BinaryOpListAlphaFunctorIaLi2ELi2ELi0EEEJNS0_7minimumIaEEaEEEvT_T0_DpT1_,"axG",@progbits,_ZN2at6native12_GLOBAL__N_125multi_tensor_apply_kernelINS1_18TensorListMetadataILi2EEENS1_24BinaryOpListAlphaFunctorIaLi2ELi2ELi0EEEJNS0_7minimumIaEEaEEEvT_T0_DpT1_,comdat
	.globl	_ZN2at6native12_GLOBAL__N_125multi_tensor_apply_kernelINS1_18TensorListMetadataILi2EEENS1_24BinaryOpListAlphaFunctorIaLi2ELi2ELi0EEEJNS0_7minimumIaEEaEEEvT_T0_DpT1_ ; -- Begin function _ZN2at6native12_GLOBAL__N_125multi_tensor_apply_kernelINS1_18TensorListMetadataILi2EEENS1_24BinaryOpListAlphaFunctorIaLi2ELi2ELi0EEEJNS0_7minimumIaEEaEEEvT_T0_DpT1_
	.p2align	8
	.type	_ZN2at6native12_GLOBAL__N_125multi_tensor_apply_kernelINS1_18TensorListMetadataILi2EEENS1_24BinaryOpListAlphaFunctorIaLi2ELi2ELi0EEEJNS0_7minimumIaEEaEEEvT_T0_DpT1_,@function
_ZN2at6native12_GLOBAL__N_125multi_tensor_apply_kernelINS1_18TensorListMetadataILi2EEENS1_24BinaryOpListAlphaFunctorIaLi2ELi2ELi0EEEJNS0_7minimumIaEEaEEEvT_T0_DpT1_: ; @_ZN2at6native12_GLOBAL__N_125multi_tensor_apply_kernelINS1_18TensorListMetadataILi2EEENS1_24BinaryOpListAlphaFunctorIaLi2ELi2ELi0EEEJNS0_7minimumIaEEaEEEvT_T0_DpT1_
; %bb.0:
	v_mov_b32_e32 v1, s15
	s_add_u32 s2, s0, s15
	s_mul_hi_u32 s3, s15, 3
	s_mul_i32 s15, s15, 3
	s_addc_u32 s4, s1, 0
	global_load_u8 v1, v1, s[0:1] offset:1536
	s_add_u32 s2, s2, s15
	s_addc_u32 s3, s4, s3
	s_load_b32 s4, s[2:3], 0x740
	s_waitcnt lgkmcnt(0)
	s_ashr_i32 s5, s4, 31
	s_delay_alu instid0(SALU_CYCLE_1) | instskip(SKIP_2) | instid1(VALU_DEP_1)
	s_lshl_b64 s[12:13], s[4:5], 16
	s_waitcnt vmcnt(0)
	v_readfirstlane_b32 s2, v1
	s_lshl_b32 s2, s2, 3
	s_clause 0x3
	s_load_b64 s[8:9], s[0:1], s2 offset:0x0
	s_load_b64 s[10:11], s[0:1], s2 offset:0x200
	;; [unrolled: 1-line block ×3, first 2 shown]
	s_load_b32 s3, s[0:1], 0xc48
	s_waitcnt lgkmcnt(0)
	s_add_u32 s6, s8, s12
	s_addc_u32 s7, s9, s13
	s_add_u32 s14, s10, s12
	s_addc_u32 s15, s11, s13
	s_or_b64 s[4:5], s[16:17], s[6:7]
	s_delay_alu instid0(SALU_CYCLE_1) | instskip(NEXT) | instid1(SALU_CYCLE_1)
	s_or_b32 s2, s14, s4
	s_and_b32 s2, s2, 3
	s_sub_u32 s4, s16, s12
	s_subb_u32 s5, s17, s13
	s_cmp_eq_u32 s2, 0
	s_mov_b32 s2, -1
	s_cbranch_scc0 .LBB97_5
; %bb.1:
	v_dual_mov_b32 v2, 0 :: v_dual_lshlrev_b32 v1, 2, v0
	s_mov_b32 s16, exec_lo
	s_delay_alu instid0(VALU_DEP_1)
	v_cmpx_gt_i64_e64 s[4:5], v[1:2]
	s_cbranch_execz .LBB97_4
; %bb.2:
	s_load_b32 s2, s[0:1], 0xc5c
	s_mov_b32 s17, 0
	s_lshr_b32 s19, s3, 16
	s_waitcnt lgkmcnt(0)
	s_and_b32 s2, s2, 0xffff
	s_delay_alu instid0(SALU_CYCLE_1)
	s_lshl_b32 s18, s2, 2
.LBB97_3:                               ; =>This Inner Loop Header: Depth=1
	v_add_co_u32 v3, vcc_lo, s14, v1
	v_add_co_ci_u32_e32 v4, vcc_lo, s15, v2, vcc_lo
	v_add_co_u32 v5, vcc_lo, s6, v1
	v_add_co_ci_u32_e32 v6, vcc_lo, s7, v2, vcc_lo
	v_add_co_u32 v1, vcc_lo, s18, v1
	global_load_b32 v3, v[3:4], off
	global_load_b32 v4, v[5:6], off
	v_add_co_ci_u32_e32 v2, vcc_lo, 0, v2, vcc_lo
	s_delay_alu instid0(VALU_DEP_1) | instskip(SKIP_1) | instid1(VALU_DEP_1)
	v_cmp_le_i64_e32 vcc_lo, s[4:5], v[1:2]
	v_cmp_lt_u64_e64 s2, 0xffff, v[1:2]
	s_or_b32 s2, vcc_lo, s2
	s_delay_alu instid0(SALU_CYCLE_1) | instskip(NEXT) | instid1(SALU_CYCLE_1)
	s_and_b32 s2, exec_lo, s2
	s_or_b32 s17, s2, s17
	s_waitcnt vmcnt(1)
	v_lshrrev_b32_e32 v10, 8, v3
	v_lshrrev_b32_e32 v12, 16, v3
	v_mul_lo_u16 v8, v3, s19
	s_waitcnt vmcnt(0)
	v_lshrrev_b32_e32 v9, 8, v4
	v_lshrrev_b32_e32 v11, 16, v4
	;; [unrolled: 1-line block ×3, first 2 shown]
	v_mul_lo_u16 v10, v10, s19
	v_mul_lo_u16 v12, v12, s19
	v_bfe_i32 v7, v4, 0, 8
	v_lshrrev_b32_e32 v4, 24, v4
	v_bfe_i32 v9, v9, 0, 8
	v_bfe_i32 v11, v11, 0, 8
	v_mul_lo_u16 v3, v3, s19
	v_bfe_i32 v10, v10, 0, 8
	v_bfe_i32 v12, v12, 0, 8
	v_bfe_i32 v8, v8, 0, 8
	v_bfe_i32 v4, v4, 0, 8
	v_bfe_i32 v3, v3, 0, 8
	v_min_i16 v9, v9, v10
	v_min_i16 v10, v11, v12
	;; [unrolled: 1-line block ×3, first 2 shown]
	s_delay_alu instid0(VALU_DEP_4) | instskip(NEXT) | instid1(VALU_DEP_4)
	v_min_i16 v3, v4, v3
	v_and_b32_e32 v4, 0xff, v9
	s_delay_alu instid0(VALU_DEP_4) | instskip(NEXT) | instid1(VALU_DEP_3)
	v_and_b32_e32 v8, 0xff, v10
	v_lshlrev_b32_e32 v3, 24, v3
	s_delay_alu instid0(VALU_DEP_3) | instskip(NEXT) | instid1(VALU_DEP_3)
	v_perm_b32 v4, v4, v7, 0x6050400
	v_lshlrev_b32_e32 v7, 16, v8
	s_delay_alu instid0(VALU_DEP_1)
	v_or3_b32 v3, v4, v7, v3
	global_store_b32 v[5:6], v3, off
	s_and_not1_b32 exec_lo, exec_lo, s17
	s_cbranch_execnz .LBB97_3
.LBB97_4:
	s_or_b32 exec_lo, exec_lo, s16
	s_mov_b32 s2, 0
.LBB97_5:
	s_delay_alu instid0(SALU_CYCLE_1)
	s_and_not1_b32 vcc_lo, exec_lo, s2
	s_cbranch_vccnz .LBB97_25
; %bb.6:
	v_cmp_lt_i64_e64 s2, s[4:5], 1
	s_delay_alu instid0(VALU_DEP_1)
	s_and_b32 vcc_lo, exec_lo, s2
	s_cbranch_vccnz .LBB97_25
; %bb.7:
	s_load_b32 s0, s[0:1], 0xc5c
	v_add_co_u32 v15, s1, s12, v0
	s_delay_alu instid0(VALU_DEP_1) | instskip(SKIP_1) | instid1(VALU_DEP_3)
	v_add_co_ci_u32_e64 v16, null, s13, 0, s1
	v_cmp_gt_u64_e64 s1, 0x10000, s[4:5]
	v_add_co_u32 v1, vcc_lo, s8, v15
	s_delay_alu instid0(VALU_DEP_3)
	v_add_co_ci_u32_e32 v2, vcc_lo, s9, v16, vcc_lo
	v_add_co_u32 v3, vcc_lo, s10, v15
	v_add_co_ci_u32_e32 v4, vcc_lo, s11, v16, vcc_lo
	s_waitcnt lgkmcnt(0)
	s_and_b32 s0, s0, 0xffff
	s_and_b32 s1, s1, exec_lo
	s_mul_i32 s2, s0, 3
	s_cselect_b32 s7, s5, 0
	s_cselect_b32 s6, s4, 0x10000
	s_lshl_b32 s1, s0, 1
	s_lshl_b32 s14, s0, 2
	s_add_u32 s15, s12, s2
	s_addc_u32 s16, s13, 0
	v_add_co_u32 v7, s15, s15, v0
	s_delay_alu instid0(VALU_DEP_1) | instskip(SKIP_1) | instid1(VALU_DEP_2)
	v_add_co_ci_u32_e64 v8, null, s16, 0, s15
	s_add_u32 s12, s12, s1
	v_add_co_u32 v5, vcc_lo, s8, v7
	s_addc_u32 s13, s13, 0
	v_add_co_u32 v13, s12, s12, v0
	v_add_co_ci_u32_e32 v6, vcc_lo, s9, v8, vcc_lo
	v_add_co_u32 v7, vcc_lo, s10, v7
	v_add_co_ci_u32_e64 v14, null, s13, 0, s12
	v_add_co_ci_u32_e32 v8, vcc_lo, s11, v8, vcc_lo
	v_add_co_u32 v11, vcc_lo, s8, v13
	s_delay_alu instid0(VALU_DEP_3)
	v_add_co_ci_u32_e32 v12, vcc_lo, s9, v14, vcc_lo
	v_add_co_u32 v13, vcc_lo, s10, v13
	v_add_co_ci_u32_e32 v14, vcc_lo, s11, v14, vcc_lo
	v_add_co_u32 v19, vcc_lo, v15, s0
	v_add_co_ci_u32_e32 v20, vcc_lo, 0, v16, vcc_lo
	v_add_co_u32 v9, s2, s2, v0
	s_delay_alu instid0(VALU_DEP_3) | instskip(NEXT) | instid1(VALU_DEP_3)
	v_add_co_u32 v17, vcc_lo, s8, v19
	v_add_co_ci_u32_e32 v18, vcc_lo, s9, v20, vcc_lo
	v_add_co_u32 v15, s1, s1, v0
	v_add_co_u32 v19, vcc_lo, s10, v19
	v_add_co_u32 v21, s0, v0, s0
	v_add_co_ci_u32_e64 v10, null, 0, 0, s2
	v_add_co_ci_u32_e64 v16, null, 0, 0, s1
	v_add_co_ci_u32_e32 v20, vcc_lo, s11, v20, vcc_lo
	v_add_co_ci_u32_e64 v22, null, 0, 0, s0
	s_mov_b64 s[8:9], 0
	s_lshr_b32 s10, s3, 16
	s_branch .LBB97_9
.LBB97_8:                               ;   in Loop: Header=BB97_9 Depth=1
	s_or_b32 exec_lo, exec_lo, s0
	s_add_u32 s8, s8, s14
	s_addc_u32 s9, s9, 0
	s_delay_alu instid0(SALU_CYCLE_1) | instskip(SKIP_1) | instid1(VALU_DEP_1)
	v_cmp_ge_i64_e64 s0, s[8:9], s[4:5]
	v_cmp_lt_u64_e64 s1, 0xffff, s[8:9]
	s_or_b32 s0, s0, s1
	s_delay_alu instid0(SALU_CYCLE_1)
	s_and_b32 vcc_lo, exec_lo, s0
	s_cbranch_vccnz .LBB97_25
.LBB97_9:                               ; =>This Inner Loop Header: Depth=1
	s_waitcnt vmcnt(0)
	v_add_co_u32 v25, s0, v0, s8
	s_delay_alu instid0(VALU_DEP_1) | instskip(SKIP_1) | instid1(VALU_DEP_2)
	v_add_co_ci_u32_e64 v26, null, 0, s9, s0
	v_dual_mov_b32 v24, 0 :: v_dual_mov_b32 v23, 0
	v_cmp_gt_u64_e32 vcc_lo, s[6:7], v[25:26]
	v_mov_b32_e32 v25, 0
	s_and_saveexec_b32 s1, vcc_lo
	s_cbranch_execz .LBB97_11
; %bb.10:                               ;   in Loop: Header=BB97_9 Depth=1
	v_add_co_u32 v25, s0, v1, s8
	s_delay_alu instid0(VALU_DEP_1) | instskip(SKIP_1) | instid1(VALU_DEP_1)
	v_add_co_ci_u32_e64 v26, s0, s9, v2, s0
	v_add_co_u32 v27, s0, v3, s8
	v_add_co_ci_u32_e64 v28, s0, s9, v4, s0
	global_load_u8 v23, v[25:26], off
	global_load_u8 v25, v[27:28], off
.LBB97_11:                              ;   in Loop: Header=BB97_9 Depth=1
	s_or_b32 exec_lo, exec_lo, s1
	v_add_co_u32 v26, s0, v21, s8
	s_delay_alu instid0(VALU_DEP_1) | instskip(NEXT) | instid1(VALU_DEP_1)
	v_add_co_ci_u32_e64 v27, s0, s9, v22, s0
	v_cmp_gt_u64_e64 s0, s[6:7], v[26:27]
	s_delay_alu instid0(VALU_DEP_1)
	s_and_saveexec_b32 s2, s0
	s_cbranch_execz .LBB97_13
; %bb.12:                               ;   in Loop: Header=BB97_9 Depth=1
	v_add_co_u32 v26, s1, v17, s8
	s_delay_alu instid0(VALU_DEP_1) | instskip(SKIP_2) | instid1(VALU_DEP_1)
	v_add_co_ci_u32_e64 v27, s1, s9, v18, s1
	global_load_u8 v28, v[26:27], off
	v_add_co_u32 v26, s1, v19, s8
	v_add_co_ci_u32_e64 v27, s1, s9, v20, s1
	global_load_u8 v24, v[26:27], off
	s_waitcnt vmcnt(1)
	v_lshl_or_b32 v23, v28, 8, v23
.LBB97_13:                              ;   in Loop: Header=BB97_9 Depth=1
	s_or_b32 exec_lo, exec_lo, s2
	v_add_co_u32 v26, s1, v15, s8
	s_delay_alu instid0(VALU_DEP_1) | instskip(NEXT) | instid1(VALU_DEP_1)
	v_add_co_ci_u32_e64 v27, s1, s9, v16, s1
	v_cmp_gt_u64_e64 s1, s[6:7], v[26:27]
	v_dual_mov_b32 v26, 0 :: v_dual_mov_b32 v27, 0
	s_delay_alu instid0(VALU_DEP_2)
	s_and_saveexec_b32 s3, s1
	s_cbranch_execz .LBB97_15
; %bb.14:                               ;   in Loop: Header=BB97_9 Depth=1
	v_add_co_u32 v27, s2, v11, s8
	s_delay_alu instid0(VALU_DEP_1) | instskip(SKIP_2) | instid1(VALU_DEP_1)
	v_add_co_ci_u32_e64 v28, s2, s9, v12, s2
	global_load_u8 v29, v[27:28], off
	v_add_co_u32 v27, s2, v13, s8
	v_add_co_ci_u32_e64 v28, s2, s9, v14, s2
	global_load_u8 v27, v[27:28], off
	s_waitcnt vmcnt(1)
	v_lshl_or_b32 v23, v29, 16, v23
.LBB97_15:                              ;   in Loop: Header=BB97_9 Depth=1
	s_or_b32 exec_lo, exec_lo, s3
	v_add_co_u32 v28, s2, v9, s8
	s_delay_alu instid0(VALU_DEP_1) | instskip(NEXT) | instid1(VALU_DEP_1)
	v_add_co_ci_u32_e64 v29, s2, s9, v10, s2
	v_cmp_gt_u64_e64 s2, s[6:7], v[28:29]
	s_delay_alu instid0(VALU_DEP_1)
	s_and_saveexec_b32 s11, s2
	s_cbranch_execnz .LBB97_20
; %bb.16:                               ;   in Loop: Header=BB97_9 Depth=1
	s_or_b32 exec_lo, exec_lo, s11
	s_and_saveexec_b32 s3, vcc_lo
	s_cbranch_execnz .LBB97_21
.LBB97_17:                              ;   in Loop: Header=BB97_9 Depth=1
	s_or_b32 exec_lo, exec_lo, s3
	s_and_saveexec_b32 s3, s0
	s_cbranch_execnz .LBB97_22
.LBB97_18:                              ;   in Loop: Header=BB97_9 Depth=1
	s_or_b32 exec_lo, exec_lo, s3
	s_and_saveexec_b32 s0, s1
	s_cbranch_execnz .LBB97_23
.LBB97_19:                              ;   in Loop: Header=BB97_9 Depth=1
	s_or_b32 exec_lo, exec_lo, s0
	s_and_saveexec_b32 s0, s2
	s_cbranch_execz .LBB97_8
	s_branch .LBB97_24
.LBB97_20:                              ;   in Loop: Header=BB97_9 Depth=1
	v_add_co_u32 v28, s3, v5, s8
	s_delay_alu instid0(VALU_DEP_1) | instskip(SKIP_2) | instid1(VALU_DEP_1)
	v_add_co_ci_u32_e64 v29, s3, s9, v6, s3
	global_load_u8 v30, v[28:29], off
	v_add_co_u32 v28, s3, v7, s8
	v_add_co_ci_u32_e64 v29, s3, s9, v8, s3
	global_load_u8 v26, v[28:29], off
	s_waitcnt vmcnt(1)
	v_lshl_or_b32 v23, v30, 24, v23
	s_or_b32 exec_lo, exec_lo, s11
	s_and_saveexec_b32 s3, vcc_lo
	s_cbranch_execz .LBB97_17
.LBB97_21:                              ;   in Loop: Header=BB97_9 Depth=1
	s_waitcnt vmcnt(0)
	v_mul_lo_u16 v25, v25, s10
	v_bfe_i32 v28, v23, 0, 8
	s_delay_alu instid0(VALU_DEP_2) | instskip(NEXT) | instid1(VALU_DEP_1)
	v_bfe_i32 v25, v25, 0, 8
	v_min_i16 v25, v28, v25
	v_add_co_u32 v28, vcc_lo, v1, s8
	v_add_co_ci_u32_e32 v29, vcc_lo, s9, v2, vcc_lo
	global_store_b8 v[28:29], v25, off
	s_or_b32 exec_lo, exec_lo, s3
	s_and_saveexec_b32 s3, s0
	s_cbranch_execz .LBB97_18
.LBB97_22:                              ;   in Loop: Header=BB97_9 Depth=1
	s_waitcnt vmcnt(0)
	v_lshrrev_b32_e32 v25, 8, v23
	v_mul_lo_u16 v24, v24, s10
	s_delay_alu instid0(VALU_DEP_2) | instskip(NEXT) | instid1(VALU_DEP_2)
	v_bfe_i32 v25, v25, 0, 8
	v_bfe_i32 v24, v24, 0, 8
	s_delay_alu instid0(VALU_DEP_1)
	v_min_i16 v28, v25, v24
	v_add_co_u32 v24, vcc_lo, v17, s8
	v_add_co_ci_u32_e32 v25, vcc_lo, s9, v18, vcc_lo
	global_store_b8 v[24:25], v28, off
	s_or_b32 exec_lo, exec_lo, s3
	s_and_saveexec_b32 s0, s1
	s_cbranch_execz .LBB97_19
.LBB97_23:                              ;   in Loop: Header=BB97_9 Depth=1
	s_waitcnt vmcnt(0)
	v_lshrrev_b32_e32 v24, 16, v23
	v_mul_lo_u16 v25, v27, s10
	s_delay_alu instid0(VALU_DEP_2) | instskip(NEXT) | instid1(VALU_DEP_2)
	v_bfe_i32 v24, v24, 0, 8
	v_bfe_i32 v25, v25, 0, 8
	s_delay_alu instid0(VALU_DEP_1)
	v_min_i16 v27, v24, v25
	v_add_co_u32 v24, vcc_lo, v11, s8
	v_add_co_ci_u32_e32 v25, vcc_lo, s9, v12, vcc_lo
	global_store_b8 v[24:25], v27, off
	s_or_b32 exec_lo, exec_lo, s0
	s_and_saveexec_b32 s0, s2
	s_cbranch_execz .LBB97_8
.LBB97_24:                              ;   in Loop: Header=BB97_9 Depth=1
	s_waitcnt vmcnt(1)
	v_lshrrev_b32_e32 v23, 24, v23
	s_waitcnt vmcnt(0)
	v_mul_lo_u16 v24, v26, s10
	s_delay_alu instid0(VALU_DEP_2) | instskip(NEXT) | instid1(VALU_DEP_2)
	v_bfe_i32 v23, v23, 0, 8
	v_bfe_i32 v24, v24, 0, 8
	s_delay_alu instid0(VALU_DEP_1)
	v_min_i16 v25, v23, v24
	v_add_co_u32 v23, vcc_lo, v5, s8
	v_add_co_ci_u32_e32 v24, vcc_lo, s9, v6, vcc_lo
	global_store_b8 v[23:24], v25, off
	s_branch .LBB97_8
.LBB97_25:
	s_nop 0
	s_sendmsg sendmsg(MSG_DEALLOC_VGPRS)
	s_endpgm
	.section	.rodata,"a",@progbits
	.p2align	6, 0x0
	.amdhsa_kernel _ZN2at6native12_GLOBAL__N_125multi_tensor_apply_kernelINS1_18TensorListMetadataILi2EEENS1_24BinaryOpListAlphaFunctorIaLi2ELi2ELi0EEEJNS0_7minimumIaEEaEEEvT_T0_DpT1_
		.amdhsa_group_segment_fixed_size 0
		.amdhsa_private_segment_fixed_size 0
		.amdhsa_kernarg_size 3408
		.amdhsa_user_sgpr_count 15
		.amdhsa_user_sgpr_dispatch_ptr 0
		.amdhsa_user_sgpr_queue_ptr 0
		.amdhsa_user_sgpr_kernarg_segment_ptr 1
		.amdhsa_user_sgpr_dispatch_id 0
		.amdhsa_user_sgpr_private_segment_size 0
		.amdhsa_wavefront_size32 1
		.amdhsa_uses_dynamic_stack 0
		.amdhsa_enable_private_segment 0
		.amdhsa_system_sgpr_workgroup_id_x 1
		.amdhsa_system_sgpr_workgroup_id_y 0
		.amdhsa_system_sgpr_workgroup_id_z 0
		.amdhsa_system_sgpr_workgroup_info 0
		.amdhsa_system_vgpr_workitem_id 0
		.amdhsa_next_free_vgpr 31
		.amdhsa_next_free_sgpr 20
		.amdhsa_reserve_vcc 1
		.amdhsa_float_round_mode_32 0
		.amdhsa_float_round_mode_16_64 0
		.amdhsa_float_denorm_mode_32 3
		.amdhsa_float_denorm_mode_16_64 3
		.amdhsa_dx10_clamp 1
		.amdhsa_ieee_mode 1
		.amdhsa_fp16_overflow 0
		.amdhsa_workgroup_processor_mode 1
		.amdhsa_memory_ordered 1
		.amdhsa_forward_progress 0
		.amdhsa_shared_vgpr_count 0
		.amdhsa_exception_fp_ieee_invalid_op 0
		.amdhsa_exception_fp_denorm_src 0
		.amdhsa_exception_fp_ieee_div_zero 0
		.amdhsa_exception_fp_ieee_overflow 0
		.amdhsa_exception_fp_ieee_underflow 0
		.amdhsa_exception_fp_ieee_inexact 0
		.amdhsa_exception_int_div_zero 0
	.end_amdhsa_kernel
	.section	.text._ZN2at6native12_GLOBAL__N_125multi_tensor_apply_kernelINS1_18TensorListMetadataILi2EEENS1_24BinaryOpListAlphaFunctorIaLi2ELi2ELi0EEEJNS0_7minimumIaEEaEEEvT_T0_DpT1_,"axG",@progbits,_ZN2at6native12_GLOBAL__N_125multi_tensor_apply_kernelINS1_18TensorListMetadataILi2EEENS1_24BinaryOpListAlphaFunctorIaLi2ELi2ELi0EEEJNS0_7minimumIaEEaEEEvT_T0_DpT1_,comdat
.Lfunc_end97:
	.size	_ZN2at6native12_GLOBAL__N_125multi_tensor_apply_kernelINS1_18TensorListMetadataILi2EEENS1_24BinaryOpListAlphaFunctorIaLi2ELi2ELi0EEEJNS0_7minimumIaEEaEEEvT_T0_DpT1_, .Lfunc_end97-_ZN2at6native12_GLOBAL__N_125multi_tensor_apply_kernelINS1_18TensorListMetadataILi2EEENS1_24BinaryOpListAlphaFunctorIaLi2ELi2ELi0EEEJNS0_7minimumIaEEaEEEvT_T0_DpT1_
                                        ; -- End function
	.section	.AMDGPU.csdata,"",@progbits
; Kernel info:
; codeLenInByte = 1772
; NumSgprs: 22
; NumVgprs: 31
; ScratchSize: 0
; MemoryBound: 0
; FloatMode: 240
; IeeeMode: 1
; LDSByteSize: 0 bytes/workgroup (compile time only)
; SGPRBlocks: 2
; VGPRBlocks: 3
; NumSGPRsForWavesPerEU: 22
; NumVGPRsForWavesPerEU: 31
; Occupancy: 16
; WaveLimiterHint : 0
; COMPUTE_PGM_RSRC2:SCRATCH_EN: 0
; COMPUTE_PGM_RSRC2:USER_SGPR: 15
; COMPUTE_PGM_RSRC2:TRAP_HANDLER: 0
; COMPUTE_PGM_RSRC2:TGID_X_EN: 1
; COMPUTE_PGM_RSRC2:TGID_Y_EN: 0
; COMPUTE_PGM_RSRC2:TGID_Z_EN: 0
; COMPUTE_PGM_RSRC2:TIDIG_COMP_CNT: 0
	.section	.text._ZN2at6native12_GLOBAL__N_125multi_tensor_apply_kernelINS1_18TensorListMetadataILi2EEENS1_24BinaryOpListAlphaFunctorIiLi2ELi2ELi0EEEJNS0_7minimumIiEEiEEEvT_T0_DpT1_,"axG",@progbits,_ZN2at6native12_GLOBAL__N_125multi_tensor_apply_kernelINS1_18TensorListMetadataILi2EEENS1_24BinaryOpListAlphaFunctorIiLi2ELi2ELi0EEEJNS0_7minimumIiEEiEEEvT_T0_DpT1_,comdat
	.globl	_ZN2at6native12_GLOBAL__N_125multi_tensor_apply_kernelINS1_18TensorListMetadataILi2EEENS1_24BinaryOpListAlphaFunctorIiLi2ELi2ELi0EEEJNS0_7minimumIiEEiEEEvT_T0_DpT1_ ; -- Begin function _ZN2at6native12_GLOBAL__N_125multi_tensor_apply_kernelINS1_18TensorListMetadataILi2EEENS1_24BinaryOpListAlphaFunctorIiLi2ELi2ELi0EEEJNS0_7minimumIiEEiEEEvT_T0_DpT1_
	.p2align	8
	.type	_ZN2at6native12_GLOBAL__N_125multi_tensor_apply_kernelINS1_18TensorListMetadataILi2EEENS1_24BinaryOpListAlphaFunctorIiLi2ELi2ELi0EEEJNS0_7minimumIiEEiEEEvT_T0_DpT1_,@function
_ZN2at6native12_GLOBAL__N_125multi_tensor_apply_kernelINS1_18TensorListMetadataILi2EEENS1_24BinaryOpListAlphaFunctorIiLi2ELi2ELi0EEEJNS0_7minimumIiEEiEEEvT_T0_DpT1_: ; @_ZN2at6native12_GLOBAL__N_125multi_tensor_apply_kernelINS1_18TensorListMetadataILi2EEENS1_24BinaryOpListAlphaFunctorIiLi2ELi2ELi0EEEJNS0_7minimumIiEEiEEEvT_T0_DpT1_
; %bb.0:
	v_mov_b32_e32 v1, s15
	s_add_u32 s2, s0, s15
	s_mul_hi_u32 s3, s15, 3
	s_mul_i32 s15, s15, 3
	s_addc_u32 s4, s1, 0
	global_load_u8 v1, v1, s[0:1] offset:1536
	s_add_u32 s2, s2, s15
	s_addc_u32 s3, s4, s3
	s_mov_b32 s19, 0
	s_load_b32 s2, s[2:3], 0x740
	s_mov_b32 s21, s19
	s_mov_b32 s23, s19
	s_waitcnt vmcnt(0)
	v_readfirstlane_b32 s3, v1
	s_delay_alu instid0(VALU_DEP_1)
	s_lshl_b32 s3, s3, 3
	s_clause 0x3
	s_load_b64 s[10:11], s[0:1], s3 offset:0x0
	s_load_b64 s[12:13], s[0:1], s3 offset:0x200
	;; [unrolled: 1-line block ×3, first 2 shown]
	s_load_b32 s14, s[0:1], 0xc4c
	s_waitcnt lgkmcnt(0)
	s_ashr_i32 s3, s2, 31
	s_delay_alu instid0(SALU_CYCLE_1) | instskip(NEXT) | instid1(SALU_CYCLE_1)
	s_lshl_b64 s[4:5], s[2:3], 18
	s_add_u32 s8, s10, s4
	s_addc_u32 s9, s11, s5
	s_and_b32 s18, s8, 15
	s_add_u32 s15, s12, s4
	s_addc_u32 s16, s13, s5
	s_and_b32 s20, s6, 3
	s_and_b32 s22, s15, 15
	s_or_b64 s[18:19], s[18:19], s[20:21]
	s_lshl_b64 s[2:3], s[2:3], 16
	s_or_b64 s[18:19], s[22:23], s[18:19]
	s_sub_u32 s6, s6, s2
	s_subb_u32 s7, s7, s3
	s_cmp_eq_u64 s[18:19], 0
	s_mov_b32 s2, -1
	s_cbranch_scc0 .LBB98_5
; %bb.1:
	v_dual_mov_b32 v2, 0 :: v_dual_lshlrev_b32 v1, 2, v0
	s_mov_b32 s17, exec_lo
	s_delay_alu instid0(VALU_DEP_1)
	v_cmpx_gt_i64_e64 s[6:7], v[1:2]
	s_cbranch_execz .LBB98_4
; %bb.2:
	s_load_b32 s2, s[0:1], 0xc5c
	v_lshlrev_b32_e32 v3, 4, v0
	s_mov_b32 s18, 0
	s_waitcnt lgkmcnt(0)
	s_and_b32 s2, s2, 0xffff
	s_delay_alu instid0(SALU_CYCLE_1)
	v_add_lshl_u32 v1, v0, s2, 2
	s_lshl_b32 s19, s2, 2
	s_lshl_b32 s20, s2, 4
	s_set_inst_prefetch_distance 0x1
	.p2align	6
.LBB98_3:                               ; =>This Inner Loop Header: Depth=1
	v_add_co_u32 v4, s2, s15, v3
	s_delay_alu instid0(VALU_DEP_1) | instskip(SKIP_1) | instid1(VALU_DEP_1)
	v_add_co_ci_u32_e64 v5, null, s16, 0, s2
	v_add_co_u32 v12, s2, s8, v3
	v_add_co_ci_u32_e64 v13, null, s9, 0, s2
	global_load_b128 v[4:7], v[4:5], off
	v_cmp_le_i64_e32 vcc_lo, s[6:7], v[1:2]
	v_cmp_lt_u64_e64 s2, 0xffff, v[1:2]
	global_load_b128 v[8:11], v[12:13], off
	v_add_co_u32 v1, s3, v1, s19
	s_delay_alu instid0(VALU_DEP_1)
	v_add_co_ci_u32_e64 v2, s3, 0, v2, s3
	s_or_b32 s2, vcc_lo, s2
	s_add_u32 s8, s8, s20
	s_addc_u32 s9, s9, 0
	s_add_u32 s15, s15, s20
	s_addc_u32 s16, s16, 0
	s_and_b32 s2, exec_lo, s2
	s_delay_alu instid0(SALU_CYCLE_1)
	s_or_b32 s18, s2, s18
	s_waitcnt vmcnt(1)
	v_mul_lo_u32 v4, v4, s14
	v_mul_lo_u32 v5, v5, s14
	;; [unrolled: 1-line block ×4, first 2 shown]
	s_waitcnt vmcnt(0)
	s_delay_alu instid0(VALU_DEP_4) | instskip(NEXT) | instid1(VALU_DEP_4)
	v_min_i32_e32 v4, v8, v4
	v_min_i32_e32 v5, v9, v5
	s_delay_alu instid0(VALU_DEP_4) | instskip(NEXT) | instid1(VALU_DEP_4)
	v_min_i32_e32 v6, v10, v6
	v_min_i32_e32 v7, v11, v7
	global_store_b128 v[12:13], v[4:7], off
	s_and_not1_b32 exec_lo, exec_lo, s18
	s_cbranch_execnz .LBB98_3
.LBB98_4:
	s_set_inst_prefetch_distance 0x2
	s_or_b32 exec_lo, exec_lo, s17
	s_mov_b32 s2, 0
.LBB98_5:
	s_delay_alu instid0(SALU_CYCLE_1)
	s_and_not1_b32 vcc_lo, exec_lo, s2
	s_cbranch_vccnz .LBB98_25
; %bb.6:
	v_cmp_lt_i64_e64 s2, s[6:7], 1
	s_delay_alu instid0(VALU_DEP_1)
	s_and_b32 vcc_lo, exec_lo, s2
	s_cbranch_vccnz .LBB98_25
; %bb.7:
	s_load_b32 s0, s[0:1], 0xc5c
	v_dual_mov_b32 v10, 0 :: v_dual_lshlrev_b32 v9, 2, v0
	v_cmp_gt_u64_e64 s1, 0x10000, s[6:7]
	s_delay_alu instid0(VALU_DEP_2) | instskip(NEXT) | instid1(VALU_DEP_1)
	v_add_co_u32 v1, s2, s10, v9
	v_add_co_ci_u32_e64 v2, null, s11, 0, s2
	v_add_co_u32 v3, s2, s12, v9
	s_delay_alu instid0(VALU_DEP_1)
	v_add_co_ci_u32_e64 v4, null, s13, 0, s2
	s_waitcnt lgkmcnt(0)
	s_and_b32 s0, s0, 0xffff
	s_and_b32 s1, s1, exec_lo
	v_mad_u64_u32 v[7:8], null, s0, 12, v[9:10]
	s_cselect_b32 s9, s7, 0
	s_cselect_b32 s8, s6, 0x10000
	s_mul_i32 s2, s0, 3
	s_lshl_b32 s3, s0, 3
	s_lshl_b32 s1, s0, 1
	v_add_co_u32 v14, s3, s3, v9
	v_add_co_u32 v9, s2, s2, v0
	s_delay_alu instid0(VALU_DEP_1) | instskip(SKIP_3) | instid1(VALU_DEP_3)
	v_add_co_ci_u32_e64 v10, null, 0, 0, s2
	v_add_co_u32 v13, s2, v0, s0
	v_add_co_u32 v5, vcc_lo, s10, v7
	v_add_co_ci_u32_e32 v6, vcc_lo, s11, v8, vcc_lo
	v_lshlrev_b32_e32 v21, 2, v13
	v_add_co_u32 v7, vcc_lo, s12, v7
	v_add_co_ci_u32_e64 v15, null, 0, 0, s3
	v_add_co_ci_u32_e32 v8, vcc_lo, s13, v8, vcc_lo
	v_add_co_u32 v17, s1, s1, v0
	v_add_co_u32 v11, vcc_lo, s10, v14
	v_add_co_ci_u32_e64 v18, null, 0, 0, s1
	v_add_co_u32 v19, s1, s10, v21
	v_add_co_ci_u32_e32 v12, vcc_lo, s11, v15, vcc_lo
	v_add_co_u32 v14, vcc_lo, s12, v14
	v_add_co_ci_u32_e64 v20, null, s11, 0, s1
	v_add_co_u32 v21, s1, s12, v21
	v_add_co_ci_u32_e32 v15, vcc_lo, s13, v15, vcc_lo
	v_add_co_ci_u32_e64 v16, null, 0, 0, s2
	v_add_co_ci_u32_e64 v22, null, s13, 0, s1
	s_lshl_b32 s12, s0, 2
	s_lshl_b32 s13, s0, 4
	s_mov_b64 s[10:11], 0
	s_branch .LBB98_9
.LBB98_8:                               ;   in Loop: Header=BB98_9 Depth=1
	s_or_b32 exec_lo, exec_lo, s0
	v_add_co_u32 v1, vcc_lo, v1, s13
	v_add_co_ci_u32_e32 v2, vcc_lo, 0, v2, vcc_lo
	v_add_co_u32 v3, vcc_lo, v3, s13
	v_add_co_ci_u32_e32 v4, vcc_lo, 0, v4, vcc_lo
	;; [unrolled: 2-line block ×5, first 2 shown]
	s_add_u32 s10, s10, s12
	v_add_co_u32 v14, vcc_lo, v14, s13
	s_addc_u32 s11, s11, 0
	v_add_co_ci_u32_e32 v15, vcc_lo, 0, v15, vcc_lo
	v_cmp_ge_i64_e64 s0, s[10:11], s[6:7]
	v_cmp_lt_u64_e64 s1, 0xffff, s[10:11]
	v_add_co_u32 v19, vcc_lo, v19, s13
	v_add_co_ci_u32_e32 v20, vcc_lo, 0, v20, vcc_lo
	v_add_co_u32 v21, vcc_lo, v21, s13
	v_add_co_ci_u32_e32 v22, vcc_lo, 0, v22, vcc_lo
	s_or_b32 s0, s0, s1
	s_delay_alu instid0(SALU_CYCLE_1)
	s_and_b32 vcc_lo, exec_lo, s0
	s_cbranch_vccnz .LBB98_25
.LBB98_9:                               ; =>This Inner Loop Header: Depth=1
	s_waitcnt vmcnt(1)
	v_add_co_u32 v23, s0, v0, s10
	s_waitcnt vmcnt(0)
	v_add_co_ci_u32_e64 v24, null, 0, s11, s0
	s_delay_alu instid0(VALU_DEP_1)
	v_cmp_gt_u64_e32 vcc_lo, s[8:9], v[23:24]
	v_dual_mov_b32 v23, 0 :: v_dual_mov_b32 v24, 0
	s_and_saveexec_b32 s1, vcc_lo
	s_cbranch_execz .LBB98_11
; %bb.10:                               ;   in Loop: Header=BB98_9 Depth=1
	v_add_co_u32 v23, s0, v1, s4
	s_delay_alu instid0(VALU_DEP_1) | instskip(SKIP_1) | instid1(VALU_DEP_1)
	v_add_co_ci_u32_e64 v24, s0, s5, v2, s0
	v_add_co_u32 v25, s0, v3, s4
	v_add_co_ci_u32_e64 v26, s0, s5, v4, s0
	global_load_b32 v23, v[23:24], off
	global_load_b32 v24, v[25:26], off
.LBB98_11:                              ;   in Loop: Header=BB98_9 Depth=1
	s_or_b32 exec_lo, exec_lo, s1
	v_add_co_u32 v26, s0, v13, s10
	s_delay_alu instid0(VALU_DEP_1) | instskip(SKIP_1) | instid1(VALU_DEP_2)
	v_add_co_ci_u32_e64 v27, s0, s11, v16, s0
	v_mov_b32_e32 v25, 0
	v_cmp_gt_u64_e64 s0, s[8:9], v[26:27]
	v_dual_mov_b32 v26, 0 :: v_dual_mov_b32 v27, 0
	s_delay_alu instid0(VALU_DEP_2)
	s_and_saveexec_b32 s2, s0
	s_cbranch_execz .LBB98_13
; %bb.12:                               ;   in Loop: Header=BB98_9 Depth=1
	v_add_co_u32 v26, s1, v19, s4
	s_delay_alu instid0(VALU_DEP_1) | instskip(SKIP_1) | instid1(VALU_DEP_1)
	v_add_co_ci_u32_e64 v27, s1, s5, v20, s1
	v_add_co_u32 v28, s1, v21, s4
	v_add_co_ci_u32_e64 v29, s1, s5, v22, s1
	global_load_b32 v26, v[26:27], off
	global_load_b32 v27, v[28:29], off
.LBB98_13:                              ;   in Loop: Header=BB98_9 Depth=1
	s_or_b32 exec_lo, exec_lo, s2
	v_add_co_u32 v28, s1, v17, s10
	s_delay_alu instid0(VALU_DEP_1) | instskip(NEXT) | instid1(VALU_DEP_1)
	v_add_co_ci_u32_e64 v29, s1, s11, v18, s1
	v_cmp_gt_u64_e64 s1, s[8:9], v[28:29]
	v_mov_b32_e32 v28, 0
	s_delay_alu instid0(VALU_DEP_2)
	s_and_saveexec_b32 s3, s1
	s_cbranch_execz .LBB98_15
; %bb.14:                               ;   in Loop: Header=BB98_9 Depth=1
	v_add_co_u32 v28, s2, v11, s4
	s_delay_alu instid0(VALU_DEP_1) | instskip(SKIP_1) | instid1(VALU_DEP_1)
	v_add_co_ci_u32_e64 v29, s2, s5, v12, s2
	v_add_co_u32 v30, s2, v14, s4
	v_add_co_ci_u32_e64 v31, s2, s5, v15, s2
	global_load_b32 v25, v[28:29], off
	global_load_b32 v28, v[30:31], off
.LBB98_15:                              ;   in Loop: Header=BB98_9 Depth=1
	s_or_b32 exec_lo, exec_lo, s3
	v_add_co_u32 v29, s2, v9, s10
	s_delay_alu instid0(VALU_DEP_1) | instskip(NEXT) | instid1(VALU_DEP_1)
	v_add_co_ci_u32_e64 v30, s2, s11, v10, s2
	v_cmp_gt_u64_e64 s2, s[8:9], v[29:30]
	v_dual_mov_b32 v29, 0 :: v_dual_mov_b32 v30, 0
	s_delay_alu instid0(VALU_DEP_2)
	s_and_saveexec_b32 s15, s2
	s_cbranch_execnz .LBB98_20
; %bb.16:                               ;   in Loop: Header=BB98_9 Depth=1
	s_or_b32 exec_lo, exec_lo, s15
	s_and_saveexec_b32 s3, vcc_lo
	s_cbranch_execnz .LBB98_21
.LBB98_17:                              ;   in Loop: Header=BB98_9 Depth=1
	s_or_b32 exec_lo, exec_lo, s3
	s_and_saveexec_b32 s3, s0
	s_cbranch_execnz .LBB98_22
.LBB98_18:                              ;   in Loop: Header=BB98_9 Depth=1
	s_or_b32 exec_lo, exec_lo, s3
	s_and_saveexec_b32 s0, s1
	s_cbranch_execnz .LBB98_23
.LBB98_19:                              ;   in Loop: Header=BB98_9 Depth=1
	s_or_b32 exec_lo, exec_lo, s0
	s_and_saveexec_b32 s0, s2
	s_cbranch_execz .LBB98_8
	s_branch .LBB98_24
.LBB98_20:                              ;   in Loop: Header=BB98_9 Depth=1
	v_add_co_u32 v29, s3, v5, s4
	s_delay_alu instid0(VALU_DEP_1) | instskip(SKIP_1) | instid1(VALU_DEP_1)
	v_add_co_ci_u32_e64 v30, s3, s5, v6, s3
	v_add_co_u32 v31, s3, v7, s4
	v_add_co_ci_u32_e64 v32, s3, s5, v8, s3
	global_load_b32 v29, v[29:30], off
	global_load_b32 v30, v[31:32], off
	s_or_b32 exec_lo, exec_lo, s15
	s_and_saveexec_b32 s3, vcc_lo
	s_cbranch_execz .LBB98_17
.LBB98_21:                              ;   in Loop: Header=BB98_9 Depth=1
	s_waitcnt vmcnt(0)
	v_mul_lo_u32 v24, v24, s14
	v_add_co_u32 v31, vcc_lo, v1, s4
	v_add_co_ci_u32_e32 v32, vcc_lo, s5, v2, vcc_lo
	s_delay_alu instid0(VALU_DEP_3)
	v_min_i32_e32 v23, v23, v24
	global_store_b32 v[31:32], v23, off
	s_or_b32 exec_lo, exec_lo, s3
	s_and_saveexec_b32 s3, s0
	s_cbranch_execz .LBB98_18
.LBB98_22:                              ;   in Loop: Header=BB98_9 Depth=1
	s_waitcnt vmcnt(0)
	v_mul_lo_u32 v23, v27, s14
	s_delay_alu instid0(VALU_DEP_1)
	v_min_i32_e32 v26, v26, v23
	v_add_co_u32 v23, vcc_lo, v19, s4
	v_add_co_ci_u32_e32 v24, vcc_lo, s5, v20, vcc_lo
	global_store_b32 v[23:24], v26, off
	s_or_b32 exec_lo, exec_lo, s3
	s_and_saveexec_b32 s0, s1
	s_cbranch_execz .LBB98_19
.LBB98_23:                              ;   in Loop: Header=BB98_9 Depth=1
	s_waitcnt vmcnt(0)
	v_mul_lo_u32 v23, v28, s14
	s_delay_alu instid0(VALU_DEP_1)
	v_min_i32_e32 v25, v25, v23
	v_add_co_u32 v23, vcc_lo, v11, s4
	v_add_co_ci_u32_e32 v24, vcc_lo, s5, v12, vcc_lo
	global_store_b32 v[23:24], v25, off
	s_or_b32 exec_lo, exec_lo, s0
	s_and_saveexec_b32 s0, s2
	s_cbranch_execz .LBB98_8
.LBB98_24:                              ;   in Loop: Header=BB98_9 Depth=1
	s_waitcnt vmcnt(0)
	v_mul_lo_u32 v23, v30, s14
	s_delay_alu instid0(VALU_DEP_1)
	v_min_i32_e32 v25, v29, v23
	v_add_co_u32 v23, vcc_lo, v5, s4
	v_add_co_ci_u32_e32 v24, vcc_lo, s5, v6, vcc_lo
	global_store_b32 v[23:24], v25, off
	s_branch .LBB98_8
.LBB98_25:
	s_nop 0
	s_sendmsg sendmsg(MSG_DEALLOC_VGPRS)
	s_endpgm
	.section	.rodata,"a",@progbits
	.p2align	6, 0x0
	.amdhsa_kernel _ZN2at6native12_GLOBAL__N_125multi_tensor_apply_kernelINS1_18TensorListMetadataILi2EEENS1_24BinaryOpListAlphaFunctorIiLi2ELi2ELi0EEEJNS0_7minimumIiEEiEEEvT_T0_DpT1_
		.amdhsa_group_segment_fixed_size 0
		.amdhsa_private_segment_fixed_size 0
		.amdhsa_kernarg_size 3408
		.amdhsa_user_sgpr_count 15
		.amdhsa_user_sgpr_dispatch_ptr 0
		.amdhsa_user_sgpr_queue_ptr 0
		.amdhsa_user_sgpr_kernarg_segment_ptr 1
		.amdhsa_user_sgpr_dispatch_id 0
		.amdhsa_user_sgpr_private_segment_size 0
		.amdhsa_wavefront_size32 1
		.amdhsa_uses_dynamic_stack 0
		.amdhsa_enable_private_segment 0
		.amdhsa_system_sgpr_workgroup_id_x 1
		.amdhsa_system_sgpr_workgroup_id_y 0
		.amdhsa_system_sgpr_workgroup_id_z 0
		.amdhsa_system_sgpr_workgroup_info 0
		.amdhsa_system_vgpr_workitem_id 0
		.amdhsa_next_free_vgpr 33
		.amdhsa_next_free_sgpr 24
		.amdhsa_reserve_vcc 1
		.amdhsa_float_round_mode_32 0
		.amdhsa_float_round_mode_16_64 0
		.amdhsa_float_denorm_mode_32 3
		.amdhsa_float_denorm_mode_16_64 3
		.amdhsa_dx10_clamp 1
		.amdhsa_ieee_mode 1
		.amdhsa_fp16_overflow 0
		.amdhsa_workgroup_processor_mode 1
		.amdhsa_memory_ordered 1
		.amdhsa_forward_progress 0
		.amdhsa_shared_vgpr_count 0
		.amdhsa_exception_fp_ieee_invalid_op 0
		.amdhsa_exception_fp_denorm_src 0
		.amdhsa_exception_fp_ieee_div_zero 0
		.amdhsa_exception_fp_ieee_overflow 0
		.amdhsa_exception_fp_ieee_underflow 0
		.amdhsa_exception_fp_ieee_inexact 0
		.amdhsa_exception_int_div_zero 0
	.end_amdhsa_kernel
	.section	.text._ZN2at6native12_GLOBAL__N_125multi_tensor_apply_kernelINS1_18TensorListMetadataILi2EEENS1_24BinaryOpListAlphaFunctorIiLi2ELi2ELi0EEEJNS0_7minimumIiEEiEEEvT_T0_DpT1_,"axG",@progbits,_ZN2at6native12_GLOBAL__N_125multi_tensor_apply_kernelINS1_18TensorListMetadataILi2EEENS1_24BinaryOpListAlphaFunctorIiLi2ELi2ELi0EEEJNS0_7minimumIiEEiEEEvT_T0_DpT1_,comdat
.Lfunc_end98:
	.size	_ZN2at6native12_GLOBAL__N_125multi_tensor_apply_kernelINS1_18TensorListMetadataILi2EEENS1_24BinaryOpListAlphaFunctorIiLi2ELi2ELi0EEEJNS0_7minimumIiEEiEEEvT_T0_DpT1_, .Lfunc_end98-_ZN2at6native12_GLOBAL__N_125multi_tensor_apply_kernelINS1_18TensorListMetadataILi2EEENS1_24BinaryOpListAlphaFunctorIiLi2ELi2ELi0EEEJNS0_7minimumIiEEiEEEvT_T0_DpT1_
                                        ; -- End function
	.section	.AMDGPU.csdata,"",@progbits
; Kernel info:
; codeLenInByte = 1624
; NumSgprs: 26
; NumVgprs: 33
; ScratchSize: 0
; MemoryBound: 0
; FloatMode: 240
; IeeeMode: 1
; LDSByteSize: 0 bytes/workgroup (compile time only)
; SGPRBlocks: 3
; VGPRBlocks: 4
; NumSGPRsForWavesPerEU: 26
; NumVGPRsForWavesPerEU: 33
; Occupancy: 16
; WaveLimiterHint : 0
; COMPUTE_PGM_RSRC2:SCRATCH_EN: 0
; COMPUTE_PGM_RSRC2:USER_SGPR: 15
; COMPUTE_PGM_RSRC2:TRAP_HANDLER: 0
; COMPUTE_PGM_RSRC2:TGID_X_EN: 1
; COMPUTE_PGM_RSRC2:TGID_Y_EN: 0
; COMPUTE_PGM_RSRC2:TGID_Z_EN: 0
; COMPUTE_PGM_RSRC2:TIDIG_COMP_CNT: 0
	.section	.text._ZN2at6native12_GLOBAL__N_125multi_tensor_apply_kernelINS1_18TensorListMetadataILi2EEENS1_24BinaryOpListAlphaFunctorIlLi2ELi2ELi0EEEJNS0_7minimumIlEElEEEvT_T0_DpT1_,"axG",@progbits,_ZN2at6native12_GLOBAL__N_125multi_tensor_apply_kernelINS1_18TensorListMetadataILi2EEENS1_24BinaryOpListAlphaFunctorIlLi2ELi2ELi0EEEJNS0_7minimumIlEElEEEvT_T0_DpT1_,comdat
	.globl	_ZN2at6native12_GLOBAL__N_125multi_tensor_apply_kernelINS1_18TensorListMetadataILi2EEENS1_24BinaryOpListAlphaFunctorIlLi2ELi2ELi0EEEJNS0_7minimumIlEElEEEvT_T0_DpT1_ ; -- Begin function _ZN2at6native12_GLOBAL__N_125multi_tensor_apply_kernelINS1_18TensorListMetadataILi2EEENS1_24BinaryOpListAlphaFunctorIlLi2ELi2ELi0EEEJNS0_7minimumIlEElEEEvT_T0_DpT1_
	.p2align	8
	.type	_ZN2at6native12_GLOBAL__N_125multi_tensor_apply_kernelINS1_18TensorListMetadataILi2EEENS1_24BinaryOpListAlphaFunctorIlLi2ELi2ELi0EEEJNS0_7minimumIlEElEEEvT_T0_DpT1_,@function
_ZN2at6native12_GLOBAL__N_125multi_tensor_apply_kernelINS1_18TensorListMetadataILi2EEENS1_24BinaryOpListAlphaFunctorIlLi2ELi2ELi0EEEJNS0_7minimumIlEElEEEvT_T0_DpT1_: ; @_ZN2at6native12_GLOBAL__N_125multi_tensor_apply_kernelINS1_18TensorListMetadataILi2EEENS1_24BinaryOpListAlphaFunctorIlLi2ELi2ELi0EEEJNS0_7minimumIlEElEEEvT_T0_DpT1_
; %bb.0:
	v_mov_b32_e32 v1, s15
	s_add_u32 s2, s0, s15
	s_mul_hi_u32 s3, s15, 3
	s_mul_i32 s15, s15, 3
	s_addc_u32 s4, s1, 0
	global_load_u8 v1, v1, s[0:1] offset:1536
	s_add_u32 s2, s2, s15
	s_addc_u32 s3, s4, s3
	s_mov_b32 s21, 0
	s_load_b32 s2, s[2:3], 0x740
	s_mov_b32 s23, s21
	s_mov_b32 s25, s21
	s_waitcnt vmcnt(0)
	v_readfirstlane_b32 s3, v1
	s_delay_alu instid0(VALU_DEP_1)
	s_lshl_b32 s3, s3, 3
	s_clause 0x3
	s_load_b64 s[12:13], s[0:1], s3 offset:0x0
	s_load_b64 s[14:15], s[0:1], s3 offset:0x200
	;; [unrolled: 1-line block ×3, first 2 shown]
	s_load_b64 s[6:7], s[0:1], 0xc50
	s_waitcnt lgkmcnt(0)
	s_ashr_i32 s3, s2, 31
	s_delay_alu instid0(SALU_CYCLE_1) | instskip(NEXT) | instid1(SALU_CYCLE_1)
	s_lshl_b64 s[8:9], s[2:3], 19
	s_add_u32 s5, s12, s8
	s_addc_u32 s16, s13, s9
	s_and_b32 s20, s5, 31
	s_add_u32 s17, s14, s8
	s_addc_u32 s18, s15, s9
	s_and_b32 s22, s10, 3
	s_and_b32 s24, s17, 31
	s_or_b64 s[20:21], s[20:21], s[22:23]
	s_lshl_b64 s[2:3], s[2:3], 16
	s_or_b64 s[20:21], s[24:25], s[20:21]
	s_sub_u32 s10, s10, s2
	s_subb_u32 s11, s11, s3
	s_cmp_eq_u64 s[20:21], 0
	s_mov_b32 s2, -1
	s_cbranch_scc0 .LBB99_5
; %bb.1:
	v_dual_mov_b32 v2, 0 :: v_dual_lshlrev_b32 v1, 2, v0
	s_mov_b32 s19, exec_lo
	s_delay_alu instid0(VALU_DEP_1)
	v_cmpx_gt_i64_e64 s[10:11], v[1:2]
	s_cbranch_execz .LBB99_4
; %bb.2:
	s_load_b32 s2, s[0:1], 0xc64
	v_lshlrev_b32_e32 v3, 5, v0
	s_mov_b32 s20, 0
	s_waitcnt lgkmcnt(0)
	s_and_b32 s2, s2, 0xffff
	s_delay_alu instid0(SALU_CYCLE_1)
	v_add_lshl_u32 v1, v0, s2, 2
	s_lshl_b32 s21, s2, 2
	s_lshl_b32 s22, s2, 5
.LBB99_3:                               ; =>This Inner Loop Header: Depth=1
	v_add_co_u32 v8, s2, s17, v3
	s_delay_alu instid0(VALU_DEP_1) | instskip(SKIP_1) | instid1(VALU_DEP_1)
	v_add_co_ci_u32_e64 v9, null, s18, 0, s2
	v_add_co_u32 v20, s2, s5, v3
	v_add_co_ci_u32_e64 v21, null, s16, 0, s2
	s_clause 0x1
	global_load_b128 v[4:7], v[8:9], off
	global_load_b128 v[8:11], v[8:9], off offset:16
	s_clause 0x1
	global_load_b128 v[12:15], v[20:21], off
	global_load_b128 v[16:19], v[20:21], off offset:16
	v_cmp_le_i64_e32 vcc_lo, s[10:11], v[1:2]
	v_cmp_lt_u64_e64 s2, 0xffff, v[1:2]
	v_add_co_u32 v1, s3, v1, s21
	s_delay_alu instid0(VALU_DEP_1) | instskip(NEXT) | instid1(VALU_DEP_3)
	v_add_co_ci_u32_e64 v2, s3, 0, v2, s3
	s_or_b32 s23, vcc_lo, s2
	s_add_u32 s5, s5, s22
	s_addc_u32 s16, s16, 0
	s_add_u32 s17, s17, s22
	s_addc_u32 s18, s18, 0
	s_waitcnt vmcnt(3)
	v_mul_lo_u32 v5, v5, s6
	v_mul_lo_u32 v30, v4, s7
	v_mad_u64_u32 v[22:23], null, v4, s6, 0
	v_mul_lo_u32 v4, v7, s6
	v_mul_lo_u32 v7, v6, s7
	v_mad_u64_u32 v[24:25], null, v6, s6, 0
	s_waitcnt vmcnt(2)
	v_mul_lo_u32 v6, v9, s6
	v_mul_lo_u32 v9, v8, s7
	v_mad_u64_u32 v[26:27], null, v8, s6, 0
	v_mul_lo_u32 v8, v11, s6
	v_mul_lo_u32 v11, v10, s7
	v_mad_u64_u32 v[28:29], null, v10, s6, 0
	v_add3_u32 v23, v23, v30, v5
	v_add3_u32 v25, v25, v7, v4
	;; [unrolled: 1-line block ×3, first 2 shown]
	s_waitcnt vmcnt(1)
	s_delay_alu instid0(VALU_DEP_3) | instskip(SKIP_4) | instid1(VALU_DEP_3)
	v_cmp_lt_i64_e32 vcc_lo, v[12:13], v[22:23]
	v_add3_u32 v29, v29, v11, v8
	v_cmp_lt_i64_e64 s2, v[14:15], v[24:25]
	s_waitcnt vmcnt(0)
	v_cmp_lt_i64_e64 s3, v[16:17], v[26:27]
	v_cmp_lt_i64_e64 s4, v[18:19], v[28:29]
	v_dual_cndmask_b32 v5, v23, v13 :: v_dual_cndmask_b32 v4, v22, v12
	s_delay_alu instid0(VALU_DEP_4)
	v_cndmask_b32_e64 v7, v25, v15, s2
	v_cndmask_b32_e64 v6, v24, v14, s2
	;; [unrolled: 1-line block ×6, first 2 shown]
	s_and_b32 s2, exec_lo, s23
	s_clause 0x1
	global_store_b128 v[20:21], v[4:7], off
	global_store_b128 v[20:21], v[8:11], off offset:16
	s_or_b32 s20, s2, s20
	s_delay_alu instid0(SALU_CYCLE_1)
	s_and_not1_b32 exec_lo, exec_lo, s20
	s_cbranch_execnz .LBB99_3
.LBB99_4:
	s_or_b32 exec_lo, exec_lo, s19
	s_mov_b32 s2, 0
.LBB99_5:
	s_delay_alu instid0(SALU_CYCLE_1)
	s_and_not1_b32 vcc_lo, exec_lo, s2
	s_cbranch_vccnz .LBB99_25
; %bb.6:
	v_cmp_lt_i64_e64 s2, s[10:11], 1
	s_delay_alu instid0(VALU_DEP_1)
	s_and_b32 vcc_lo, exec_lo, s2
	s_cbranch_vccnz .LBB99_25
; %bb.7:
	s_load_b32 s0, s[0:1], 0xc64
	v_dual_mov_b32 v2, 0 :: v_dual_lshlrev_b32 v1, 3, v0
	v_cmp_gt_u64_e64 s1, 0x10000, s[10:11]
	s_delay_alu instid0(VALU_DEP_2) | instskip(NEXT) | instid1(VALU_DEP_1)
	v_add_co_u32 v17, s2, s12, v1
	v_add_co_ci_u32_e64 v18, null, s13, 0, s2
	v_add_co_u32 v19, s2, s14, v1
	s_delay_alu instid0(VALU_DEP_1)
	v_add_co_ci_u32_e64 v20, null, s15, 0, s2
	s_waitcnt lgkmcnt(0)
	s_and_b32 s0, s0, 0xffff
	s_and_b32 s1, s1, exec_lo
	v_mad_u64_u32 v[3:4], null, s0, 24, v[1:2]
	s_cselect_b32 s5, s11, 0
	s_cselect_b32 s4, s10, 0x10000
	s_lshl_b32 s3, s0, 4
	s_mul_i32 s2, s0, 3
	v_add_co_u32 v1, s3, s3, v1
	s_delay_alu instid0(VALU_DEP_2) | instskip(NEXT) | instid1(VALU_DEP_3)
	v_add_co_u32 v21, vcc_lo, s12, v3
	v_add_co_ci_u32_e32 v22, vcc_lo, s13, v4, vcc_lo
	v_add_co_u32 v25, s2, s2, v0
	v_add_co_u32 v23, vcc_lo, s14, v3
	v_add_co_ci_u32_e64 v2, null, 0, 0, s3
	v_add_co_ci_u32_e64 v26, null, 0, 0, s2
	v_add_co_u32 v29, s2, v0, s0
	v_add_co_ci_u32_e32 v24, vcc_lo, s15, v4, vcc_lo
	v_add_co_u32 v27, vcc_lo, s12, v1
	v_add_co_ci_u32_e32 v28, vcc_lo, s13, v2, vcc_lo
	v_add_co_u32 v30, vcc_lo, s14, v1
	v_lshlrev_b32_e32 v1, 3, v29
	s_lshl_b32 s1, s0, 1
	v_add_co_ci_u32_e32 v31, vcc_lo, s15, v2, vcc_lo
	v_add_co_u32 v33, s1, s1, v0
	s_delay_alu instid0(VALU_DEP_1) | instskip(SKIP_1) | instid1(VALU_DEP_1)
	v_add_co_ci_u32_e64 v34, null, 0, 0, s1
	v_add_co_u32 v35, s1, s12, v1
	v_add_co_ci_u32_e64 v36, null, s13, 0, s1
	v_add_co_u32 v37, s1, s14, v1
	v_add_co_ci_u32_e64 v32, null, 0, 0, s2
	v_add_co_ci_u32_e64 v38, null, s15, 0, s1
	s_lshl_b32 s14, s0, 2
	s_lshl_b32 s15, s0, 5
	s_mov_b64 s[12:13], 0
	s_branch .LBB99_9
.LBB99_8:                               ;   in Loop: Header=BB99_9 Depth=1
	s_or_b32 exec_lo, exec_lo, s0
	v_add_co_u32 v17, vcc_lo, v17, s15
	v_add_co_ci_u32_e32 v18, vcc_lo, 0, v18, vcc_lo
	v_add_co_u32 v19, vcc_lo, v19, s15
	v_add_co_ci_u32_e32 v20, vcc_lo, 0, v20, vcc_lo
	;; [unrolled: 2-line block ×5, first 2 shown]
	s_add_u32 s12, s12, s14
	v_add_co_u32 v30, vcc_lo, v30, s15
	s_addc_u32 s13, s13, 0
	v_add_co_ci_u32_e32 v31, vcc_lo, 0, v31, vcc_lo
	v_cmp_ge_i64_e64 s0, s[12:13], s[10:11]
	v_cmp_lt_u64_e64 s1, 0xffff, s[12:13]
	v_add_co_u32 v35, vcc_lo, v35, s15
	v_add_co_ci_u32_e32 v36, vcc_lo, 0, v36, vcc_lo
	v_add_co_u32 v37, vcc_lo, v37, s15
	v_add_co_ci_u32_e32 v38, vcc_lo, 0, v38, vcc_lo
	s_or_b32 s0, s0, s1
	s_delay_alu instid0(SALU_CYCLE_1)
	s_and_b32 vcc_lo, exec_lo, s0
	s_cbranch_vccnz .LBB99_25
.LBB99_9:                               ; =>This Inner Loop Header: Depth=1
	s_waitcnt vmcnt(1)
	v_add_co_u32 v3, s0, v0, s12
	s_delay_alu instid0(VALU_DEP_1) | instskip(SKIP_2) | instid1(VALU_DEP_3)
	v_add_co_ci_u32_e64 v4, null, 0, s13, s0
	v_mov_b32_e32 v1, 0
	v_mov_b32_e32 v2, 0
	v_cmp_gt_u64_e32 vcc_lo, s[4:5], v[3:4]
	s_delay_alu instid0(VALU_DEP_2)
	v_dual_mov_b32 v6, v2 :: v_dual_mov_b32 v5, v1
	s_waitcnt vmcnt(0)
	v_dual_mov_b32 v8, v2 :: v_dual_mov_b32 v7, v1
	s_and_saveexec_b32 s1, vcc_lo
	s_cbranch_execz .LBB99_11
; %bb.10:                               ;   in Loop: Header=BB99_9 Depth=1
	v_add_co_u32 v3, s0, v17, s8
	s_delay_alu instid0(VALU_DEP_1) | instskip(SKIP_1) | instid1(VALU_DEP_1)
	v_add_co_ci_u32_e64 v4, s0, s9, v18, s0
	v_add_co_u32 v7, s0, v19, s8
	v_add_co_ci_u32_e64 v8, s0, s9, v20, s0
	global_load_b64 v[5:6], v[3:4], off
	global_load_b64 v[7:8], v[7:8], off
.LBB99_11:                              ;   in Loop: Header=BB99_9 Depth=1
	s_or_b32 exec_lo, exec_lo, s1
	v_add_co_u32 v3, s0, v29, s12
	s_delay_alu instid0(VALU_DEP_1) | instskip(SKIP_1) | instid1(VALU_DEP_2)
	v_add_co_ci_u32_e64 v4, s0, s13, v32, s0
	v_dual_mov_b32 v10, v2 :: v_dual_mov_b32 v9, v1
	v_cmp_gt_u64_e64 s0, s[4:5], v[3:4]
	s_delay_alu instid0(VALU_DEP_1)
	s_and_saveexec_b32 s2, s0
	s_cbranch_execz .LBB99_13
; %bb.12:                               ;   in Loop: Header=BB99_9 Depth=1
	v_add_co_u32 v1, s1, v35, s8
	s_delay_alu instid0(VALU_DEP_1) | instskip(SKIP_1) | instid1(VALU_DEP_1)
	v_add_co_ci_u32_e64 v2, s1, s9, v36, s1
	v_add_co_u32 v3, s1, v37, s8
	v_add_co_ci_u32_e64 v4, s1, s9, v38, s1
	global_load_b64 v[1:2], v[1:2], off
	global_load_b64 v[9:10], v[3:4], off
.LBB99_13:                              ;   in Loop: Header=BB99_9 Depth=1
	s_or_b32 exec_lo, exec_lo, s2
	v_add_co_u32 v11, s1, v33, s12
	s_delay_alu instid0(VALU_DEP_1) | instskip(SKIP_2) | instid1(VALU_DEP_3)
	v_add_co_ci_u32_e64 v12, s1, s13, v34, s1
	v_mov_b32_e32 v3, 0
	v_mov_b32_e32 v4, 0
	v_cmp_gt_u64_e64 s1, s[4:5], v[11:12]
	s_delay_alu instid0(VALU_DEP_2) | instskip(SKIP_1) | instid1(VALU_DEP_3)
	v_dual_mov_b32 v12, v4 :: v_dual_mov_b32 v11, v3
	v_dual_mov_b32 v14, v4 :: v_dual_mov_b32 v13, v3
	s_and_saveexec_b32 s3, s1
	s_cbranch_execz .LBB99_15
; %bb.14:                               ;   in Loop: Header=BB99_9 Depth=1
	v_add_co_u32 v11, s2, v27, s8
	s_delay_alu instid0(VALU_DEP_1) | instskip(SKIP_1) | instid1(VALU_DEP_1)
	v_add_co_ci_u32_e64 v12, s2, s9, v28, s2
	v_add_co_u32 v13, s2, v30, s8
	v_add_co_ci_u32_e64 v14, s2, s9, v31, s2
	global_load_b64 v[11:12], v[11:12], off
	global_load_b64 v[13:14], v[13:14], off
.LBB99_15:                              ;   in Loop: Header=BB99_9 Depth=1
	s_or_b32 exec_lo, exec_lo, s3
	v_add_co_u32 v15, s2, v25, s12
	s_delay_alu instid0(VALU_DEP_1) | instskip(NEXT) | instid1(VALU_DEP_1)
	v_add_co_ci_u32_e64 v16, s2, s13, v26, s2
	v_cmp_gt_u64_e64 s2, s[4:5], v[15:16]
	v_dual_mov_b32 v16, v4 :: v_dual_mov_b32 v15, v3
	s_delay_alu instid0(VALU_DEP_2)
	s_and_saveexec_b32 s16, s2
	s_cbranch_execnz .LBB99_20
; %bb.16:                               ;   in Loop: Header=BB99_9 Depth=1
	s_or_b32 exec_lo, exec_lo, s16
	s_and_saveexec_b32 s3, vcc_lo
	s_cbranch_execnz .LBB99_21
.LBB99_17:                              ;   in Loop: Header=BB99_9 Depth=1
	s_or_b32 exec_lo, exec_lo, s3
	s_and_saveexec_b32 s3, s0
	s_cbranch_execnz .LBB99_22
.LBB99_18:                              ;   in Loop: Header=BB99_9 Depth=1
	s_or_b32 exec_lo, exec_lo, s3
	s_and_saveexec_b32 s0, s1
	s_cbranch_execnz .LBB99_23
.LBB99_19:                              ;   in Loop: Header=BB99_9 Depth=1
	s_or_b32 exec_lo, exec_lo, s0
	s_and_saveexec_b32 s0, s2
	s_cbranch_execz .LBB99_8
	s_branch .LBB99_24
.LBB99_20:                              ;   in Loop: Header=BB99_9 Depth=1
	v_add_co_u32 v3, s3, v21, s8
	s_delay_alu instid0(VALU_DEP_1) | instskip(SKIP_1) | instid1(VALU_DEP_1)
	v_add_co_ci_u32_e64 v4, s3, s9, v22, s3
	v_add_co_u32 v15, s3, v23, s8
	v_add_co_ci_u32_e64 v16, s3, s9, v24, s3
	global_load_b64 v[3:4], v[3:4], off
	global_load_b64 v[15:16], v[15:16], off
	s_or_b32 exec_lo, exec_lo, s16
	s_and_saveexec_b32 s3, vcc_lo
	s_cbranch_execz .LBB99_17
.LBB99_21:                              ;   in Loop: Header=BB99_9 Depth=1
	s_waitcnt vmcnt(0)
	v_mul_lo_u32 v8, v8, s6
	v_mul_lo_u32 v41, v7, s7
	v_mad_u64_u32 v[39:40], null, v7, s6, 0
	s_delay_alu instid0(VALU_DEP_1) | instskip(NEXT) | instid1(VALU_DEP_1)
	v_add3_u32 v40, v40, v41, v8
	v_cmp_lt_i64_e32 vcc_lo, v[5:6], v[39:40]
	v_dual_cndmask_b32 v6, v40, v6 :: v_dual_cndmask_b32 v5, v39, v5
	v_add_co_u32 v7, vcc_lo, v17, s8
	v_add_co_ci_u32_e32 v8, vcc_lo, s9, v18, vcc_lo
	global_store_b64 v[7:8], v[5:6], off
	s_or_b32 exec_lo, exec_lo, s3
	s_and_saveexec_b32 s3, s0
	s_cbranch_execz .LBB99_18
.LBB99_22:                              ;   in Loop: Header=BB99_9 Depth=1
	s_waitcnt vmcnt(0)
	v_mul_lo_u32 v7, v10, s6
	v_mul_lo_u32 v8, v9, s7
	v_mad_u64_u32 v[5:6], null, v9, s6, 0
	s_delay_alu instid0(VALU_DEP_1) | instskip(NEXT) | instid1(VALU_DEP_1)
	v_add3_u32 v6, v6, v8, v7
	v_cmp_lt_i64_e32 vcc_lo, v[1:2], v[5:6]
	v_dual_cndmask_b32 v2, v6, v2 :: v_dual_cndmask_b32 v1, v5, v1
	v_add_co_u32 v5, vcc_lo, v35, s8
	v_add_co_ci_u32_e32 v6, vcc_lo, s9, v36, vcc_lo
	global_store_b64 v[5:6], v[1:2], off
	s_or_b32 exec_lo, exec_lo, s3
	s_and_saveexec_b32 s0, s1
	s_cbranch_execz .LBB99_19
.LBB99_23:                              ;   in Loop: Header=BB99_9 Depth=1
	s_waitcnt vmcnt(0)
	v_mul_lo_u32 v5, v14, s6
	v_mul_lo_u32 v6, v13, s7
	v_mad_u64_u32 v[1:2], null, v13, s6, 0
	s_delay_alu instid0(VALU_DEP_1) | instskip(NEXT) | instid1(VALU_DEP_1)
	v_add3_u32 v2, v2, v6, v5
	v_cmp_lt_i64_e32 vcc_lo, v[11:12], v[1:2]
	v_dual_cndmask_b32 v2, v2, v12 :: v_dual_cndmask_b32 v1, v1, v11
	v_add_co_u32 v5, vcc_lo, v27, s8
	v_add_co_ci_u32_e32 v6, vcc_lo, s9, v28, vcc_lo
	global_store_b64 v[5:6], v[1:2], off
	s_or_b32 exec_lo, exec_lo, s0
	s_and_saveexec_b32 s0, s2
	s_cbranch_execz .LBB99_8
.LBB99_24:                              ;   in Loop: Header=BB99_9 Depth=1
	s_waitcnt vmcnt(0)
	v_mul_lo_u32 v5, v16, s6
	v_mul_lo_u32 v6, v15, s7
	v_mad_u64_u32 v[1:2], null, v15, s6, 0
	s_delay_alu instid0(VALU_DEP_1) | instskip(NEXT) | instid1(VALU_DEP_1)
	v_add3_u32 v2, v2, v6, v5
	v_cmp_lt_i64_e32 vcc_lo, v[3:4], v[1:2]
	v_dual_cndmask_b32 v2, v2, v4 :: v_dual_cndmask_b32 v1, v1, v3
	v_add_co_u32 v3, vcc_lo, v21, s8
	v_add_co_ci_u32_e32 v4, vcc_lo, s9, v22, vcc_lo
	global_store_b64 v[3:4], v[1:2], off
	s_branch .LBB99_8
.LBB99_25:
	s_nop 0
	s_sendmsg sendmsg(MSG_DEALLOC_VGPRS)
	s_endpgm
	.section	.rodata,"a",@progbits
	.p2align	6, 0x0
	.amdhsa_kernel _ZN2at6native12_GLOBAL__N_125multi_tensor_apply_kernelINS1_18TensorListMetadataILi2EEENS1_24BinaryOpListAlphaFunctorIlLi2ELi2ELi0EEEJNS0_7minimumIlEElEEEvT_T0_DpT1_
		.amdhsa_group_segment_fixed_size 0
		.amdhsa_private_segment_fixed_size 0
		.amdhsa_kernarg_size 3416
		.amdhsa_user_sgpr_count 15
		.amdhsa_user_sgpr_dispatch_ptr 0
		.amdhsa_user_sgpr_queue_ptr 0
		.amdhsa_user_sgpr_kernarg_segment_ptr 1
		.amdhsa_user_sgpr_dispatch_id 0
		.amdhsa_user_sgpr_private_segment_size 0
		.amdhsa_wavefront_size32 1
		.amdhsa_uses_dynamic_stack 0
		.amdhsa_enable_private_segment 0
		.amdhsa_system_sgpr_workgroup_id_x 1
		.amdhsa_system_sgpr_workgroup_id_y 0
		.amdhsa_system_sgpr_workgroup_id_z 0
		.amdhsa_system_sgpr_workgroup_info 0
		.amdhsa_system_vgpr_workitem_id 0
		.amdhsa_next_free_vgpr 42
		.amdhsa_next_free_sgpr 26
		.amdhsa_reserve_vcc 1
		.amdhsa_float_round_mode_32 0
		.amdhsa_float_round_mode_16_64 0
		.amdhsa_float_denorm_mode_32 3
		.amdhsa_float_denorm_mode_16_64 3
		.amdhsa_dx10_clamp 1
		.amdhsa_ieee_mode 1
		.amdhsa_fp16_overflow 0
		.amdhsa_workgroup_processor_mode 1
		.amdhsa_memory_ordered 1
		.amdhsa_forward_progress 0
		.amdhsa_shared_vgpr_count 0
		.amdhsa_exception_fp_ieee_invalid_op 0
		.amdhsa_exception_fp_denorm_src 0
		.amdhsa_exception_fp_ieee_div_zero 0
		.amdhsa_exception_fp_ieee_overflow 0
		.amdhsa_exception_fp_ieee_underflow 0
		.amdhsa_exception_fp_ieee_inexact 0
		.amdhsa_exception_int_div_zero 0
	.end_amdhsa_kernel
	.section	.text._ZN2at6native12_GLOBAL__N_125multi_tensor_apply_kernelINS1_18TensorListMetadataILi2EEENS1_24BinaryOpListAlphaFunctorIlLi2ELi2ELi0EEEJNS0_7minimumIlEElEEEvT_T0_DpT1_,"axG",@progbits,_ZN2at6native12_GLOBAL__N_125multi_tensor_apply_kernelINS1_18TensorListMetadataILi2EEENS1_24BinaryOpListAlphaFunctorIlLi2ELi2ELi0EEEJNS0_7minimumIlEElEEEvT_T0_DpT1_,comdat
.Lfunc_end99:
	.size	_ZN2at6native12_GLOBAL__N_125multi_tensor_apply_kernelINS1_18TensorListMetadataILi2EEENS1_24BinaryOpListAlphaFunctorIlLi2ELi2ELi0EEEJNS0_7minimumIlEElEEEvT_T0_DpT1_, .Lfunc_end99-_ZN2at6native12_GLOBAL__N_125multi_tensor_apply_kernelINS1_18TensorListMetadataILi2EEENS1_24BinaryOpListAlphaFunctorIlLi2ELi2ELi0EEEJNS0_7minimumIlEElEEEvT_T0_DpT1_
                                        ; -- End function
	.section	.AMDGPU.csdata,"",@progbits
; Kernel info:
; codeLenInByte = 1992
; NumSgprs: 28
; NumVgprs: 42
; ScratchSize: 0
; MemoryBound: 0
; FloatMode: 240
; IeeeMode: 1
; LDSByteSize: 0 bytes/workgroup (compile time only)
; SGPRBlocks: 3
; VGPRBlocks: 5
; NumSGPRsForWavesPerEU: 28
; NumVGPRsForWavesPerEU: 42
; Occupancy: 16
; WaveLimiterHint : 0
; COMPUTE_PGM_RSRC2:SCRATCH_EN: 0
; COMPUTE_PGM_RSRC2:USER_SGPR: 15
; COMPUTE_PGM_RSRC2:TRAP_HANDLER: 0
; COMPUTE_PGM_RSRC2:TGID_X_EN: 1
; COMPUTE_PGM_RSRC2:TGID_Y_EN: 0
; COMPUTE_PGM_RSRC2:TGID_Z_EN: 0
; COMPUTE_PGM_RSRC2:TIDIG_COMP_CNT: 0
	.section	.text._ZN2at6native12_GLOBAL__N_125multi_tensor_apply_kernelINS1_18TensorListMetadataILi2EEENS1_24BinaryOpListAlphaFunctorIsLi2ELi2ELi0EEEJNS0_7minimumIsEEsEEEvT_T0_DpT1_,"axG",@progbits,_ZN2at6native12_GLOBAL__N_125multi_tensor_apply_kernelINS1_18TensorListMetadataILi2EEENS1_24BinaryOpListAlphaFunctorIsLi2ELi2ELi0EEEJNS0_7minimumIsEEsEEEvT_T0_DpT1_,comdat
	.globl	_ZN2at6native12_GLOBAL__N_125multi_tensor_apply_kernelINS1_18TensorListMetadataILi2EEENS1_24BinaryOpListAlphaFunctorIsLi2ELi2ELi0EEEJNS0_7minimumIsEEsEEEvT_T0_DpT1_ ; -- Begin function _ZN2at6native12_GLOBAL__N_125multi_tensor_apply_kernelINS1_18TensorListMetadataILi2EEENS1_24BinaryOpListAlphaFunctorIsLi2ELi2ELi0EEEJNS0_7minimumIsEEsEEEvT_T0_DpT1_
	.p2align	8
	.type	_ZN2at6native12_GLOBAL__N_125multi_tensor_apply_kernelINS1_18TensorListMetadataILi2EEENS1_24BinaryOpListAlphaFunctorIsLi2ELi2ELi0EEEJNS0_7minimumIsEEsEEEvT_T0_DpT1_,@function
_ZN2at6native12_GLOBAL__N_125multi_tensor_apply_kernelINS1_18TensorListMetadataILi2EEENS1_24BinaryOpListAlphaFunctorIsLi2ELi2ELi0EEEJNS0_7minimumIsEEsEEEvT_T0_DpT1_: ; @_ZN2at6native12_GLOBAL__N_125multi_tensor_apply_kernelINS1_18TensorListMetadataILi2EEENS1_24BinaryOpListAlphaFunctorIsLi2ELi2ELi0EEEJNS0_7minimumIsEEsEEEvT_T0_DpT1_
; %bb.0:
	v_mov_b32_e32 v1, s15
	s_mul_i32 s4, s15, 3
	s_mul_hi_u32 s3, s15, 3
	s_mov_b32 s9, 0
	s_load_b32 s2, s[0:1], 0xc48
	global_load_u8 v1, v1, s[0:1] offset:1536
	s_mov_b32 s19, s9
	s_mov_b32 s17, s9
	s_waitcnt lgkmcnt(0)
	s_lshr_b32 s14, s2, 16
	s_add_u32 s2, s0, s15
	s_addc_u32 s5, s1, 0
	s_add_u32 s2, s2, s4
	s_addc_u32 s3, s5, s3
	s_load_b32 s2, s[2:3], 0x740
	s_waitcnt vmcnt(0)
	v_readfirstlane_b32 s6, v1
	s_delay_alu instid0(VALU_DEP_1)
	s_lshl_b32 s3, s6, 3
	s_clause 0x2
	s_load_b64 s[10:11], s[0:1], s3 offset:0x0
	s_load_b64 s[12:13], s[0:1], s3 offset:0x200
	;; [unrolled: 1-line block ×3, first 2 shown]
	s_waitcnt lgkmcnt(0)
	s_ashr_i32 s3, s2, 31
	s_delay_alu instid0(SALU_CYCLE_1) | instskip(SKIP_4) | instid1(SALU_CYCLE_1)
	s_lshl_b64 s[4:5], s[2:3], 17
	s_lshl_b64 s[2:3], s[2:3], 16
	s_and_b32 s8, s10, 7
	s_and_b32 s16, s12, 7
	;; [unrolled: 1-line block ×3, first 2 shown]
	s_or_b64 s[8:9], s[8:9], s[18:19]
	s_delay_alu instid0(SALU_CYCLE_1)
	s_or_b64 s[8:9], s[16:17], s[8:9]
	s_sub_u32 s6, s6, s2
	s_subb_u32 s7, s7, s3
	s_cmp_eq_u64 s[8:9], 0
	s_mov_b32 s2, -1
	s_cbranch_scc0 .LBB100_5
; %bb.1:
	v_dual_mov_b32 v2, 0 :: v_dual_lshlrev_b32 v1, 2, v0
	s_mov_b32 s8, exec_lo
	s_delay_alu instid0(VALU_DEP_1)
	v_cmpx_gt_i64_e64 s[6:7], v[1:2]
	s_cbranch_execz .LBB100_4
; %bb.2:
	s_load_b32 s2, s[0:1], 0xc5c
	v_lshlrev_b32_e32 v1, 3, v0
	s_mov_b32 s9, 0
	s_delay_alu instid0(VALU_DEP_1) | instskip(NEXT) | instid1(VALU_DEP_1)
	v_add_co_u32 v3, s3, s4, v1
	v_add_co_ci_u32_e64 v4, null, s5, 0, s3
	s_waitcnt lgkmcnt(0)
	s_and_b32 s2, s2, 0xffff
	s_delay_alu instid0(SALU_CYCLE_1)
	v_add_lshl_u32 v1, v0, s2, 2
	s_lshl_b32 s15, s2, 3
	s_lshl_b32 s16, s2, 2
.LBB100_3:                              ; =>This Inner Loop Header: Depth=1
	v_add_co_u32 v5, vcc_lo, s12, v3
	v_add_co_ci_u32_e32 v6, vcc_lo, s13, v4, vcc_lo
	v_add_co_u32 v7, vcc_lo, s10, v3
	v_add_co_ci_u32_e32 v8, vcc_lo, s11, v4, vcc_lo
	v_cmp_le_i64_e32 vcc_lo, s[6:7], v[1:2]
	global_load_b64 v[5:6], v[5:6], off
	global_load_b64 v[9:10], v[7:8], off
	v_cmp_lt_u64_e64 s2, 0xffff, v[1:2]
	v_add_co_u32 v3, s3, v3, s15
	s_delay_alu instid0(VALU_DEP_1) | instskip(SKIP_1) | instid1(VALU_DEP_4)
	v_add_co_ci_u32_e64 v4, s3, 0, v4, s3
	v_add_co_u32 v1, s3, v1, s16
	s_or_b32 s2, vcc_lo, s2
	v_add_co_ci_u32_e64 v2, s3, 0, v2, s3
	s_and_b32 s2, exec_lo, s2
	s_delay_alu instid0(SALU_CYCLE_1)
	s_or_b32 s9, s2, s9
	s_waitcnt vmcnt(1)
	v_lshrrev_b32_e32 v11, 16, v5
	v_mul_lo_u16 v5, v5, s14
	s_waitcnt vmcnt(0)
	v_lshrrev_b32_e32 v12, 16, v9
	v_mul_lo_u16 v13, v6, s14
	v_lshrrev_b32_e32 v6, 16, v6
	v_mul_lo_u16 v11, v11, s14
	v_lshrrev_b32_e32 v14, 16, v10
	v_min_i16 v5, v9, v5
	v_min_i16 v10, v10, v13
	v_mul_lo_u16 v6, v6, s14
	v_min_i16 v9, v12, v11
	s_delay_alu instid0(VALU_DEP_4) | instskip(NEXT) | instid1(VALU_DEP_4)
	v_and_b32_e32 v5, 0xffff, v5
	v_and_b32_e32 v10, 0xffff, v10
	s_delay_alu instid0(VALU_DEP_4) | instskip(NEXT) | instid1(VALU_DEP_4)
	v_min_i16 v6, v14, v6
	v_lshlrev_b32_e32 v9, 16, v9
	s_delay_alu instid0(VALU_DEP_2) | instskip(NEXT) | instid1(VALU_DEP_2)
	v_lshlrev_b32_e32 v6, 16, v6
	v_or_b32_e32 v5, v9, v5
	s_delay_alu instid0(VALU_DEP_2) | instskip(NEXT) | instid1(VALU_DEP_2)
	v_or3_b32 v6, 0, v10, v6
	v_or3_b32 v5, v5, 0, 0
	global_store_b64 v[7:8], v[5:6], off
	s_and_not1_b32 exec_lo, exec_lo, s9
	s_cbranch_execnz .LBB100_3
.LBB100_4:
	s_or_b32 exec_lo, exec_lo, s8
	s_mov_b32 s2, 0
.LBB100_5:
	s_delay_alu instid0(SALU_CYCLE_1)
	s_and_not1_b32 vcc_lo, exec_lo, s2
	s_cbranch_vccnz .LBB100_25
; %bb.6:
	v_cmp_lt_i64_e64 s2, s[6:7], 1
	s_delay_alu instid0(VALU_DEP_1)
	s_and_b32 vcc_lo, exec_lo, s2
	s_cbranch_vccnz .LBB100_25
; %bb.7:
	s_load_b32 s0, s[0:1], 0xc5c
	v_dual_mov_b32 v2, 0 :: v_dual_lshlrev_b32 v1, 1, v0
	v_cmp_gt_u64_e64 s1, 0x10000, s[6:7]
	s_delay_alu instid0(VALU_DEP_2) | instskip(NEXT) | instid1(VALU_DEP_1)
	v_add_co_u32 v3, s2, s10, v1
	v_add_co_ci_u32_e64 v4, null, s11, 0, s2
	v_add_co_u32 v5, s2, s12, v1
	s_delay_alu instid0(VALU_DEP_1)
	v_add_co_ci_u32_e64 v6, null, s13, 0, s2
	s_waitcnt lgkmcnt(0)
	s_and_b32 s0, s0, 0xffff
	s_and_b32 s1, s1, exec_lo
	v_mad_u64_u32 v[9:10], null, s0, 6, v[1:2]
	s_cselect_b32 s9, s7, 0
	s_cselect_b32 s8, s6, 0x10000
	s_lshl_b32 s15, s0, 2
	s_mul_i32 s2, s0, 3
	v_add_co_u32 v1, s3, s15, v1
	s_delay_alu instid0(VALU_DEP_2) | instskip(NEXT) | instid1(VALU_DEP_3)
	v_add_co_u32 v7, vcc_lo, s10, v9
	v_add_co_ci_u32_e32 v8, vcc_lo, s11, v10, vcc_lo
	v_add_co_u32 v11, s2, s2, v0
	v_add_co_u32 v9, vcc_lo, s12, v9
	v_add_co_ci_u32_e64 v2, null, 0, 0, s3
	v_add_co_ci_u32_e64 v12, null, 0, 0, s2
	v_add_co_u32 v15, s2, v0, s0
	v_add_co_ci_u32_e32 v10, vcc_lo, s13, v10, vcc_lo
	v_add_co_u32 v13, vcc_lo, s10, v1
	v_add_co_ci_u32_e32 v14, vcc_lo, s11, v2, vcc_lo
	v_add_co_u32 v16, vcc_lo, s12, v1
	v_lshlrev_b32_e32 v1, 1, v15
	s_lshl_b32 s1, s0, 1
	v_add_co_ci_u32_e32 v17, vcc_lo, s13, v2, vcc_lo
	v_add_co_u32 v19, s1, s1, v0
	s_delay_alu instid0(VALU_DEP_1) | instskip(SKIP_1) | instid1(VALU_DEP_1)
	v_add_co_ci_u32_e64 v20, null, 0, 0, s1
	v_add_co_u32 v21, s1, s10, v1
	v_add_co_ci_u32_e64 v22, null, s11, 0, s1
	v_add_co_u32 v23, s1, s12, v1
	v_add_co_ci_u32_e64 v18, null, 0, 0, s2
	v_add_co_ci_u32_e64 v24, null, s13, 0, s1
	s_mov_b32 s12, 0
	s_lshl_b32 s13, s0, 3
	s_mov_b64 s[10:11], 0
	s_branch .LBB100_9
.LBB100_8:                              ;   in Loop: Header=BB100_9 Depth=1
	s_or_b32 exec_lo, exec_lo, s0
	v_add_co_u32 v3, vcc_lo, v3, s13
	v_add_co_ci_u32_e32 v4, vcc_lo, 0, v4, vcc_lo
	v_add_co_u32 v5, vcc_lo, v5, s13
	v_add_co_ci_u32_e32 v6, vcc_lo, 0, v6, vcc_lo
	;; [unrolled: 2-line block ×5, first 2 shown]
	s_add_u32 s10, s10, s15
	v_add_co_u32 v16, vcc_lo, v16, s13
	s_addc_u32 s11, s11, 0
	v_add_co_ci_u32_e32 v17, vcc_lo, 0, v17, vcc_lo
	v_cmp_ge_i64_e64 s0, s[10:11], s[6:7]
	v_cmp_lt_u64_e64 s1, 0xffff, s[10:11]
	v_add_co_u32 v21, vcc_lo, v21, s13
	v_add_co_ci_u32_e32 v22, vcc_lo, 0, v22, vcc_lo
	v_add_co_u32 v23, vcc_lo, v23, s13
	v_add_co_ci_u32_e32 v24, vcc_lo, 0, v24, vcc_lo
	s_or_b32 s0, s0, s1
	s_delay_alu instid0(SALU_CYCLE_1)
	s_and_b32 vcc_lo, exec_lo, s0
	s_cbranch_vccnz .LBB100_25
.LBB100_9:                              ; =>This Inner Loop Header: Depth=1
	v_add_co_u32 v1, s0, v0, s10
	s_delay_alu instid0(VALU_DEP_1) | instskip(SKIP_2) | instid1(VALU_DEP_2)
	v_add_co_ci_u32_e64 v2, null, 0, s11, s0
	s_waitcnt vmcnt(0)
	v_mov_b32_e32 v25, 0
	v_cmp_gt_u64_e32 vcc_lo, s[8:9], v[1:2]
	v_mov_b32_e32 v1, 0
	v_mov_b32_e32 v2, 0
	s_and_saveexec_b32 s1, vcc_lo
	s_cbranch_execz .LBB100_11
; %bb.10:                               ;   in Loop: Header=BB100_9 Depth=1
	v_add_co_u32 v1, s0, v3, s4
	s_delay_alu instid0(VALU_DEP_1) | instskip(SKIP_2) | instid1(VALU_DEP_1)
	v_add_co_ci_u32_e64 v2, s0, s5, v4, s0
	global_load_u16 v26, v[1:2], off
	v_add_co_u32 v1, s0, v5, s4
	v_add_co_ci_u32_e64 v2, s0, s5, v6, s0
	global_load_u16 v25, v[1:2], off
	s_waitcnt vmcnt(1)
	v_dual_mov_b32 v2, s12 :: v_dual_and_b32 v1, 0xffff, v26
.LBB100_11:                             ;   in Loop: Header=BB100_9 Depth=1
	s_or_b32 exec_lo, exec_lo, s1
	v_add_co_u32 v26, s0, v15, s10
	s_delay_alu instid0(VALU_DEP_1) | instskip(NEXT) | instid1(VALU_DEP_1)
	v_add_co_ci_u32_e64 v27, s0, s11, v18, s0
	v_cmp_gt_u64_e64 s0, s[8:9], v[26:27]
	v_dual_mov_b32 v26, 0 :: v_dual_mov_b32 v27, 0
	s_delay_alu instid0(VALU_DEP_2)
	s_and_saveexec_b32 s2, s0
	s_cbranch_execz .LBB100_13
; %bb.12:                               ;   in Loop: Header=BB100_9 Depth=1
	v_add_co_u32 v27, s1, v21, s4
	s_delay_alu instid0(VALU_DEP_1) | instskip(SKIP_2) | instid1(VALU_DEP_1)
	v_add_co_ci_u32_e64 v28, s1, s5, v22, s1
	global_load_u16 v29, v[27:28], off
	v_add_co_u32 v27, s1, v23, s4
	v_add_co_ci_u32_e64 v28, s1, s5, v24, s1
	global_load_u16 v27, v[27:28], off
	s_waitcnt vmcnt(1)
	v_lshl_or_b32 v1, v29, 16, v1
.LBB100_13:                             ;   in Loop: Header=BB100_9 Depth=1
	s_or_b32 exec_lo, exec_lo, s2
	v_add_co_u32 v28, s1, v19, s10
	s_delay_alu instid0(VALU_DEP_1) | instskip(NEXT) | instid1(VALU_DEP_1)
	v_add_co_ci_u32_e64 v29, s1, s11, v20, s1
	v_cmp_gt_u64_e64 s1, s[8:9], v[28:29]
	s_delay_alu instid0(VALU_DEP_1)
	s_and_saveexec_b32 s3, s1
	s_cbranch_execz .LBB100_15
; %bb.14:                               ;   in Loop: Header=BB100_9 Depth=1
	v_add_co_u32 v28, s2, v13, s4
	s_delay_alu instid0(VALU_DEP_1) | instskip(SKIP_2) | instid1(VALU_DEP_1)
	v_add_co_ci_u32_e64 v29, s2, s5, v14, s2
	global_load_u16 v30, v[28:29], off
	v_add_co_u32 v28, s2, v16, s4
	v_add_co_ci_u32_e64 v29, s2, s5, v17, s2
	global_load_u16 v26, v[28:29], off
	s_waitcnt vmcnt(1)
	v_or_b32_e32 v2, v30, v2
.LBB100_15:                             ;   in Loop: Header=BB100_9 Depth=1
	s_or_b32 exec_lo, exec_lo, s3
	v_add_co_u32 v28, s2, v11, s10
	s_delay_alu instid0(VALU_DEP_1) | instskip(NEXT) | instid1(VALU_DEP_1)
	v_add_co_ci_u32_e64 v29, s2, s11, v12, s2
	v_cmp_gt_u64_e64 s2, s[8:9], v[28:29]
	v_mov_b32_e32 v28, 0
	s_delay_alu instid0(VALU_DEP_2)
	s_and_saveexec_b32 s16, s2
	s_cbranch_execnz .LBB100_20
; %bb.16:                               ;   in Loop: Header=BB100_9 Depth=1
	s_or_b32 exec_lo, exec_lo, s16
	s_and_saveexec_b32 s3, vcc_lo
	s_cbranch_execnz .LBB100_21
.LBB100_17:                             ;   in Loop: Header=BB100_9 Depth=1
	s_or_b32 exec_lo, exec_lo, s3
	s_and_saveexec_b32 s3, s0
	s_cbranch_execnz .LBB100_22
.LBB100_18:                             ;   in Loop: Header=BB100_9 Depth=1
	s_or_b32 exec_lo, exec_lo, s3
	s_and_saveexec_b32 s0, s1
	s_cbranch_execnz .LBB100_23
.LBB100_19:                             ;   in Loop: Header=BB100_9 Depth=1
	s_or_b32 exec_lo, exec_lo, s0
	s_and_saveexec_b32 s0, s2
	s_cbranch_execz .LBB100_8
	s_branch .LBB100_24
.LBB100_20:                             ;   in Loop: Header=BB100_9 Depth=1
	v_add_co_u32 v28, s3, v7, s4
	s_delay_alu instid0(VALU_DEP_1) | instskip(SKIP_3) | instid1(VALU_DEP_1)
	v_add_co_ci_u32_e64 v29, s3, s5, v8, s3
	v_mov_b32_e32 v30, 0
	global_load_d16_hi_b16 v30, v[28:29], off
	v_add_co_u32 v28, s3, v9, s4
	v_add_co_ci_u32_e64 v29, s3, s5, v10, s3
	global_load_u16 v28, v[28:29], off
	s_waitcnt vmcnt(1)
	v_or_b32_e32 v2, v30, v2
	s_or_b32 exec_lo, exec_lo, s16
	s_and_saveexec_b32 s3, vcc_lo
	s_cbranch_execz .LBB100_17
.LBB100_21:                             ;   in Loop: Header=BB100_9 Depth=1
	s_waitcnt vmcnt(0)
	v_mul_lo_u16 v25, v25, s14
	v_add_co_u32 v29, vcc_lo, v3, s4
	v_add_co_ci_u32_e32 v30, vcc_lo, s5, v4, vcc_lo
	s_delay_alu instid0(VALU_DEP_3)
	v_min_i16 v25, v1, v25
	global_store_b16 v[29:30], v25, off
	s_or_b32 exec_lo, exec_lo, s3
	s_and_saveexec_b32 s3, s0
	s_cbranch_execz .LBB100_18
.LBB100_22:                             ;   in Loop: Header=BB100_9 Depth=1
	v_lshrrev_b32_e32 v1, 16, v1
	s_waitcnt vmcnt(0)
	v_mul_lo_u16 v25, v27, s14
	v_add_co_u32 v29, vcc_lo, v21, s4
	v_add_co_ci_u32_e32 v30, vcc_lo, s5, v22, vcc_lo
	s_delay_alu instid0(VALU_DEP_3)
	v_min_i16 v1, v1, v25
	global_store_b16 v[29:30], v1, off
	s_or_b32 exec_lo, exec_lo, s3
	s_and_saveexec_b32 s0, s1
	s_cbranch_execz .LBB100_19
.LBB100_23:                             ;   in Loop: Header=BB100_9 Depth=1
	s_waitcnt vmcnt(0)
	v_mul_lo_u16 v1, v26, s14
	v_add_co_u32 v25, vcc_lo, v13, s4
	v_add_co_ci_u32_e32 v26, vcc_lo, s5, v14, vcc_lo
	s_delay_alu instid0(VALU_DEP_3)
	v_min_i16 v1, v2, v1
	global_store_b16 v[25:26], v1, off
	s_or_b32 exec_lo, exec_lo, s0
	s_and_saveexec_b32 s0, s2
	s_cbranch_execz .LBB100_8
.LBB100_24:                             ;   in Loop: Header=BB100_9 Depth=1
	v_lshrrev_b32_e32 v1, 16, v2
	s_waitcnt vmcnt(0)
	v_mul_lo_u16 v2, v28, s14
	s_delay_alu instid0(VALU_DEP_1)
	v_min_i16 v25, v1, v2
	v_add_co_u32 v1, vcc_lo, v7, s4
	v_add_co_ci_u32_e32 v2, vcc_lo, s5, v8, vcc_lo
	global_store_b16 v[1:2], v25, off
	s_branch .LBB100_8
.LBB100_25:
	s_nop 0
	s_sendmsg sendmsg(MSG_DEALLOC_VGPRS)
	s_endpgm
	.section	.rodata,"a",@progbits
	.p2align	6, 0x0
	.amdhsa_kernel _ZN2at6native12_GLOBAL__N_125multi_tensor_apply_kernelINS1_18TensorListMetadataILi2EEENS1_24BinaryOpListAlphaFunctorIsLi2ELi2ELi0EEEJNS0_7minimumIsEEsEEEvT_T0_DpT1_
		.amdhsa_group_segment_fixed_size 0
		.amdhsa_private_segment_fixed_size 0
		.amdhsa_kernarg_size 3408
		.amdhsa_user_sgpr_count 15
		.amdhsa_user_sgpr_dispatch_ptr 0
		.amdhsa_user_sgpr_queue_ptr 0
		.amdhsa_user_sgpr_kernarg_segment_ptr 1
		.amdhsa_user_sgpr_dispatch_id 0
		.amdhsa_user_sgpr_private_segment_size 0
		.amdhsa_wavefront_size32 1
		.amdhsa_uses_dynamic_stack 0
		.amdhsa_enable_private_segment 0
		.amdhsa_system_sgpr_workgroup_id_x 1
		.amdhsa_system_sgpr_workgroup_id_y 0
		.amdhsa_system_sgpr_workgroup_id_z 0
		.amdhsa_system_sgpr_workgroup_info 0
		.amdhsa_system_vgpr_workitem_id 0
		.amdhsa_next_free_vgpr 31
		.amdhsa_next_free_sgpr 20
		.amdhsa_reserve_vcc 1
		.amdhsa_float_round_mode_32 0
		.amdhsa_float_round_mode_16_64 0
		.amdhsa_float_denorm_mode_32 3
		.amdhsa_float_denorm_mode_16_64 3
		.amdhsa_dx10_clamp 1
		.amdhsa_ieee_mode 1
		.amdhsa_fp16_overflow 0
		.amdhsa_workgroup_processor_mode 1
		.amdhsa_memory_ordered 1
		.amdhsa_forward_progress 0
		.amdhsa_shared_vgpr_count 0
		.amdhsa_exception_fp_ieee_invalid_op 0
		.amdhsa_exception_fp_denorm_src 0
		.amdhsa_exception_fp_ieee_div_zero 0
		.amdhsa_exception_fp_ieee_overflow 0
		.amdhsa_exception_fp_ieee_underflow 0
		.amdhsa_exception_fp_ieee_inexact 0
		.amdhsa_exception_int_div_zero 0
	.end_amdhsa_kernel
	.section	.text._ZN2at6native12_GLOBAL__N_125multi_tensor_apply_kernelINS1_18TensorListMetadataILi2EEENS1_24BinaryOpListAlphaFunctorIsLi2ELi2ELi0EEEJNS0_7minimumIsEEsEEEvT_T0_DpT1_,"axG",@progbits,_ZN2at6native12_GLOBAL__N_125multi_tensor_apply_kernelINS1_18TensorListMetadataILi2EEENS1_24BinaryOpListAlphaFunctorIsLi2ELi2ELi0EEEJNS0_7minimumIsEEsEEEvT_T0_DpT1_,comdat
.Lfunc_end100:
	.size	_ZN2at6native12_GLOBAL__N_125multi_tensor_apply_kernelINS1_18TensorListMetadataILi2EEENS1_24BinaryOpListAlphaFunctorIsLi2ELi2ELi0EEEJNS0_7minimumIsEEsEEEvT_T0_DpT1_, .Lfunc_end100-_ZN2at6native12_GLOBAL__N_125multi_tensor_apply_kernelINS1_18TensorListMetadataILi2EEENS1_24BinaryOpListAlphaFunctorIsLi2ELi2ELi0EEEJNS0_7minimumIsEEsEEEvT_T0_DpT1_
                                        ; -- End function
	.section	.AMDGPU.csdata,"",@progbits
; Kernel info:
; codeLenInByte = 1768
; NumSgprs: 22
; NumVgprs: 31
; ScratchSize: 0
; MemoryBound: 0
; FloatMode: 240
; IeeeMode: 1
; LDSByteSize: 0 bytes/workgroup (compile time only)
; SGPRBlocks: 2
; VGPRBlocks: 3
; NumSGPRsForWavesPerEU: 22
; NumVGPRsForWavesPerEU: 31
; Occupancy: 16
; WaveLimiterHint : 0
; COMPUTE_PGM_RSRC2:SCRATCH_EN: 0
; COMPUTE_PGM_RSRC2:USER_SGPR: 15
; COMPUTE_PGM_RSRC2:TRAP_HANDLER: 0
; COMPUTE_PGM_RSRC2:TGID_X_EN: 1
; COMPUTE_PGM_RSRC2:TGID_Y_EN: 0
; COMPUTE_PGM_RSRC2:TGID_Z_EN: 0
; COMPUTE_PGM_RSRC2:TIDIG_COMP_CNT: 0
	.section	.text._ZN2at6native12_GLOBAL__N_125multi_tensor_apply_kernelINS1_18TensorListMetadataILi2EEENS1_24BinaryOpListAlphaFunctorIdLi2ELi2ELi0EEEJNS0_7minimumIdEEdEEEvT_T0_DpT1_,"axG",@progbits,_ZN2at6native12_GLOBAL__N_125multi_tensor_apply_kernelINS1_18TensorListMetadataILi2EEENS1_24BinaryOpListAlphaFunctorIdLi2ELi2ELi0EEEJNS0_7minimumIdEEdEEEvT_T0_DpT1_,comdat
	.globl	_ZN2at6native12_GLOBAL__N_125multi_tensor_apply_kernelINS1_18TensorListMetadataILi2EEENS1_24BinaryOpListAlphaFunctorIdLi2ELi2ELi0EEEJNS0_7minimumIdEEdEEEvT_T0_DpT1_ ; -- Begin function _ZN2at6native12_GLOBAL__N_125multi_tensor_apply_kernelINS1_18TensorListMetadataILi2EEENS1_24BinaryOpListAlphaFunctorIdLi2ELi2ELi0EEEJNS0_7minimumIdEEdEEEvT_T0_DpT1_
	.p2align	8
	.type	_ZN2at6native12_GLOBAL__N_125multi_tensor_apply_kernelINS1_18TensorListMetadataILi2EEENS1_24BinaryOpListAlphaFunctorIdLi2ELi2ELi0EEEJNS0_7minimumIdEEdEEEvT_T0_DpT1_,@function
_ZN2at6native12_GLOBAL__N_125multi_tensor_apply_kernelINS1_18TensorListMetadataILi2EEENS1_24BinaryOpListAlphaFunctorIdLi2ELi2ELi0EEEJNS0_7minimumIdEEdEEEvT_T0_DpT1_: ; @_ZN2at6native12_GLOBAL__N_125multi_tensor_apply_kernelINS1_18TensorListMetadataILi2EEENS1_24BinaryOpListAlphaFunctorIdLi2ELi2ELi0EEEJNS0_7minimumIdEEdEEEvT_T0_DpT1_
; %bb.0:
	v_mov_b32_e32 v1, s15
	s_add_u32 s2, s0, s15
	s_mul_hi_u32 s3, s15, 3
	s_mul_i32 s15, s15, 3
	s_addc_u32 s4, s1, 0
	global_load_u8 v1, v1, s[0:1] offset:1536
	s_add_u32 s2, s2, s15
	s_addc_u32 s3, s4, s3
	s_mov_b32 s7, 0
	s_load_b32 s2, s[2:3], 0x740
	s_mov_b32 s9, s7
	s_mov_b32 s11, s7
	s_waitcnt vmcnt(0)
	v_readfirstlane_b32 s3, v1
	s_delay_alu instid0(VALU_DEP_1)
	s_lshl_b32 s3, s3, 3
	s_clause 0x3
	s_load_b64 s[18:19], s[0:1], s3 offset:0x0
	s_load_b64 s[20:21], s[0:1], s3 offset:0x200
	;; [unrolled: 1-line block ×3, first 2 shown]
	s_load_b64 s[12:13], s[0:1], 0xc50
	s_waitcnt lgkmcnt(0)
	s_ashr_i32 s3, s2, 31
	s_delay_alu instid0(SALU_CYCLE_1) | instskip(NEXT) | instid1(SALU_CYCLE_1)
	s_lshl_b64 s[14:15], s[2:3], 19
	s_add_u32 s22, s18, s14
	s_addc_u32 s23, s19, s15
	s_and_b32 s6, s22, 31
	s_add_u32 s24, s20, s14
	s_addc_u32 s25, s21, s15
	s_and_b32 s8, s4, 3
	s_and_b32 s10, s24, 31
	s_or_b64 s[6:7], s[6:7], s[8:9]
	s_lshl_b64 s[2:3], s[2:3], 16
	s_or_b64 s[6:7], s[10:11], s[6:7]
	s_sub_u32 s16, s4, s2
	s_subb_u32 s17, s5, s3
	s_cmp_eq_u64 s[6:7], 0
	s_mov_b32 s2, -1
	s_cbranch_scc0 .LBB101_5
; %bb.1:
	v_dual_mov_b32 v2, 0 :: v_dual_lshlrev_b32 v1, 2, v0
	s_mov_b32 s26, exec_lo
	s_delay_alu instid0(VALU_DEP_1)
	v_cmpx_gt_i64_e64 s[16:17], v[1:2]
	s_cbranch_execz .LBB101_4
; %bb.2:
	s_load_b32 s2, s[0:1], 0xc64
	v_lshlrev_b32_e32 v3, 5, v0
	s_mov_b32 s27, 0
	s_waitcnt lgkmcnt(0)
	s_and_b32 s2, s2, 0xffff
	s_delay_alu instid0(SALU_CYCLE_1)
	v_add_lshl_u32 v1, v0, s2, 2
	s_lshl_b32 s28, s2, 2
	s_lshl_b32 s29, s2, 5
.LBB101_3:                              ; =>This Inner Loop Header: Depth=1
	v_add_co_u32 v8, s2, s24, v3
	s_delay_alu instid0(VALU_DEP_1) | instskip(SKIP_1) | instid1(VALU_DEP_1)
	v_add_co_ci_u32_e64 v9, null, s25, 0, s2
	v_add_co_u32 v20, s2, s22, v3
	v_add_co_ci_u32_e64 v21, null, s23, 0, s2
	s_clause 0x1
	global_load_b128 v[4:7], v[8:9], off
	global_load_b128 v[8:11], v[8:9], off offset:16
	s_clause 0x1
	global_load_b128 v[12:15], v[20:21], off
	global_load_b128 v[16:19], v[20:21], off offset:16
	v_cmp_le_i64_e64 s9, s[16:17], v[1:2]
	v_cmp_lt_u64_e64 s10, 0xffff, v[1:2]
	v_add_co_u32 v1, s11, v1, s28
	s_delay_alu instid0(VALU_DEP_1) | instskip(NEXT) | instid1(VALU_DEP_3)
	v_add_co_ci_u32_e64 v2, s11, 0, v2, s11
	s_or_b32 s9, s9, s10
	s_waitcnt vmcnt(3)
	v_mul_f64 v[4:5], v[4:5], s[12:13]
	v_mul_f64 v[6:7], v[6:7], s[12:13]
	s_waitcnt vmcnt(2)
	v_mul_f64 v[8:9], v[8:9], s[12:13]
	v_mul_f64 v[10:11], v[10:11], s[12:13]
	s_waitcnt vmcnt(1)
	v_cmp_u_f64_e32 vcc_lo, v[12:13], v[12:13]
	v_cmp_u_f64_e64 s2, v[14:15], v[14:15]
	s_waitcnt vmcnt(0)
	v_cmp_u_f64_e64 s3, v[16:17], v[16:17]
	v_cmp_u_f64_e64 s4, v[18:19], v[18:19]
	v_cmp_lt_f64_e64 s5, v[12:13], v[4:5]
	v_cmp_lt_f64_e64 s6, v[14:15], v[6:7]
	;; [unrolled: 1-line block ×4, first 2 shown]
	s_delay_alu instid0(VALU_DEP_4) | instskip(NEXT) | instid1(VALU_DEP_3)
	s_or_b32 vcc_lo, vcc_lo, s5
	s_or_b32 s2, s2, s6
	s_delay_alu instid0(VALU_DEP_2) | instskip(NEXT) | instid1(VALU_DEP_1)
	s_or_b32 s3, s3, s7
	s_or_b32 s4, s4, s8
	s_add_u32 s22, s22, s29
	s_addc_u32 s23, s23, 0
	s_add_u32 s24, s24, s29
	v_dual_cndmask_b32 v5, v5, v13 :: v_dual_cndmask_b32 v4, v4, v12
	v_cndmask_b32_e64 v7, v7, v15, s2
	v_cndmask_b32_e64 v6, v6, v14, s2
	s_addc_u32 s25, s25, 0
	v_cndmask_b32_e64 v9, v9, v17, s3
	v_cndmask_b32_e64 v11, v11, v19, s4
	;; [unrolled: 1-line block ×4, first 2 shown]
	s_and_b32 s2, exec_lo, s9
	s_clause 0x1
	global_store_b128 v[20:21], v[4:7], off
	global_store_b128 v[20:21], v[8:11], off offset:16
	s_or_b32 s27, s2, s27
	s_delay_alu instid0(SALU_CYCLE_1)
	s_and_not1_b32 exec_lo, exec_lo, s27
	s_cbranch_execnz .LBB101_3
.LBB101_4:
	s_or_b32 exec_lo, exec_lo, s26
	s_mov_b32 s2, 0
.LBB101_5:
	s_delay_alu instid0(SALU_CYCLE_1)
	s_and_not1_b32 vcc_lo, exec_lo, s2
	s_cbranch_vccnz .LBB101_25
; %bb.6:
	v_cmp_lt_i64_e64 s2, s[16:17], 1
	s_delay_alu instid0(VALU_DEP_1)
	s_and_b32 vcc_lo, exec_lo, s2
	s_cbranch_vccnz .LBB101_25
; %bb.7:
	s_load_b32 s0, s[0:1], 0xc64
	v_dual_mov_b32 v2, 0 :: v_dual_lshlrev_b32 v1, 3, v0
	v_cmp_gt_u64_e64 s1, 0x10000, s[16:17]
	s_mov_b64 s[6:7], 0
	s_delay_alu instid0(VALU_DEP_2) | instskip(NEXT) | instid1(VALU_DEP_1)
	v_add_co_u32 v17, s2, s18, v1
	v_add_co_ci_u32_e64 v18, null, s19, 0, s2
	v_add_co_u32 v19, s2, s20, v1
	s_delay_alu instid0(VALU_DEP_1)
	v_add_co_ci_u32_e64 v20, null, s21, 0, s2
	s_waitcnt lgkmcnt(0)
	s_and_b32 s0, s0, 0xffff
	s_and_b32 s1, s1, exec_lo
	v_mad_u64_u32 v[3:4], null, s0, 24, v[1:2]
	s_cselect_b32 s5, s17, 0
	s_cselect_b32 s4, s16, 0x10000
	s_lshl_b32 s3, s0, 4
	s_mul_i32 s2, s0, 3
	v_add_co_u32 v1, s3, s3, v1
	s_delay_alu instid0(VALU_DEP_2) | instskip(NEXT) | instid1(VALU_DEP_3)
	v_add_co_u32 v21, vcc_lo, s18, v3
	v_add_co_ci_u32_e32 v22, vcc_lo, s19, v4, vcc_lo
	v_add_co_u32 v25, s2, s2, v0
	v_add_co_u32 v23, vcc_lo, s20, v3
	v_add_co_ci_u32_e64 v2, null, 0, 0, s3
	v_add_co_ci_u32_e64 v26, null, 0, 0, s2
	v_add_co_u32 v29, s2, v0, s0
	v_add_co_ci_u32_e32 v24, vcc_lo, s21, v4, vcc_lo
	v_add_co_u32 v27, vcc_lo, s18, v1
	v_add_co_ci_u32_e32 v28, vcc_lo, s19, v2, vcc_lo
	v_add_co_u32 v30, vcc_lo, s20, v1
	v_lshlrev_b32_e32 v1, 3, v29
	s_lshl_b32 s1, s0, 1
	v_add_co_ci_u32_e32 v31, vcc_lo, s21, v2, vcc_lo
	v_add_co_u32 v33, s1, s1, v0
	s_delay_alu instid0(VALU_DEP_1) | instskip(SKIP_1) | instid1(VALU_DEP_1)
	v_add_co_ci_u32_e64 v34, null, 0, 0, s1
	v_add_co_u32 v35, s1, s18, v1
	v_add_co_ci_u32_e64 v36, null, s19, 0, s1
	v_add_co_u32 v37, s1, s20, v1
	v_add_co_ci_u32_e64 v32, null, 0, 0, s2
	v_add_co_ci_u32_e64 v38, null, s21, 0, s1
	s_lshl_b32 s8, s0, 2
	s_lshl_b32 s9, s0, 5
	s_branch .LBB101_9
.LBB101_8:                              ;   in Loop: Header=BB101_9 Depth=1
	s_or_b32 exec_lo, exec_lo, s1
	v_add_co_u32 v17, vcc_lo, v17, s9
	v_add_co_ci_u32_e32 v18, vcc_lo, 0, v18, vcc_lo
	v_add_co_u32 v19, vcc_lo, v19, s9
	v_add_co_ci_u32_e32 v20, vcc_lo, 0, v20, vcc_lo
	;; [unrolled: 2-line block ×5, first 2 shown]
	s_add_u32 s6, s6, s8
	v_add_co_u32 v30, vcc_lo, v30, s9
	s_addc_u32 s7, s7, 0
	v_add_co_ci_u32_e32 v31, vcc_lo, 0, v31, vcc_lo
	v_cmp_ge_i64_e64 s0, s[6:7], s[16:17]
	v_cmp_lt_u64_e64 s1, 0xffff, s[6:7]
	v_add_co_u32 v35, vcc_lo, v35, s9
	v_add_co_ci_u32_e32 v36, vcc_lo, 0, v36, vcc_lo
	v_add_co_u32 v37, vcc_lo, v37, s9
	v_add_co_ci_u32_e32 v38, vcc_lo, 0, v38, vcc_lo
	s_or_b32 s0, s0, s1
	s_delay_alu instid0(SALU_CYCLE_1)
	s_and_b32 vcc_lo, exec_lo, s0
	s_cbranch_vccnz .LBB101_25
.LBB101_9:                              ; =>This Inner Loop Header: Depth=1
	s_waitcnt vmcnt(1)
	v_add_co_u32 v3, s0, v0, s6
	s_delay_alu instid0(VALU_DEP_1) | instskip(SKIP_2) | instid1(VALU_DEP_3)
	v_add_co_ci_u32_e64 v4, null, 0, s7, s0
	v_mov_b32_e32 v1, 0
	v_mov_b32_e32 v2, 0
	v_cmp_gt_u64_e32 vcc_lo, s[4:5], v[3:4]
	s_delay_alu instid0(VALU_DEP_2)
	v_dual_mov_b32 v6, v2 :: v_dual_mov_b32 v5, v1
	s_waitcnt vmcnt(0)
	v_dual_mov_b32 v8, v2 :: v_dual_mov_b32 v7, v1
	s_and_saveexec_b32 s1, vcc_lo
	s_cbranch_execz .LBB101_11
; %bb.10:                               ;   in Loop: Header=BB101_9 Depth=1
	v_add_co_u32 v3, s0, v17, s14
	s_delay_alu instid0(VALU_DEP_1) | instskip(SKIP_1) | instid1(VALU_DEP_1)
	v_add_co_ci_u32_e64 v4, s0, s15, v18, s0
	v_add_co_u32 v7, s0, v19, s14
	v_add_co_ci_u32_e64 v8, s0, s15, v20, s0
	global_load_b64 v[5:6], v[3:4], off
	global_load_b64 v[7:8], v[7:8], off
.LBB101_11:                             ;   in Loop: Header=BB101_9 Depth=1
	s_or_b32 exec_lo, exec_lo, s1
	v_add_co_u32 v3, s0, v29, s6
	s_delay_alu instid0(VALU_DEP_1) | instskip(SKIP_1) | instid1(VALU_DEP_2)
	v_add_co_ci_u32_e64 v4, s0, s7, v32, s0
	v_dual_mov_b32 v10, v2 :: v_dual_mov_b32 v9, v1
	v_cmp_gt_u64_e64 s0, s[4:5], v[3:4]
	s_delay_alu instid0(VALU_DEP_1)
	s_and_saveexec_b32 s2, s0
	s_cbranch_execz .LBB101_13
; %bb.12:                               ;   in Loop: Header=BB101_9 Depth=1
	v_add_co_u32 v1, s1, v35, s14
	s_delay_alu instid0(VALU_DEP_1) | instskip(SKIP_1) | instid1(VALU_DEP_1)
	v_add_co_ci_u32_e64 v2, s1, s15, v36, s1
	v_add_co_u32 v3, s1, v37, s14
	v_add_co_ci_u32_e64 v4, s1, s15, v38, s1
	global_load_b64 v[1:2], v[1:2], off
	global_load_b64 v[9:10], v[3:4], off
.LBB101_13:                             ;   in Loop: Header=BB101_9 Depth=1
	s_or_b32 exec_lo, exec_lo, s2
	v_add_co_u32 v11, s1, v33, s6
	s_delay_alu instid0(VALU_DEP_1) | instskip(SKIP_2) | instid1(VALU_DEP_3)
	v_add_co_ci_u32_e64 v12, s1, s7, v34, s1
	v_mov_b32_e32 v3, 0
	v_mov_b32_e32 v4, 0
	v_cmp_gt_u64_e64 s1, s[4:5], v[11:12]
	s_delay_alu instid0(VALU_DEP_2) | instskip(SKIP_1) | instid1(VALU_DEP_3)
	v_dual_mov_b32 v12, v4 :: v_dual_mov_b32 v11, v3
	v_dual_mov_b32 v14, v4 :: v_dual_mov_b32 v13, v3
	s_and_saveexec_b32 s3, s1
	s_cbranch_execz .LBB101_15
; %bb.14:                               ;   in Loop: Header=BB101_9 Depth=1
	v_add_co_u32 v11, s2, v27, s14
	s_delay_alu instid0(VALU_DEP_1) | instskip(SKIP_1) | instid1(VALU_DEP_1)
	v_add_co_ci_u32_e64 v12, s2, s15, v28, s2
	v_add_co_u32 v13, s2, v30, s14
	v_add_co_ci_u32_e64 v14, s2, s15, v31, s2
	global_load_b64 v[11:12], v[11:12], off
	global_load_b64 v[13:14], v[13:14], off
.LBB101_15:                             ;   in Loop: Header=BB101_9 Depth=1
	s_or_b32 exec_lo, exec_lo, s3
	v_add_co_u32 v15, s2, v25, s6
	s_delay_alu instid0(VALU_DEP_1) | instskip(NEXT) | instid1(VALU_DEP_1)
	v_add_co_ci_u32_e64 v16, s2, s7, v26, s2
	v_cmp_gt_u64_e64 s2, s[4:5], v[15:16]
	v_dual_mov_b32 v16, v4 :: v_dual_mov_b32 v15, v3
	s_delay_alu instid0(VALU_DEP_2)
	s_and_saveexec_b32 s10, s2
	s_cbranch_execnz .LBB101_20
; %bb.16:                               ;   in Loop: Header=BB101_9 Depth=1
	s_or_b32 exec_lo, exec_lo, s10
	s_and_saveexec_b32 s10, vcc_lo
	s_cbranch_execnz .LBB101_21
.LBB101_17:                             ;   in Loop: Header=BB101_9 Depth=1
	s_or_b32 exec_lo, exec_lo, s10
	s_and_saveexec_b32 s3, s0
	s_cbranch_execnz .LBB101_22
.LBB101_18:                             ;   in Loop: Header=BB101_9 Depth=1
	s_or_b32 exec_lo, exec_lo, s3
	s_and_saveexec_b32 s3, s1
	s_cbranch_execnz .LBB101_23
.LBB101_19:                             ;   in Loop: Header=BB101_9 Depth=1
	s_or_b32 exec_lo, exec_lo, s3
	s_and_saveexec_b32 s1, s2
	s_cbranch_execz .LBB101_8
	s_branch .LBB101_24
.LBB101_20:                             ;   in Loop: Header=BB101_9 Depth=1
	v_add_co_u32 v3, s3, v21, s14
	s_delay_alu instid0(VALU_DEP_1) | instskip(SKIP_1) | instid1(VALU_DEP_1)
	v_add_co_ci_u32_e64 v4, s3, s15, v22, s3
	v_add_co_u32 v15, s3, v23, s14
	v_add_co_ci_u32_e64 v16, s3, s15, v24, s3
	global_load_b64 v[3:4], v[3:4], off
	global_load_b64 v[15:16], v[15:16], off
	s_or_b32 exec_lo, exec_lo, s10
	s_and_saveexec_b32 s10, vcc_lo
	s_cbranch_execz .LBB101_17
.LBB101_21:                             ;   in Loop: Header=BB101_9 Depth=1
	s_waitcnt vmcnt(0)
	v_mul_f64 v[7:8], v[7:8], s[12:13]
	v_cmp_u_f64_e32 vcc_lo, v[5:6], v[5:6]
	s_delay_alu instid0(VALU_DEP_2) | instskip(NEXT) | instid1(VALU_DEP_1)
	v_cmp_lt_f64_e64 s3, v[5:6], v[7:8]
	s_or_b32 vcc_lo, vcc_lo, s3
	v_dual_cndmask_b32 v6, v8, v6 :: v_dual_cndmask_b32 v5, v7, v5
	v_add_co_u32 v7, vcc_lo, v17, s14
	v_add_co_ci_u32_e32 v8, vcc_lo, s15, v18, vcc_lo
	global_store_b64 v[7:8], v[5:6], off
	s_or_b32 exec_lo, exec_lo, s10
	s_and_saveexec_b32 s3, s0
	s_cbranch_execz .LBB101_18
.LBB101_22:                             ;   in Loop: Header=BB101_9 Depth=1
	s_waitcnt vmcnt(0)
	v_mul_f64 v[5:6], v[9:10], s[12:13]
	v_cmp_u_f64_e32 vcc_lo, v[1:2], v[1:2]
	s_delay_alu instid0(VALU_DEP_2) | instskip(NEXT) | instid1(VALU_DEP_1)
	v_cmp_lt_f64_e64 s0, v[1:2], v[5:6]
	s_or_b32 vcc_lo, vcc_lo, s0
	v_dual_cndmask_b32 v2, v6, v2 :: v_dual_cndmask_b32 v1, v5, v1
	v_add_co_u32 v5, vcc_lo, v35, s14
	v_add_co_ci_u32_e32 v6, vcc_lo, s15, v36, vcc_lo
	global_store_b64 v[5:6], v[1:2], off
	s_or_b32 exec_lo, exec_lo, s3
	s_and_saveexec_b32 s3, s1
	s_cbranch_execz .LBB101_19
.LBB101_23:                             ;   in Loop: Header=BB101_9 Depth=1
	s_waitcnt vmcnt(0)
	v_mul_f64 v[1:2], v[13:14], s[12:13]
	v_cmp_u_f64_e32 vcc_lo, v[11:12], v[11:12]
	s_delay_alu instid0(VALU_DEP_2) | instskip(NEXT) | instid1(VALU_DEP_1)
	v_cmp_lt_f64_e64 s0, v[11:12], v[1:2]
	s_or_b32 vcc_lo, vcc_lo, s0
	v_dual_cndmask_b32 v2, v2, v12 :: v_dual_cndmask_b32 v1, v1, v11
	v_add_co_u32 v5, vcc_lo, v27, s14
	v_add_co_ci_u32_e32 v6, vcc_lo, s15, v28, vcc_lo
	global_store_b64 v[5:6], v[1:2], off
	s_or_b32 exec_lo, exec_lo, s3
	s_and_saveexec_b32 s1, s2
	s_cbranch_execz .LBB101_8
.LBB101_24:                             ;   in Loop: Header=BB101_9 Depth=1
	s_waitcnt vmcnt(0)
	v_mul_f64 v[1:2], v[15:16], s[12:13]
	v_cmp_u_f64_e32 vcc_lo, v[3:4], v[3:4]
	s_delay_alu instid0(VALU_DEP_2) | instskip(NEXT) | instid1(VALU_DEP_1)
	v_cmp_lt_f64_e64 s0, v[3:4], v[1:2]
	s_or_b32 vcc_lo, vcc_lo, s0
	v_dual_cndmask_b32 v2, v2, v4 :: v_dual_cndmask_b32 v1, v1, v3
	v_add_co_u32 v3, vcc_lo, v21, s14
	v_add_co_ci_u32_e32 v4, vcc_lo, s15, v22, vcc_lo
	global_store_b64 v[3:4], v[1:2], off
	s_branch .LBB101_8
.LBB101_25:
	s_nop 0
	s_sendmsg sendmsg(MSG_DEALLOC_VGPRS)
	s_endpgm
	.section	.rodata,"a",@progbits
	.p2align	6, 0x0
	.amdhsa_kernel _ZN2at6native12_GLOBAL__N_125multi_tensor_apply_kernelINS1_18TensorListMetadataILi2EEENS1_24BinaryOpListAlphaFunctorIdLi2ELi2ELi0EEEJNS0_7minimumIdEEdEEEvT_T0_DpT1_
		.amdhsa_group_segment_fixed_size 0
		.amdhsa_private_segment_fixed_size 0
		.amdhsa_kernarg_size 3416
		.amdhsa_user_sgpr_count 15
		.amdhsa_user_sgpr_dispatch_ptr 0
		.amdhsa_user_sgpr_queue_ptr 0
		.amdhsa_user_sgpr_kernarg_segment_ptr 1
		.amdhsa_user_sgpr_dispatch_id 0
		.amdhsa_user_sgpr_private_segment_size 0
		.amdhsa_wavefront_size32 1
		.amdhsa_uses_dynamic_stack 0
		.amdhsa_enable_private_segment 0
		.amdhsa_system_sgpr_workgroup_id_x 1
		.amdhsa_system_sgpr_workgroup_id_y 0
		.amdhsa_system_sgpr_workgroup_id_z 0
		.amdhsa_system_sgpr_workgroup_info 0
		.amdhsa_system_vgpr_workitem_id 0
		.amdhsa_next_free_vgpr 39
		.amdhsa_next_free_sgpr 30
		.amdhsa_reserve_vcc 1
		.amdhsa_float_round_mode_32 0
		.amdhsa_float_round_mode_16_64 0
		.amdhsa_float_denorm_mode_32 3
		.amdhsa_float_denorm_mode_16_64 3
		.amdhsa_dx10_clamp 1
		.amdhsa_ieee_mode 1
		.amdhsa_fp16_overflow 0
		.amdhsa_workgroup_processor_mode 1
		.amdhsa_memory_ordered 1
		.amdhsa_forward_progress 0
		.amdhsa_shared_vgpr_count 0
		.amdhsa_exception_fp_ieee_invalid_op 0
		.amdhsa_exception_fp_denorm_src 0
		.amdhsa_exception_fp_ieee_div_zero 0
		.amdhsa_exception_fp_ieee_overflow 0
		.amdhsa_exception_fp_ieee_underflow 0
		.amdhsa_exception_fp_ieee_inexact 0
		.amdhsa_exception_int_div_zero 0
	.end_amdhsa_kernel
	.section	.text._ZN2at6native12_GLOBAL__N_125multi_tensor_apply_kernelINS1_18TensorListMetadataILi2EEENS1_24BinaryOpListAlphaFunctorIdLi2ELi2ELi0EEEJNS0_7minimumIdEEdEEEvT_T0_DpT1_,"axG",@progbits,_ZN2at6native12_GLOBAL__N_125multi_tensor_apply_kernelINS1_18TensorListMetadataILi2EEENS1_24BinaryOpListAlphaFunctorIdLi2ELi2ELi0EEEJNS0_7minimumIdEEdEEEvT_T0_DpT1_,comdat
.Lfunc_end101:
	.size	_ZN2at6native12_GLOBAL__N_125multi_tensor_apply_kernelINS1_18TensorListMetadataILi2EEENS1_24BinaryOpListAlphaFunctorIdLi2ELi2ELi0EEEJNS0_7minimumIdEEdEEEvT_T0_DpT1_, .Lfunc_end101-_ZN2at6native12_GLOBAL__N_125multi_tensor_apply_kernelINS1_18TensorListMetadataILi2EEENS1_24BinaryOpListAlphaFunctorIdLi2ELi2ELi0EEEJNS0_7minimumIdEEdEEEvT_T0_DpT1_
                                        ; -- End function
	.section	.AMDGPU.csdata,"",@progbits
; Kernel info:
; codeLenInByte = 1900
; NumSgprs: 32
; NumVgprs: 39
; ScratchSize: 0
; MemoryBound: 0
; FloatMode: 240
; IeeeMode: 1
; LDSByteSize: 0 bytes/workgroup (compile time only)
; SGPRBlocks: 3
; VGPRBlocks: 4
; NumSGPRsForWavesPerEU: 32
; NumVGPRsForWavesPerEU: 39
; Occupancy: 16
; WaveLimiterHint : 0
; COMPUTE_PGM_RSRC2:SCRATCH_EN: 0
; COMPUTE_PGM_RSRC2:USER_SGPR: 15
; COMPUTE_PGM_RSRC2:TRAP_HANDLER: 0
; COMPUTE_PGM_RSRC2:TGID_X_EN: 1
; COMPUTE_PGM_RSRC2:TGID_Y_EN: 0
; COMPUTE_PGM_RSRC2:TGID_Z_EN: 0
; COMPUTE_PGM_RSRC2:TIDIG_COMP_CNT: 0
	.section	.text._ZN2at6native12_GLOBAL__N_125multi_tensor_apply_kernelINS1_18TensorListMetadataILi2EEENS1_24BinaryOpListAlphaFunctorIfLi2ELi2ELi0EEEJNS0_7minimumIfEEfEEEvT_T0_DpT1_,"axG",@progbits,_ZN2at6native12_GLOBAL__N_125multi_tensor_apply_kernelINS1_18TensorListMetadataILi2EEENS1_24BinaryOpListAlphaFunctorIfLi2ELi2ELi0EEEJNS0_7minimumIfEEfEEEvT_T0_DpT1_,comdat
	.globl	_ZN2at6native12_GLOBAL__N_125multi_tensor_apply_kernelINS1_18TensorListMetadataILi2EEENS1_24BinaryOpListAlphaFunctorIfLi2ELi2ELi0EEEJNS0_7minimumIfEEfEEEvT_T0_DpT1_ ; -- Begin function _ZN2at6native12_GLOBAL__N_125multi_tensor_apply_kernelINS1_18TensorListMetadataILi2EEENS1_24BinaryOpListAlphaFunctorIfLi2ELi2ELi0EEEJNS0_7minimumIfEEfEEEvT_T0_DpT1_
	.p2align	8
	.type	_ZN2at6native12_GLOBAL__N_125multi_tensor_apply_kernelINS1_18TensorListMetadataILi2EEENS1_24BinaryOpListAlphaFunctorIfLi2ELi2ELi0EEEJNS0_7minimumIfEEfEEEvT_T0_DpT1_,@function
_ZN2at6native12_GLOBAL__N_125multi_tensor_apply_kernelINS1_18TensorListMetadataILi2EEENS1_24BinaryOpListAlphaFunctorIfLi2ELi2ELi0EEEJNS0_7minimumIfEEfEEEvT_T0_DpT1_: ; @_ZN2at6native12_GLOBAL__N_125multi_tensor_apply_kernelINS1_18TensorListMetadataILi2EEENS1_24BinaryOpListAlphaFunctorIfLi2ELi2ELi0EEEJNS0_7minimumIfEEfEEEvT_T0_DpT1_
; %bb.0:
	v_mov_b32_e32 v1, s15
	s_add_u32 s2, s0, s15
	s_mul_hi_u32 s3, s15, 3
	s_mul_i32 s15, s15, 3
	s_addc_u32 s4, s1, 0
	global_load_u8 v1, v1, s[0:1] offset:1536
	s_add_u32 s2, s2, s15
	s_addc_u32 s3, s4, s3
	s_mov_b32 s7, 0
	s_load_b32 s2, s[2:3], 0x740
	s_mov_b32 s13, s7
	s_mov_b32 s23, s7
	s_waitcnt vmcnt(0)
	v_readfirstlane_b32 s3, v1
	s_delay_alu instid0(VALU_DEP_1)
	s_lshl_b32 s3, s3, 3
	s_clause 0x3
	s_load_b64 s[14:15], s[0:1], s3 offset:0x0
	s_load_b64 s[16:17], s[0:1], s3 offset:0x200
	;; [unrolled: 1-line block ×3, first 2 shown]
	s_load_b32 s18, s[0:1], 0xc4c
	s_waitcnt lgkmcnt(0)
	s_ashr_i32 s3, s2, 31
	s_delay_alu instid0(SALU_CYCLE_1) | instskip(NEXT) | instid1(SALU_CYCLE_1)
	s_lshl_b64 s[10:11], s[2:3], 18
	s_add_u32 s9, s14, s10
	s_addc_u32 s19, s15, s11
	s_and_b32 s6, s9, 15
	s_add_u32 s20, s16, s10
	s_addc_u32 s21, s17, s11
	s_and_b32 s12, s4, 3
	s_and_b32 s22, s20, 15
	s_or_b64 s[6:7], s[6:7], s[12:13]
	s_lshl_b64 s[2:3], s[2:3], 16
	s_or_b64 s[6:7], s[22:23], s[6:7]
	s_sub_u32 s12, s4, s2
	s_subb_u32 s13, s5, s3
	s_cmp_eq_u64 s[6:7], 0
	s_mov_b32 s2, -1
	s_cbranch_scc0 .LBB102_5
; %bb.1:
	v_dual_mov_b32 v2, 0 :: v_dual_lshlrev_b32 v1, 2, v0
	s_mov_b32 s22, exec_lo
	s_delay_alu instid0(VALU_DEP_1)
	v_cmpx_gt_i64_e64 s[12:13], v[1:2]
	s_cbranch_execz .LBB102_4
; %bb.2:
	s_load_b32 s2, s[0:1], 0xc5c
	v_lshlrev_b32_e32 v3, 4, v0
	s_mov_b32 s23, 0
	s_waitcnt lgkmcnt(0)
	s_and_b32 s2, s2, 0xffff
	s_delay_alu instid0(SALU_CYCLE_1)
	v_add_lshl_u32 v1, v0, s2, 2
	s_lshl_b32 s24, s2, 2
	s_lshl_b32 s25, s2, 4
.LBB102_3:                              ; =>This Inner Loop Header: Depth=1
	v_add_co_u32 v4, s2, s20, v3
	s_delay_alu instid0(VALU_DEP_1) | instskip(SKIP_1) | instid1(VALU_DEP_1)
	v_add_co_ci_u32_e64 v5, null, s21, 0, s2
	v_add_co_u32 v12, s2, s9, v3
	v_add_co_ci_u32_e64 v13, null, s19, 0, s2
	global_load_b128 v[4:7], v[4:5], off
	global_load_b128 v[8:11], v[12:13], off
	v_cmp_le_i64_e32 vcc_lo, s[12:13], v[1:2]
	v_cmp_lt_u64_e64 s2, 0xffff, v[1:2]
	v_add_co_u32 v1, s3, v1, s24
	s_delay_alu instid0(VALU_DEP_1) | instskip(NEXT) | instid1(VALU_DEP_3)
	v_add_co_ci_u32_e64 v2, s3, 0, v2, s3
	s_or_b32 s26, vcc_lo, s2
	s_waitcnt vmcnt(1)
	v_dual_mul_f32 v4, s18, v4 :: v_dual_mul_f32 v5, s18, v5
	v_dual_mul_f32 v6, s18, v6 :: v_dual_mul_f32 v7, s18, v7
	s_waitcnt vmcnt(0)
	v_cmp_u_f32_e32 vcc_lo, v8, v8
	s_delay_alu instid0(VALU_DEP_3)
	v_cmp_lt_f32_e64 s5, v8, v4
	v_cmp_u_f32_e64 s2, v9, v9
	v_cmp_lt_f32_e64 s6, v9, v5
	v_cmp_u_f32_e64 s3, v10, v10
	v_cmp_lt_f32_e64 s7, v10, v6
	s_or_b32 vcc_lo, vcc_lo, s5
	v_cmp_u_f32_e64 s4, v11, v11
	v_cmp_lt_f32_e64 s8, v11, v7
	v_cndmask_b32_e32 v4, v4, v8, vcc_lo
	s_or_b32 vcc_lo, s2, s6
	v_cndmask_b32_e32 v5, v5, v9, vcc_lo
	s_or_b32 vcc_lo, s3, s7
	;; [unrolled: 2-line block ×3, first 2 shown]
	s_add_u32 s9, s9, s25
	v_cndmask_b32_e32 v7, v7, v11, vcc_lo
	s_addc_u32 s19, s19, 0
	s_add_u32 s20, s20, s25
	s_addc_u32 s21, s21, 0
	s_and_b32 s2, exec_lo, s26
	global_store_b128 v[12:13], v[4:7], off
	s_or_b32 s23, s2, s23
	s_delay_alu instid0(SALU_CYCLE_1)
	s_and_not1_b32 exec_lo, exec_lo, s23
	s_cbranch_execnz .LBB102_3
.LBB102_4:
	s_or_b32 exec_lo, exec_lo, s22
	s_mov_b32 s2, 0
.LBB102_5:
	s_delay_alu instid0(SALU_CYCLE_1)
	s_and_not1_b32 vcc_lo, exec_lo, s2
	s_cbranch_vccnz .LBB102_25
; %bb.6:
	v_cmp_lt_i64_e64 s2, s[12:13], 1
	s_delay_alu instid0(VALU_DEP_1)
	s_and_b32 vcc_lo, exec_lo, s2
	s_cbranch_vccnz .LBB102_25
; %bb.7:
	s_load_b32 s0, s[0:1], 0xc5c
	v_dual_mov_b32 v10, 0 :: v_dual_lshlrev_b32 v9, 2, v0
	v_cmp_gt_u64_e64 s1, 0x10000, s[12:13]
	s_mov_b64 s[8:9], 0
	s_delay_alu instid0(VALU_DEP_2) | instskip(NEXT) | instid1(VALU_DEP_1)
	v_add_co_u32 v1, s2, s14, v9
	v_add_co_ci_u32_e64 v2, null, s15, 0, s2
	v_add_co_u32 v3, s2, s16, v9
	s_delay_alu instid0(VALU_DEP_1)
	v_add_co_ci_u32_e64 v4, null, s17, 0, s2
	s_waitcnt lgkmcnt(0)
	s_and_b32 s0, s0, 0xffff
	s_and_b32 s1, s1, exec_lo
	v_mad_u64_u32 v[7:8], null, s0, 12, v[9:10]
	s_cselect_b32 s7, s13, 0
	s_cselect_b32 s6, s12, 0x10000
	s_mul_i32 s2, s0, 3
	s_lshl_b32 s3, s0, 3
	s_lshl_b32 s1, s0, 1
	v_add_co_u32 v14, s3, s3, v9
	v_add_co_u32 v9, s2, s2, v0
	s_delay_alu instid0(VALU_DEP_1) | instskip(SKIP_3) | instid1(VALU_DEP_3)
	v_add_co_ci_u32_e64 v10, null, 0, 0, s2
	v_add_co_u32 v13, s2, v0, s0
	v_add_co_u32 v5, vcc_lo, s14, v7
	v_add_co_ci_u32_e32 v6, vcc_lo, s15, v8, vcc_lo
	v_lshlrev_b32_e32 v21, 2, v13
	v_add_co_u32 v7, vcc_lo, s16, v7
	v_add_co_ci_u32_e64 v15, null, 0, 0, s3
	v_add_co_ci_u32_e32 v8, vcc_lo, s17, v8, vcc_lo
	v_add_co_u32 v17, s1, s1, v0
	v_add_co_u32 v11, vcc_lo, s14, v14
	v_add_co_ci_u32_e64 v18, null, 0, 0, s1
	v_add_co_u32 v19, s1, s14, v21
	v_add_co_ci_u32_e32 v12, vcc_lo, s15, v15, vcc_lo
	v_add_co_u32 v14, vcc_lo, s16, v14
	v_add_co_ci_u32_e64 v20, null, s15, 0, s1
	v_add_co_u32 v21, s1, s16, v21
	v_add_co_ci_u32_e32 v15, vcc_lo, s17, v15, vcc_lo
	v_add_co_ci_u32_e64 v16, null, 0, 0, s2
	v_add_co_ci_u32_e64 v22, null, s17, 0, s1
	s_lshl_b32 s5, s0, 2
	s_lshl_b32 s14, s0, 4
	s_branch .LBB102_9
.LBB102_8:                              ;   in Loop: Header=BB102_9 Depth=1
	s_or_b32 exec_lo, exec_lo, s1
	v_add_co_u32 v1, vcc_lo, v1, s14
	v_add_co_ci_u32_e32 v2, vcc_lo, 0, v2, vcc_lo
	v_add_co_u32 v3, vcc_lo, v3, s14
	v_add_co_ci_u32_e32 v4, vcc_lo, 0, v4, vcc_lo
	;; [unrolled: 2-line block ×5, first 2 shown]
	s_add_u32 s8, s8, s5
	v_add_co_u32 v14, vcc_lo, v14, s14
	s_addc_u32 s9, s9, 0
	v_add_co_ci_u32_e32 v15, vcc_lo, 0, v15, vcc_lo
	v_cmp_ge_i64_e64 s0, s[8:9], s[12:13]
	v_cmp_lt_u64_e64 s1, 0xffff, s[8:9]
	v_add_co_u32 v19, vcc_lo, v19, s14
	v_add_co_ci_u32_e32 v20, vcc_lo, 0, v20, vcc_lo
	v_add_co_u32 v21, vcc_lo, v21, s14
	v_add_co_ci_u32_e32 v22, vcc_lo, 0, v22, vcc_lo
	s_or_b32 s0, s0, s1
	s_delay_alu instid0(SALU_CYCLE_1)
	s_and_b32 vcc_lo, exec_lo, s0
	s_cbranch_vccnz .LBB102_25
.LBB102_9:                              ; =>This Inner Loop Header: Depth=1
	s_waitcnt vmcnt(1)
	v_add_co_u32 v23, s0, v0, s8
	s_delay_alu instid0(VALU_DEP_1) | instskip(SKIP_2) | instid1(VALU_DEP_2)
	v_add_co_ci_u32_e64 v24, null, 0, s9, s0
	s_waitcnt vmcnt(0)
	v_mov_b32_e32 v25, 0
	v_cmp_gt_u64_e32 vcc_lo, s[6:7], v[23:24]
	v_mov_b32_e32 v24, 0
	s_and_saveexec_b32 s1, vcc_lo
	s_cbranch_execz .LBB102_11
; %bb.10:                               ;   in Loop: Header=BB102_9 Depth=1
	v_add_co_u32 v23, s0, v1, s10
	s_delay_alu instid0(VALU_DEP_1) | instskip(SKIP_1) | instid1(VALU_DEP_1)
	v_add_co_ci_u32_e64 v24, s0, s11, v2, s0
	v_add_co_u32 v25, s0, v3, s10
	v_add_co_ci_u32_e64 v26, s0, s11, v4, s0
	global_load_b32 v24, v[23:24], off
	global_load_b32 v25, v[25:26], off
.LBB102_11:                             ;   in Loop: Header=BB102_9 Depth=1
	s_or_b32 exec_lo, exec_lo, s1
	v_add_co_u32 v26, s0, v13, s8
	s_delay_alu instid0(VALU_DEP_1) | instskip(SKIP_1) | instid1(VALU_DEP_2)
	v_add_co_ci_u32_e64 v27, s0, s9, v16, s0
	v_mov_b32_e32 v23, 0
	v_cmp_gt_u64_e64 s0, s[6:7], v[26:27]
	v_dual_mov_b32 v26, 0 :: v_dual_mov_b32 v27, 0
	s_delay_alu instid0(VALU_DEP_2)
	s_and_saveexec_b32 s2, s0
	s_cbranch_execz .LBB102_13
; %bb.12:                               ;   in Loop: Header=BB102_9 Depth=1
	v_add_co_u32 v26, s1, v19, s10
	s_delay_alu instid0(VALU_DEP_1) | instskip(SKIP_1) | instid1(VALU_DEP_1)
	v_add_co_ci_u32_e64 v27, s1, s11, v20, s1
	v_add_co_u32 v28, s1, v21, s10
	v_add_co_ci_u32_e64 v29, s1, s11, v22, s1
	global_load_b32 v26, v[26:27], off
	global_load_b32 v27, v[28:29], off
.LBB102_13:                             ;   in Loop: Header=BB102_9 Depth=1
	s_or_b32 exec_lo, exec_lo, s2
	v_add_co_u32 v28, s1, v17, s8
	s_delay_alu instid0(VALU_DEP_1) | instskip(NEXT) | instid1(VALU_DEP_1)
	v_add_co_ci_u32_e64 v29, s1, s9, v18, s1
	v_cmp_gt_u64_e64 s1, s[6:7], v[28:29]
	v_mov_b32_e32 v28, 0
	s_delay_alu instid0(VALU_DEP_2)
	s_and_saveexec_b32 s3, s1
	s_cbranch_execz .LBB102_15
; %bb.14:                               ;   in Loop: Header=BB102_9 Depth=1
	v_add_co_u32 v28, s2, v11, s10
	s_delay_alu instid0(VALU_DEP_1) | instskip(SKIP_1) | instid1(VALU_DEP_1)
	v_add_co_ci_u32_e64 v29, s2, s11, v12, s2
	v_add_co_u32 v30, s2, v14, s10
	v_add_co_ci_u32_e64 v31, s2, s11, v15, s2
	global_load_b32 v23, v[28:29], off
	global_load_b32 v28, v[30:31], off
.LBB102_15:                             ;   in Loop: Header=BB102_9 Depth=1
	s_or_b32 exec_lo, exec_lo, s3
	v_add_co_u32 v29, s2, v9, s8
	s_delay_alu instid0(VALU_DEP_1) | instskip(NEXT) | instid1(VALU_DEP_1)
	v_add_co_ci_u32_e64 v30, s2, s9, v10, s2
	v_cmp_gt_u64_e64 s2, s[6:7], v[29:30]
	v_dual_mov_b32 v29, 0 :: v_dual_mov_b32 v30, 0
	s_delay_alu instid0(VALU_DEP_2)
	s_and_saveexec_b32 s4, s2
	s_cbranch_execnz .LBB102_20
; %bb.16:                               ;   in Loop: Header=BB102_9 Depth=1
	s_or_b32 exec_lo, exec_lo, s4
	s_and_saveexec_b32 s15, vcc_lo
	s_cbranch_execnz .LBB102_21
.LBB102_17:                             ;   in Loop: Header=BB102_9 Depth=1
	s_or_b32 exec_lo, exec_lo, s15
	s_and_saveexec_b32 s3, s0
	s_cbranch_execnz .LBB102_22
.LBB102_18:                             ;   in Loop: Header=BB102_9 Depth=1
	s_or_b32 exec_lo, exec_lo, s3
	s_and_saveexec_b32 s3, s1
	s_cbranch_execnz .LBB102_23
.LBB102_19:                             ;   in Loop: Header=BB102_9 Depth=1
	s_or_b32 exec_lo, exec_lo, s3
	s_and_saveexec_b32 s1, s2
	s_cbranch_execz .LBB102_8
	s_branch .LBB102_24
.LBB102_20:                             ;   in Loop: Header=BB102_9 Depth=1
	v_add_co_u32 v29, s3, v5, s10
	s_delay_alu instid0(VALU_DEP_1) | instskip(SKIP_1) | instid1(VALU_DEP_1)
	v_add_co_ci_u32_e64 v30, s3, s11, v6, s3
	v_add_co_u32 v31, s3, v7, s10
	v_add_co_ci_u32_e64 v32, s3, s11, v8, s3
	global_load_b32 v29, v[29:30], off
	global_load_b32 v30, v[31:32], off
	s_or_b32 exec_lo, exec_lo, s4
	s_and_saveexec_b32 s15, vcc_lo
	s_cbranch_execz .LBB102_17
.LBB102_21:                             ;   in Loop: Header=BB102_9 Depth=1
	s_waitcnt vmcnt(0)
	v_mul_f32_e32 v25, s18, v25
	v_cmp_u_f32_e32 vcc_lo, v24, v24
	v_add_co_u32 v31, s4, v1, s10
	s_delay_alu instid0(VALU_DEP_1) | instskip(NEXT) | instid1(VALU_DEP_4)
	v_add_co_ci_u32_e64 v32, s4, s11, v2, s4
	v_cmp_lt_f32_e64 s3, v24, v25
	s_delay_alu instid0(VALU_DEP_1)
	s_or_b32 vcc_lo, vcc_lo, s3
	v_cndmask_b32_e32 v24, v25, v24, vcc_lo
	global_store_b32 v[31:32], v24, off
	s_or_b32 exec_lo, exec_lo, s15
	s_and_saveexec_b32 s3, s0
	s_cbranch_execz .LBB102_18
.LBB102_22:                             ;   in Loop: Header=BB102_9 Depth=1
	s_waitcnt vmcnt(0)
	v_mul_f32_e32 v24, s18, v27
	v_cmp_u_f32_e32 vcc_lo, v26, v26
	s_delay_alu instid0(VALU_DEP_2) | instskip(NEXT) | instid1(VALU_DEP_1)
	v_cmp_lt_f32_e64 s0, v26, v24
	s_or_b32 vcc_lo, vcc_lo, s0
	v_cndmask_b32_e32 v26, v24, v26, vcc_lo
	v_add_co_u32 v24, vcc_lo, v19, s10
	v_add_co_ci_u32_e32 v25, vcc_lo, s11, v20, vcc_lo
	global_store_b32 v[24:25], v26, off
	s_or_b32 exec_lo, exec_lo, s3
	s_and_saveexec_b32 s3, s1
	s_cbranch_execz .LBB102_19
.LBB102_23:                             ;   in Loop: Header=BB102_9 Depth=1
	s_waitcnt vmcnt(0)
	v_mul_f32_e32 v24, s18, v28
	v_cmp_u_f32_e32 vcc_lo, v23, v23
	s_delay_alu instid0(VALU_DEP_2) | instskip(NEXT) | instid1(VALU_DEP_1)
	v_cmp_lt_f32_e64 s0, v23, v24
	s_or_b32 vcc_lo, vcc_lo, s0
	v_cndmask_b32_e32 v25, v24, v23, vcc_lo
	v_add_co_u32 v23, vcc_lo, v11, s10
	v_add_co_ci_u32_e32 v24, vcc_lo, s11, v12, vcc_lo
	global_store_b32 v[23:24], v25, off
	s_or_b32 exec_lo, exec_lo, s3
	s_and_saveexec_b32 s1, s2
	s_cbranch_execz .LBB102_8
.LBB102_24:                             ;   in Loop: Header=BB102_9 Depth=1
	s_waitcnt vmcnt(0)
	v_mul_f32_e32 v23, s18, v30
	v_cmp_u_f32_e32 vcc_lo, v29, v29
	s_delay_alu instid0(VALU_DEP_2) | instskip(NEXT) | instid1(VALU_DEP_1)
	v_cmp_lt_f32_e64 s0, v29, v23
	s_or_b32 vcc_lo, vcc_lo, s0
	v_cndmask_b32_e32 v25, v23, v29, vcc_lo
	v_add_co_u32 v23, vcc_lo, v5, s10
	v_add_co_ci_u32_e32 v24, vcc_lo, s11, v6, vcc_lo
	global_store_b32 v[23:24], v25, off
	s_branch .LBB102_8
.LBB102_25:
	s_nop 0
	s_sendmsg sendmsg(MSG_DEALLOC_VGPRS)
	s_endpgm
	.section	.rodata,"a",@progbits
	.p2align	6, 0x0
	.amdhsa_kernel _ZN2at6native12_GLOBAL__N_125multi_tensor_apply_kernelINS1_18TensorListMetadataILi2EEENS1_24BinaryOpListAlphaFunctorIfLi2ELi2ELi0EEEJNS0_7minimumIfEEfEEEvT_T0_DpT1_
		.amdhsa_group_segment_fixed_size 0
		.amdhsa_private_segment_fixed_size 0
		.amdhsa_kernarg_size 3408
		.amdhsa_user_sgpr_count 15
		.amdhsa_user_sgpr_dispatch_ptr 0
		.amdhsa_user_sgpr_queue_ptr 0
		.amdhsa_user_sgpr_kernarg_segment_ptr 1
		.amdhsa_user_sgpr_dispatch_id 0
		.amdhsa_user_sgpr_private_segment_size 0
		.amdhsa_wavefront_size32 1
		.amdhsa_uses_dynamic_stack 0
		.amdhsa_enable_private_segment 0
		.amdhsa_system_sgpr_workgroup_id_x 1
		.amdhsa_system_sgpr_workgroup_id_y 0
		.amdhsa_system_sgpr_workgroup_id_z 0
		.amdhsa_system_sgpr_workgroup_info 0
		.amdhsa_system_vgpr_workitem_id 0
		.amdhsa_next_free_vgpr 33
		.amdhsa_next_free_sgpr 27
		.amdhsa_reserve_vcc 1
		.amdhsa_float_round_mode_32 0
		.amdhsa_float_round_mode_16_64 0
		.amdhsa_float_denorm_mode_32 3
		.amdhsa_float_denorm_mode_16_64 3
		.amdhsa_dx10_clamp 1
		.amdhsa_ieee_mode 1
		.amdhsa_fp16_overflow 0
		.amdhsa_workgroup_processor_mode 1
		.amdhsa_memory_ordered 1
		.amdhsa_forward_progress 0
		.amdhsa_shared_vgpr_count 0
		.amdhsa_exception_fp_ieee_invalid_op 0
		.amdhsa_exception_fp_denorm_src 0
		.amdhsa_exception_fp_ieee_div_zero 0
		.amdhsa_exception_fp_ieee_overflow 0
		.amdhsa_exception_fp_ieee_underflow 0
		.amdhsa_exception_fp_ieee_inexact 0
		.amdhsa_exception_int_div_zero 0
	.end_amdhsa_kernel
	.section	.text._ZN2at6native12_GLOBAL__N_125multi_tensor_apply_kernelINS1_18TensorListMetadataILi2EEENS1_24BinaryOpListAlphaFunctorIfLi2ELi2ELi0EEEJNS0_7minimumIfEEfEEEvT_T0_DpT1_,"axG",@progbits,_ZN2at6native12_GLOBAL__N_125multi_tensor_apply_kernelINS1_18TensorListMetadataILi2EEENS1_24BinaryOpListAlphaFunctorIfLi2ELi2ELi0EEEJNS0_7minimumIfEEfEEEvT_T0_DpT1_,comdat
.Lfunc_end102:
	.size	_ZN2at6native12_GLOBAL__N_125multi_tensor_apply_kernelINS1_18TensorListMetadataILi2EEENS1_24BinaryOpListAlphaFunctorIfLi2ELi2ELi0EEEJNS0_7minimumIfEEfEEEvT_T0_DpT1_, .Lfunc_end102-_ZN2at6native12_GLOBAL__N_125multi_tensor_apply_kernelINS1_18TensorListMetadataILi2EEENS1_24BinaryOpListAlphaFunctorIfLi2ELi2ELi0EEEJNS0_7minimumIfEEfEEEvT_T0_DpT1_
                                        ; -- End function
	.section	.AMDGPU.csdata,"",@progbits
; Kernel info:
; codeLenInByte = 1728
; NumSgprs: 29
; NumVgprs: 33
; ScratchSize: 0
; MemoryBound: 0
; FloatMode: 240
; IeeeMode: 1
; LDSByteSize: 0 bytes/workgroup (compile time only)
; SGPRBlocks: 3
; VGPRBlocks: 4
; NumSGPRsForWavesPerEU: 29
; NumVGPRsForWavesPerEU: 33
; Occupancy: 16
; WaveLimiterHint : 0
; COMPUTE_PGM_RSRC2:SCRATCH_EN: 0
; COMPUTE_PGM_RSRC2:USER_SGPR: 15
; COMPUTE_PGM_RSRC2:TRAP_HANDLER: 0
; COMPUTE_PGM_RSRC2:TGID_X_EN: 1
; COMPUTE_PGM_RSRC2:TGID_Y_EN: 0
; COMPUTE_PGM_RSRC2:TGID_Z_EN: 0
; COMPUTE_PGM_RSRC2:TIDIG_COMP_CNT: 0
	.section	.text._ZN2at6native12_GLOBAL__N_125multi_tensor_apply_kernelINS1_18TensorListMetadataILi2EEENS1_24BinaryOpListAlphaFunctorIN3c108BFloat16ELi2ELi2ELi0EEEJNS0_7minimumIfEEfEEEvT_T0_DpT1_,"axG",@progbits,_ZN2at6native12_GLOBAL__N_125multi_tensor_apply_kernelINS1_18TensorListMetadataILi2EEENS1_24BinaryOpListAlphaFunctorIN3c108BFloat16ELi2ELi2ELi0EEEJNS0_7minimumIfEEfEEEvT_T0_DpT1_,comdat
	.globl	_ZN2at6native12_GLOBAL__N_125multi_tensor_apply_kernelINS1_18TensorListMetadataILi2EEENS1_24BinaryOpListAlphaFunctorIN3c108BFloat16ELi2ELi2ELi0EEEJNS0_7minimumIfEEfEEEvT_T0_DpT1_ ; -- Begin function _ZN2at6native12_GLOBAL__N_125multi_tensor_apply_kernelINS1_18TensorListMetadataILi2EEENS1_24BinaryOpListAlphaFunctorIN3c108BFloat16ELi2ELi2ELi0EEEJNS0_7minimumIfEEfEEEvT_T0_DpT1_
	.p2align	8
	.type	_ZN2at6native12_GLOBAL__N_125multi_tensor_apply_kernelINS1_18TensorListMetadataILi2EEENS1_24BinaryOpListAlphaFunctorIN3c108BFloat16ELi2ELi2ELi0EEEJNS0_7minimumIfEEfEEEvT_T0_DpT1_,@function
_ZN2at6native12_GLOBAL__N_125multi_tensor_apply_kernelINS1_18TensorListMetadataILi2EEENS1_24BinaryOpListAlphaFunctorIN3c108BFloat16ELi2ELi2ELi0EEEJNS0_7minimumIfEEfEEEvT_T0_DpT1_: ; @_ZN2at6native12_GLOBAL__N_125multi_tensor_apply_kernelINS1_18TensorListMetadataILi2EEENS1_24BinaryOpListAlphaFunctorIN3c108BFloat16ELi2ELi2ELi0EEEJNS0_7minimumIfEEfEEEvT_T0_DpT1_
; %bb.0:
	v_mov_b32_e32 v1, s15
	s_add_u32 s2, s0, s15
	s_mul_hi_u32 s3, s15, 3
	s_mul_i32 s15, s15, 3
	s_addc_u32 s4, s1, 0
	global_load_u8 v1, v1, s[0:1] offset:1536
	s_add_u32 s2, s2, s15
	s_addc_u32 s3, s4, s3
	s_mov_b32 s7, 0
	s_load_b32 s2, s[2:3], 0x740
	s_mov_b32 s15, s7
	s_mov_b32 s9, s7
	s_waitcnt vmcnt(0)
	v_readfirstlane_b32 s3, v1
	s_delay_alu instid0(VALU_DEP_1)
	s_lshl_b32 s3, s3, 3
	s_clause 0x3
	s_load_b64 s[16:17], s[0:1], s3 offset:0x0
	s_load_b64 s[18:19], s[0:1], s3 offset:0x200
	;; [unrolled: 1-line block ×3, first 2 shown]
	s_load_b32 s11, s[0:1], 0xc4c
	s_waitcnt lgkmcnt(0)
	s_ashr_i32 s3, s2, 31
	s_delay_alu instid0(SALU_CYCLE_1) | instskip(SKIP_4) | instid1(SALU_CYCLE_1)
	s_lshl_b64 s[12:13], s[2:3], 17
	s_lshl_b64 s[2:3], s[2:3], 16
	s_and_b32 s6, s16, 7
	s_and_b32 s8, s18, 7
	;; [unrolled: 1-line block ×3, first 2 shown]
	s_or_b64 s[6:7], s[6:7], s[14:15]
	s_delay_alu instid0(SALU_CYCLE_1)
	s_or_b64 s[6:7], s[8:9], s[6:7]
	s_sub_u32 s14, s4, s2
	s_subb_u32 s15, s5, s3
	s_cmp_eq_u64 s[6:7], 0
	s_mov_b32 s2, -1
	s_cbranch_scc0 .LBB103_5
; %bb.1:
	v_dual_mov_b32 v2, 0 :: v_dual_lshlrev_b32 v1, 2, v0
	s_mov_b32 s20, exec_lo
	s_delay_alu instid0(VALU_DEP_1)
	v_cmpx_gt_i64_e64 s[14:15], v[1:2]
	s_cbranch_execz .LBB103_4
; %bb.2:
	s_load_b32 s2, s[0:1], 0xc5c
	v_lshlrev_b32_e32 v1, 3, v0
	s_mov_b32 s21, 0
	s_delay_alu instid0(VALU_DEP_1) | instskip(NEXT) | instid1(VALU_DEP_1)
	v_add_co_u32 v3, s3, s12, v1
	v_add_co_ci_u32_e64 v4, null, s13, 0, s3
	s_waitcnt lgkmcnt(0)
	s_and_b32 s2, s2, 0xffff
	s_delay_alu instid0(SALU_CYCLE_1)
	v_add_lshl_u32 v1, v0, s2, 2
	s_lshl_b32 s22, s2, 3
	s_lshl_b32 s23, s2, 2
.LBB103_3:                              ; =>This Inner Loop Header: Depth=1
	v_add_co_u32 v5, vcc_lo, s18, v3
	v_add_co_ci_u32_e32 v6, vcc_lo, s19, v4, vcc_lo
	v_add_co_u32 v7, vcc_lo, s16, v3
	v_add_co_ci_u32_e32 v8, vcc_lo, s17, v4, vcc_lo
	v_cmp_le_i64_e32 vcc_lo, s[14:15], v[1:2]
	global_load_b64 v[5:6], v[5:6], off
	global_load_b64 v[9:10], v[7:8], off
	v_cmp_lt_u64_e64 s2, 0xffff, v[1:2]
	v_add_co_u32 v3, s3, v3, s22
	s_delay_alu instid0(VALU_DEP_1) | instskip(SKIP_1) | instid1(VALU_DEP_4)
	v_add_co_ci_u32_e64 v4, s3, 0, v4, s3
	v_add_co_u32 v1, s3, v1, s23
	s_or_b32 s2, vcc_lo, s2
	v_add_co_ci_u32_e64 v2, s3, 0, v2, s3
	s_waitcnt vmcnt(1)
	v_lshlrev_b32_e32 v12, 16, v5
	v_and_b32_e32 v14, 0xffff0000, v5
	s_waitcnt vmcnt(0)
	v_lshlrev_b32_e32 v11, 16, v9
	v_and_b32_e32 v13, 0xffff0000, v9
	v_alignbit_b32 v9, v10, v9, 16
	v_mul_f32_e32 v12, s11, v12
	v_mul_f32_e32 v14, s11, v14
	v_alignbit_b32 v5, v6, v5, 16
	v_and_b32_e32 v6, 0xffff0000, v6
	v_cmp_u_f32_e64 s4, v11, v11
	v_cmp_gt_f32_e64 s7, v12, v11
	v_cmp_u_f32_e64 s5, v13, v13
	s_delay_alu instid0(VALU_DEP_4)
	v_dual_mul_f32 v6, s11, v6 :: v_dual_and_b32 v9, 0xffff0000, v9
	v_and_b32_e32 v5, 0xffff0000, v5
	v_and_b32_e32 v10, 0xffff0000, v10
	v_cmp_gt_f32_e64 s8, v14, v13
	s_or_b32 s4, s4, s7
	v_cmp_u_f32_e64 s9, v9, v9
	v_mul_f32_e32 v5, s11, v5
	v_cmp_u_f32_e64 s6, v10, v10
	v_cmp_gt_f32_e64 s10, v6, v10
	v_cndmask_b32_e64 v11, v12, v11, s4
	s_or_b32 s4, s5, s8
	s_delay_alu instid0(SALU_CYCLE_1) | instskip(SKIP_2) | instid1(SALU_CYCLE_1)
	v_cndmask_b32_e64 v12, v14, v13, s4
	v_cmp_gt_f32_e64 s4, v5, v9
	s_or_b32 s5, s6, s10
	v_cndmask_b32_e64 v6, v6, v10, s5
	s_delay_alu instid0(VALU_DEP_3) | instskip(NEXT) | instid1(VALU_DEP_3)
	v_bfe_u32 v13, v12, 16, 1
	s_or_b32 s4, s9, s4
	v_bfe_u32 v10, v11, 16, 1
	v_cndmask_b32_e64 v5, v5, v9, s4
	v_bfe_u32 v9, v6, 16, 1
	v_add3_u32 v13, v12, v13, 0x7fff
	v_cmp_o_f32_e64 s4, v12, v12
	v_add3_u32 v10, v11, v10, 0x7fff
	v_bfe_u32 v14, v5, 16, 1
	v_add3_u32 v9, v6, v9, 0x7fff
	v_and_b32_e32 v13, 0xffff0000, v13
	v_cmp_o_f32_e64 s5, v11, v11
	v_lshrrev_b32_e32 v10, 16, v10
	v_add3_u32 v14, v5, v14, 0x7fff
	v_and_b32_e32 v9, 0xffff0000, v9
	v_cndmask_b32_e64 v12, 0x7fc00000, v13, s4
	v_cmp_o_f32_e64 s4, v6, v6
	v_cndmask_b32_e64 v10, 0x7fc0, v10, s5
	v_lshrrev_b32_e32 v11, 16, v14
	s_and_b32 s2, exec_lo, s2
	s_delay_alu instid0(VALU_DEP_3) | instskip(SKIP_3) | instid1(VALU_DEP_2)
	v_cndmask_b32_e64 v6, 0x7fc00000, v9, s4
	v_cmp_o_f32_e64 s4, v5, v5
	v_or_b32_e32 v9, v10, v12
	s_or_b32 s21, s2, s21
	v_cndmask_b32_e64 v5, 0x7fc0, v11, s4
	s_delay_alu instid0(VALU_DEP_1) | instskip(NEXT) | instid1(VALU_DEP_3)
	v_or3_b32 v6, 0, v5, v6
	v_or3_b32 v5, v9, 0, 0
	global_store_b64 v[7:8], v[5:6], off
	s_and_not1_b32 exec_lo, exec_lo, s21
	s_cbranch_execnz .LBB103_3
.LBB103_4:
	s_or_b32 exec_lo, exec_lo, s20
	s_mov_b32 s2, 0
.LBB103_5:
	s_delay_alu instid0(SALU_CYCLE_1)
	s_and_not1_b32 vcc_lo, exec_lo, s2
	s_cbranch_vccnz .LBB103_25
; %bb.6:
	v_cmp_lt_i64_e64 s2, s[14:15], 1
	s_delay_alu instid0(VALU_DEP_1)
	s_and_b32 vcc_lo, exec_lo, s2
	s_cbranch_vccnz .LBB103_25
; %bb.7:
	s_load_b32 s0, s[0:1], 0xc5c
	v_dual_mov_b32 v2, 0 :: v_dual_lshlrev_b32 v1, 1, v0
	v_cmp_gt_u64_e64 s1, 0x10000, s[14:15]
	s_mov_b32 s9, 0
	s_mov_b64 s[6:7], 0
	s_delay_alu instid0(VALU_DEP_2) | instskip(NEXT) | instid1(VALU_DEP_1)
	v_add_co_u32 v3, s2, s16, v1
	v_add_co_ci_u32_e64 v4, null, s17, 0, s2
	v_add_co_u32 v5, s2, s18, v1
	s_delay_alu instid0(VALU_DEP_1)
	v_add_co_ci_u32_e64 v6, null, s19, 0, s2
	s_waitcnt lgkmcnt(0)
	s_and_b32 s0, s0, 0xffff
	s_and_b32 s1, s1, exec_lo
	v_mad_u64_u32 v[9:10], null, s0, 6, v[1:2]
	s_cselect_b32 s5, s15, 0
	s_cselect_b32 s4, s14, 0x10000
	s_lshl_b32 s8, s0, 2
	s_mul_i32 s2, s0, 3
	v_add_co_u32 v1, s3, s8, v1
	s_delay_alu instid0(VALU_DEP_2) | instskip(NEXT) | instid1(VALU_DEP_3)
	v_add_co_u32 v7, vcc_lo, s16, v9
	v_add_co_ci_u32_e32 v8, vcc_lo, s17, v10, vcc_lo
	v_add_co_u32 v11, s2, s2, v0
	v_add_co_u32 v9, vcc_lo, s18, v9
	v_add_co_ci_u32_e64 v2, null, 0, 0, s3
	v_add_co_ci_u32_e64 v12, null, 0, 0, s2
	v_add_co_u32 v15, s2, v0, s0
	v_add_co_ci_u32_e32 v10, vcc_lo, s19, v10, vcc_lo
	v_add_co_u32 v13, vcc_lo, s16, v1
	v_add_co_ci_u32_e32 v14, vcc_lo, s17, v2, vcc_lo
	v_add_co_u32 v16, vcc_lo, s18, v1
	v_lshlrev_b32_e32 v1, 1, v15
	s_lshl_b32 s1, s0, 1
	v_add_co_ci_u32_e32 v17, vcc_lo, s19, v2, vcc_lo
	v_add_co_u32 v19, s1, s1, v0
	s_delay_alu instid0(VALU_DEP_1) | instskip(SKIP_1) | instid1(VALU_DEP_1)
	v_add_co_ci_u32_e64 v20, null, 0, 0, s1
	v_add_co_u32 v21, s1, s16, v1
	v_add_co_ci_u32_e64 v22, null, s17, 0, s1
	v_add_co_u32 v23, s1, s18, v1
	v_add_co_ci_u32_e64 v18, null, 0, 0, s2
	v_add_co_ci_u32_e64 v24, null, s19, 0, s1
	s_lshl_b32 s10, s0, 3
	s_branch .LBB103_9
.LBB103_8:                              ;   in Loop: Header=BB103_9 Depth=1
	s_or_b32 exec_lo, exec_lo, s1
	v_add_co_u32 v3, vcc_lo, v3, s10
	v_add_co_ci_u32_e32 v4, vcc_lo, 0, v4, vcc_lo
	v_add_co_u32 v5, vcc_lo, v5, s10
	v_add_co_ci_u32_e32 v6, vcc_lo, 0, v6, vcc_lo
	;; [unrolled: 2-line block ×5, first 2 shown]
	s_add_u32 s6, s6, s8
	v_add_co_u32 v16, vcc_lo, v16, s10
	s_addc_u32 s7, s7, 0
	v_add_co_ci_u32_e32 v17, vcc_lo, 0, v17, vcc_lo
	v_cmp_ge_i64_e64 s0, s[6:7], s[14:15]
	v_cmp_lt_u64_e64 s1, 0xffff, s[6:7]
	v_add_co_u32 v21, vcc_lo, v21, s10
	v_add_co_ci_u32_e32 v22, vcc_lo, 0, v22, vcc_lo
	v_add_co_u32 v23, vcc_lo, v23, s10
	v_add_co_ci_u32_e32 v24, vcc_lo, 0, v24, vcc_lo
	s_or_b32 s0, s0, s1
	s_delay_alu instid0(SALU_CYCLE_1)
	s_and_b32 vcc_lo, exec_lo, s0
	s_cbranch_vccnz .LBB103_25
.LBB103_9:                              ; =>This Inner Loop Header: Depth=1
	v_add_co_u32 v1, s0, v0, s6
	s_delay_alu instid0(VALU_DEP_1) | instskip(SKIP_2) | instid1(VALU_DEP_2)
	v_add_co_ci_u32_e64 v2, null, 0, s7, s0
	s_waitcnt vmcnt(0)
	v_mov_b32_e32 v26, 0
	v_cmp_gt_u64_e32 vcc_lo, s[4:5], v[1:2]
	v_mov_b32_e32 v1, 0
	v_mov_b32_e32 v2, 0
	s_and_saveexec_b32 s1, vcc_lo
	s_cbranch_execz .LBB103_11
; %bb.10:                               ;   in Loop: Header=BB103_9 Depth=1
	v_add_co_u32 v1, s0, v3, s12
	s_delay_alu instid0(VALU_DEP_1) | instskip(SKIP_2) | instid1(VALU_DEP_1)
	v_add_co_ci_u32_e64 v2, s0, s13, v4, s0
	global_load_u16 v25, v[1:2], off
	v_add_co_u32 v1, s0, v5, s12
	v_add_co_ci_u32_e64 v2, s0, s13, v6, s0
	global_load_u16 v26, v[1:2], off
	s_waitcnt vmcnt(1)
	v_dual_mov_b32 v2, s9 :: v_dual_and_b32 v1, 0xffff, v25
.LBB103_11:                             ;   in Loop: Header=BB103_9 Depth=1
	s_or_b32 exec_lo, exec_lo, s1
	v_add_co_u32 v27, s0, v15, s6
	s_delay_alu instid0(VALU_DEP_1) | instskip(SKIP_1) | instid1(VALU_DEP_2)
	v_add_co_ci_u32_e64 v28, s0, s7, v18, s0
	v_mov_b32_e32 v25, 0
	v_cmp_gt_u64_e64 s0, s[4:5], v[27:28]
	v_mov_b32_e32 v27, 0
	s_delay_alu instid0(VALU_DEP_2)
	s_and_saveexec_b32 s2, s0
	s_cbranch_execz .LBB103_13
; %bb.12:                               ;   in Loop: Header=BB103_9 Depth=1
	v_add_co_u32 v27, s1, v21, s12
	s_delay_alu instid0(VALU_DEP_1) | instskip(SKIP_2) | instid1(VALU_DEP_1)
	v_add_co_ci_u32_e64 v28, s1, s13, v22, s1
	global_load_u16 v29, v[27:28], off
	v_add_co_u32 v27, s1, v23, s12
	v_add_co_ci_u32_e64 v28, s1, s13, v24, s1
	global_load_u16 v27, v[27:28], off
	s_waitcnt vmcnt(1)
	v_lshl_or_b32 v1, v29, 16, v1
.LBB103_13:                             ;   in Loop: Header=BB103_9 Depth=1
	s_or_b32 exec_lo, exec_lo, s2
	v_add_co_u32 v28, s1, v19, s6
	s_delay_alu instid0(VALU_DEP_1) | instskip(NEXT) | instid1(VALU_DEP_1)
	v_add_co_ci_u32_e64 v29, s1, s7, v20, s1
	v_cmp_gt_u64_e64 s1, s[4:5], v[28:29]
	s_delay_alu instid0(VALU_DEP_1)
	s_and_saveexec_b32 s3, s1
	s_cbranch_execz .LBB103_15
; %bb.14:                               ;   in Loop: Header=BB103_9 Depth=1
	v_add_co_u32 v28, s2, v13, s12
	s_delay_alu instid0(VALU_DEP_1) | instskip(SKIP_2) | instid1(VALU_DEP_1)
	v_add_co_ci_u32_e64 v29, s2, s13, v14, s2
	global_load_u16 v30, v[28:29], off
	v_add_co_u32 v28, s2, v16, s12
	v_add_co_ci_u32_e64 v29, s2, s13, v17, s2
	global_load_u16 v25, v[28:29], off
	s_waitcnt vmcnt(1)
	v_or_b32_e32 v2, v30, v2
.LBB103_15:                             ;   in Loop: Header=BB103_9 Depth=1
	s_or_b32 exec_lo, exec_lo, s3
	v_add_co_u32 v28, s2, v11, s6
	s_delay_alu instid0(VALU_DEP_1) | instskip(NEXT) | instid1(VALU_DEP_1)
	v_add_co_ci_u32_e64 v29, s2, s7, v12, s2
	v_cmp_gt_u64_e64 s2, s[4:5], v[28:29]
	v_mov_b32_e32 v28, 0
	s_delay_alu instid0(VALU_DEP_2)
	s_and_saveexec_b32 s16, s2
	s_cbranch_execnz .LBB103_20
; %bb.16:                               ;   in Loop: Header=BB103_9 Depth=1
	s_or_b32 exec_lo, exec_lo, s16
	s_and_saveexec_b32 s16, vcc_lo
	s_cbranch_execnz .LBB103_21
.LBB103_17:                             ;   in Loop: Header=BB103_9 Depth=1
	s_or_b32 exec_lo, exec_lo, s16
	s_and_saveexec_b32 s3, s0
	s_cbranch_execnz .LBB103_22
.LBB103_18:                             ;   in Loop: Header=BB103_9 Depth=1
	s_or_b32 exec_lo, exec_lo, s3
	s_and_saveexec_b32 s3, s1
	s_cbranch_execnz .LBB103_23
.LBB103_19:                             ;   in Loop: Header=BB103_9 Depth=1
	s_or_b32 exec_lo, exec_lo, s3
	s_and_saveexec_b32 s1, s2
	s_cbranch_execz .LBB103_8
	s_branch .LBB103_24
.LBB103_20:                             ;   in Loop: Header=BB103_9 Depth=1
	v_add_co_u32 v28, s3, v7, s12
	s_delay_alu instid0(VALU_DEP_1) | instskip(SKIP_3) | instid1(VALU_DEP_1)
	v_add_co_ci_u32_e64 v29, s3, s13, v8, s3
	v_mov_b32_e32 v30, 0
	global_load_d16_hi_b16 v30, v[28:29], off
	v_add_co_u32 v28, s3, v9, s12
	v_add_co_ci_u32_e64 v29, s3, s13, v10, s3
	global_load_u16 v28, v[28:29], off
	s_waitcnt vmcnt(1)
	v_or_b32_e32 v2, v30, v2
	s_or_b32 exec_lo, exec_lo, s16
	s_and_saveexec_b32 s16, vcc_lo
	s_cbranch_execz .LBB103_17
.LBB103_21:                             ;   in Loop: Header=BB103_9 Depth=1
	s_waitcnt vmcnt(0)
	v_lshlrev_b32_e32 v26, 16, v26
	s_delay_alu instid0(VALU_DEP_1) | instskip(NEXT) | instid1(VALU_DEP_1)
	v_dual_mul_f32 v26, s11, v26 :: v_dual_lshlrev_b32 v29, 16, v1
	v_cmp_u_f32_e32 vcc_lo, v29, v29
	s_delay_alu instid0(VALU_DEP_2) | instskip(NEXT) | instid1(VALU_DEP_1)
	v_cmp_gt_f32_e64 s3, v26, v29
	s_or_b32 vcc_lo, vcc_lo, s3
	v_cndmask_b32_e32 v26, v26, v29, vcc_lo
	s_delay_alu instid0(VALU_DEP_1) | instskip(NEXT) | instid1(VALU_DEP_1)
	v_bfe_u32 v29, v26, 16, 1
	v_add3_u32 v29, v26, v29, 0x7fff
	s_delay_alu instid0(VALU_DEP_1) | instskip(SKIP_3) | instid1(VALU_DEP_4)
	v_lshrrev_b32_e32 v31, 16, v29
	v_add_co_u32 v29, vcc_lo, v3, s12
	v_add_co_ci_u32_e32 v30, vcc_lo, s13, v4, vcc_lo
	v_cmp_o_f32_e32 vcc_lo, v26, v26
	v_cndmask_b32_e32 v26, 0x7fc0, v31, vcc_lo
	global_store_b16 v[29:30], v26, off
	s_or_b32 exec_lo, exec_lo, s16
	s_and_saveexec_b32 s3, s0
	s_cbranch_execz .LBB103_18
.LBB103_22:                             ;   in Loop: Header=BB103_9 Depth=1
	s_waitcnt vmcnt(0)
	v_lshlrev_b32_e32 v26, 16, v27
	s_delay_alu instid0(VALU_DEP_1) | instskip(NEXT) | instid1(VALU_DEP_1)
	v_dual_mul_f32 v26, s11, v26 :: v_dual_and_b32 v27, 0xffff0000, v1
	v_cmp_u_f32_e32 vcc_lo, v27, v27
	s_delay_alu instid0(VALU_DEP_2) | instskip(NEXT) | instid1(VALU_DEP_1)
	v_cmp_gt_f32_e64 s0, v26, v27
	s_or_b32 vcc_lo, vcc_lo, s0
	v_cndmask_b32_e32 v26, v26, v27, vcc_lo
	s_delay_alu instid0(VALU_DEP_1) | instskip(SKIP_1) | instid1(VALU_DEP_2)
	v_bfe_u32 v27, v26, 16, 1
	v_cmp_o_f32_e32 vcc_lo, v26, v26
	v_add3_u32 v27, v26, v27, 0x7fff
	s_delay_alu instid0(VALU_DEP_1) | instskip(NEXT) | instid1(VALU_DEP_1)
	v_lshrrev_b32_e32 v27, 16, v27
	v_cndmask_b32_e32 v29, 0x7fc0, v27, vcc_lo
	v_add_co_u32 v26, vcc_lo, v21, s12
	v_add_co_ci_u32_e32 v27, vcc_lo, s13, v22, vcc_lo
	global_store_b16 v[26:27], v29, off
	s_or_b32 exec_lo, exec_lo, s3
	s_and_saveexec_b32 s3, s1
	s_cbranch_execz .LBB103_19
.LBB103_23:                             ;   in Loop: Header=BB103_9 Depth=1
	v_alignbit_b32 v1, v2, v1, 16
	s_waitcnt vmcnt(0)
	v_lshlrev_b32_e32 v25, 16, v25
	s_delay_alu instid0(VALU_DEP_2) | instskip(NEXT) | instid1(VALU_DEP_2)
	v_and_b32_e32 v1, 0xffff0000, v1
	v_mul_f32_e32 v25, s11, v25
	s_delay_alu instid0(VALU_DEP_2) | instskip(NEXT) | instid1(VALU_DEP_2)
	v_cmp_u_f32_e32 vcc_lo, v1, v1
	v_cmp_gt_f32_e64 s0, v25, v1
	s_delay_alu instid0(VALU_DEP_1) | instskip(SKIP_1) | instid1(VALU_DEP_1)
	s_or_b32 vcc_lo, vcc_lo, s0
	v_cndmask_b32_e32 v1, v25, v1, vcc_lo
	v_bfe_u32 v25, v1, 16, 1
	v_cmp_o_f32_e32 vcc_lo, v1, v1
	s_delay_alu instid0(VALU_DEP_2) | instskip(NEXT) | instid1(VALU_DEP_1)
	v_add3_u32 v25, v1, v25, 0x7fff
	v_lshrrev_b32_e32 v25, 16, v25
	s_delay_alu instid0(VALU_DEP_1)
	v_cndmask_b32_e32 v1, 0x7fc0, v25, vcc_lo
	v_add_co_u32 v25, vcc_lo, v13, s12
	v_add_co_ci_u32_e32 v26, vcc_lo, s13, v14, vcc_lo
	global_store_b16 v[25:26], v1, off
	s_or_b32 exec_lo, exec_lo, s3
	s_and_saveexec_b32 s1, s2
	s_cbranch_execz .LBB103_8
.LBB103_24:                             ;   in Loop: Header=BB103_9 Depth=1
	s_waitcnt vmcnt(0)
	v_lshlrev_b32_e32 v1, 16, v28
	s_delay_alu instid0(VALU_DEP_1) | instskip(NEXT) | instid1(VALU_DEP_1)
	v_dual_mul_f32 v1, s11, v1 :: v_dual_and_b32 v2, 0xffff0000, v2
	v_cmp_u_f32_e32 vcc_lo, v2, v2
	s_delay_alu instid0(VALU_DEP_2) | instskip(NEXT) | instid1(VALU_DEP_1)
	v_cmp_gt_f32_e64 s0, v1, v2
	s_or_b32 vcc_lo, vcc_lo, s0
	v_cndmask_b32_e32 v1, v1, v2, vcc_lo
	s_delay_alu instid0(VALU_DEP_1) | instskip(SKIP_1) | instid1(VALU_DEP_2)
	v_bfe_u32 v2, v1, 16, 1
	v_cmp_o_f32_e32 vcc_lo, v1, v1
	v_add3_u32 v2, v1, v2, 0x7fff
	s_delay_alu instid0(VALU_DEP_1) | instskip(NEXT) | instid1(VALU_DEP_1)
	v_lshrrev_b32_e32 v2, 16, v2
	v_cndmask_b32_e32 v25, 0x7fc0, v2, vcc_lo
	v_add_co_u32 v1, vcc_lo, v7, s12
	v_add_co_ci_u32_e32 v2, vcc_lo, s13, v8, vcc_lo
	global_store_b16 v[1:2], v25, off
	s_branch .LBB103_8
.LBB103_25:
	s_nop 0
	s_sendmsg sendmsg(MSG_DEALLOC_VGPRS)
	s_endpgm
	.section	.rodata,"a",@progbits
	.p2align	6, 0x0
	.amdhsa_kernel _ZN2at6native12_GLOBAL__N_125multi_tensor_apply_kernelINS1_18TensorListMetadataILi2EEENS1_24BinaryOpListAlphaFunctorIN3c108BFloat16ELi2ELi2ELi0EEEJNS0_7minimumIfEEfEEEvT_T0_DpT1_
		.amdhsa_group_segment_fixed_size 0
		.amdhsa_private_segment_fixed_size 0
		.amdhsa_kernarg_size 3408
		.amdhsa_user_sgpr_count 15
		.amdhsa_user_sgpr_dispatch_ptr 0
		.amdhsa_user_sgpr_queue_ptr 0
		.amdhsa_user_sgpr_kernarg_segment_ptr 1
		.amdhsa_user_sgpr_dispatch_id 0
		.amdhsa_user_sgpr_private_segment_size 0
		.amdhsa_wavefront_size32 1
		.amdhsa_uses_dynamic_stack 0
		.amdhsa_enable_private_segment 0
		.amdhsa_system_sgpr_workgroup_id_x 1
		.amdhsa_system_sgpr_workgroup_id_y 0
		.amdhsa_system_sgpr_workgroup_id_z 0
		.amdhsa_system_sgpr_workgroup_info 0
		.amdhsa_system_vgpr_workitem_id 0
		.amdhsa_next_free_vgpr 32
		.amdhsa_next_free_sgpr 24
		.amdhsa_reserve_vcc 1
		.amdhsa_float_round_mode_32 0
		.amdhsa_float_round_mode_16_64 0
		.amdhsa_float_denorm_mode_32 3
		.amdhsa_float_denorm_mode_16_64 3
		.amdhsa_dx10_clamp 1
		.amdhsa_ieee_mode 1
		.amdhsa_fp16_overflow 0
		.amdhsa_workgroup_processor_mode 1
		.amdhsa_memory_ordered 1
		.amdhsa_forward_progress 0
		.amdhsa_shared_vgpr_count 0
		.amdhsa_exception_fp_ieee_invalid_op 0
		.amdhsa_exception_fp_denorm_src 0
		.amdhsa_exception_fp_ieee_div_zero 0
		.amdhsa_exception_fp_ieee_overflow 0
		.amdhsa_exception_fp_ieee_underflow 0
		.amdhsa_exception_fp_ieee_inexact 0
		.amdhsa_exception_int_div_zero 0
	.end_amdhsa_kernel
	.section	.text._ZN2at6native12_GLOBAL__N_125multi_tensor_apply_kernelINS1_18TensorListMetadataILi2EEENS1_24BinaryOpListAlphaFunctorIN3c108BFloat16ELi2ELi2ELi0EEEJNS0_7minimumIfEEfEEEvT_T0_DpT1_,"axG",@progbits,_ZN2at6native12_GLOBAL__N_125multi_tensor_apply_kernelINS1_18TensorListMetadataILi2EEENS1_24BinaryOpListAlphaFunctorIN3c108BFloat16ELi2ELi2ELi0EEEJNS0_7minimumIfEEfEEEvT_T0_DpT1_,comdat
.Lfunc_end103:
	.size	_ZN2at6native12_GLOBAL__N_125multi_tensor_apply_kernelINS1_18TensorListMetadataILi2EEENS1_24BinaryOpListAlphaFunctorIN3c108BFloat16ELi2ELi2ELi0EEEJNS0_7minimumIfEEfEEEvT_T0_DpT1_, .Lfunc_end103-_ZN2at6native12_GLOBAL__N_125multi_tensor_apply_kernelINS1_18TensorListMetadataILi2EEENS1_24BinaryOpListAlphaFunctorIN3c108BFloat16ELi2ELi2ELi0EEEJNS0_7minimumIfEEfEEEvT_T0_DpT1_
                                        ; -- End function
	.section	.AMDGPU.csdata,"",@progbits
; Kernel info:
; codeLenInByte = 2312
; NumSgprs: 26
; NumVgprs: 32
; ScratchSize: 0
; MemoryBound: 0
; FloatMode: 240
; IeeeMode: 1
; LDSByteSize: 0 bytes/workgroup (compile time only)
; SGPRBlocks: 3
; VGPRBlocks: 3
; NumSGPRsForWavesPerEU: 26
; NumVGPRsForWavesPerEU: 32
; Occupancy: 16
; WaveLimiterHint : 0
; COMPUTE_PGM_RSRC2:SCRATCH_EN: 0
; COMPUTE_PGM_RSRC2:USER_SGPR: 15
; COMPUTE_PGM_RSRC2:TRAP_HANDLER: 0
; COMPUTE_PGM_RSRC2:TGID_X_EN: 1
; COMPUTE_PGM_RSRC2:TGID_Y_EN: 0
; COMPUTE_PGM_RSRC2:TGID_Z_EN: 0
; COMPUTE_PGM_RSRC2:TIDIG_COMP_CNT: 0
	.section	.text._ZN2at6native12_GLOBAL__N_125multi_tensor_apply_kernelINS1_18TensorListMetadataILi2EEENS1_24BinaryOpListAlphaFunctorIN3c104HalfELi2ELi2ELi0EEEJNS0_7minimumIfEEfEEEvT_T0_DpT1_,"axG",@progbits,_ZN2at6native12_GLOBAL__N_125multi_tensor_apply_kernelINS1_18TensorListMetadataILi2EEENS1_24BinaryOpListAlphaFunctorIN3c104HalfELi2ELi2ELi0EEEJNS0_7minimumIfEEfEEEvT_T0_DpT1_,comdat
	.globl	_ZN2at6native12_GLOBAL__N_125multi_tensor_apply_kernelINS1_18TensorListMetadataILi2EEENS1_24BinaryOpListAlphaFunctorIN3c104HalfELi2ELi2ELi0EEEJNS0_7minimumIfEEfEEEvT_T0_DpT1_ ; -- Begin function _ZN2at6native12_GLOBAL__N_125multi_tensor_apply_kernelINS1_18TensorListMetadataILi2EEENS1_24BinaryOpListAlphaFunctorIN3c104HalfELi2ELi2ELi0EEEJNS0_7minimumIfEEfEEEvT_T0_DpT1_
	.p2align	8
	.type	_ZN2at6native12_GLOBAL__N_125multi_tensor_apply_kernelINS1_18TensorListMetadataILi2EEENS1_24BinaryOpListAlphaFunctorIN3c104HalfELi2ELi2ELi0EEEJNS0_7minimumIfEEfEEEvT_T0_DpT1_,@function
_ZN2at6native12_GLOBAL__N_125multi_tensor_apply_kernelINS1_18TensorListMetadataILi2EEENS1_24BinaryOpListAlphaFunctorIN3c104HalfELi2ELi2ELi0EEEJNS0_7minimumIfEEfEEEvT_T0_DpT1_: ; @_ZN2at6native12_GLOBAL__N_125multi_tensor_apply_kernelINS1_18TensorListMetadataILi2EEENS1_24BinaryOpListAlphaFunctorIN3c104HalfELi2ELi2ELi0EEEJNS0_7minimumIfEEfEEEvT_T0_DpT1_
; %bb.0:
	v_mov_b32_e32 v1, s15
	s_add_u32 s2, s0, s15
	s_mul_hi_u32 s3, s15, 3
	s_mul_i32 s15, s15, 3
	s_addc_u32 s4, s1, 0
	global_load_u8 v1, v1, s[0:1] offset:1536
	s_add_u32 s2, s2, s15
	s_addc_u32 s3, s4, s3
	s_mov_b32 s11, 0
	s_load_b32 s2, s[2:3], 0x740
	s_mov_b32 s21, s11
	s_mov_b32 s23, s11
	s_waitcnt vmcnt(0)
	v_readfirstlane_b32 s3, v1
	s_delay_alu instid0(VALU_DEP_1)
	s_lshl_b32 s3, s3, 3
	s_clause 0x3
	s_load_b64 s[12:13], s[0:1], s3 offset:0x0
	s_load_b64 s[14:15], s[0:1], s3 offset:0x200
	;; [unrolled: 1-line block ×3, first 2 shown]
	s_load_b32 s16, s[0:1], 0xc4c
	s_waitcnt lgkmcnt(0)
	s_ashr_i32 s3, s2, 31
	s_delay_alu instid0(SALU_CYCLE_1) | instskip(NEXT) | instid1(SALU_CYCLE_1)
	s_lshl_b64 s[8:9], s[2:3], 17
	s_add_u32 s7, s12, s8
	s_addc_u32 s17, s13, s9
	s_and_b32 s10, s7, 7
	s_add_u32 s18, s14, s8
	s_addc_u32 s19, s15, s9
	s_and_b32 s20, s4, 3
	s_and_b32 s22, s18, 7
	s_or_b64 s[10:11], s[10:11], s[20:21]
	s_lshl_b64 s[2:3], s[2:3], 16
	s_or_b64 s[20:21], s[22:23], s[10:11]
	s_sub_u32 s10, s4, s2
	s_subb_u32 s11, s5, s3
	s_cmp_eq_u64 s[20:21], 0
	s_mov_b32 s2, -1
	s_cbranch_scc0 .LBB104_5
; %bb.1:
	v_dual_mov_b32 v2, 0 :: v_dual_lshlrev_b32 v1, 2, v0
	s_mov_b32 s20, exec_lo
	s_delay_alu instid0(VALU_DEP_1)
	v_cmpx_gt_i64_e64 s[10:11], v[1:2]
	s_cbranch_execz .LBB104_4
; %bb.2:
	s_load_b32 s2, s[0:1], 0xc5c
	v_lshlrev_b32_e32 v3, 3, v0
	s_mov_b32 s21, 0
	s_waitcnt lgkmcnt(0)
	s_and_b32 s2, s2, 0xffff
	s_delay_alu instid0(SALU_CYCLE_1)
	v_add_lshl_u32 v1, v0, s2, 2
	s_lshl_b32 s22, s2, 2
	s_lshl_b32 s23, s2, 3
.LBB104_3:                              ; =>This Inner Loop Header: Depth=1
	v_add_co_u32 v4, s2, s18, v3
	s_delay_alu instid0(VALU_DEP_1) | instskip(SKIP_1) | instid1(VALU_DEP_1)
	v_add_co_ci_u32_e64 v5, null, s19, 0, s2
	v_add_co_u32 v6, s2, s7, v3
	v_add_co_ci_u32_e64 v7, null, s17, 0, s2
	global_load_b64 v[4:5], v[4:5], off
	global_load_b64 v[8:9], v[6:7], off
	v_cmp_le_i64_e32 vcc_lo, s[10:11], v[1:2]
	v_cmp_lt_u64_e64 s2, 0xffff, v[1:2]
	v_add_co_u32 v1, s3, v1, s22
	s_delay_alu instid0(VALU_DEP_1) | instskip(NEXT) | instid1(VALU_DEP_3)
	v_add_co_ci_u32_e64 v2, s3, 0, v2, s3
	s_or_b32 s24, vcc_lo, s2
	s_waitcnt vmcnt(1)
	v_lshrrev_b32_e32 v12, 16, v4
	v_cvt_f32_f16_e32 v4, v4
	v_lshrrev_b32_e32 v13, 16, v5
	s_waitcnt vmcnt(0)
	v_cvt_f32_f16_e32 v14, v8
	v_cvt_f32_f16_e32 v5, v5
	v_lshrrev_b32_e32 v10, 16, v8
	v_mul_f32_e32 v4, s16, v4
	v_cvt_f32_f16_e32 v12, v12
	v_lshrrev_b32_e32 v11, 16, v9
	v_mul_f32_e32 v5, s16, v5
	v_cvt_f32_f16_e32 v13, v13
	v_cmp_u_f16_e32 vcc_lo, v8, v8
	v_cmp_gt_f32_e64 s5, v4, v14
	v_cvt_f32_f16_e32 v16, v10
	v_cvt_f16_f32_e32 v4, v4
	v_dual_mul_f32 v12, s16, v12 :: v_dual_mul_f32 v13, s16, v13
	v_cvt_f32_f16_e32 v15, v9
	v_cvt_f32_f16_e32 v17, v11
	s_or_b32 vcc_lo, vcc_lo, s5
	v_cmp_u_f16_e64 s3, v10, v10
	v_cndmask_b32_e32 v4, v4, v8, vcc_lo
	v_cmp_gt_f32_e32 vcc_lo, v12, v16
	v_cmp_u_f16_e64 s2, v9, v9
	v_cmp_u_f16_e64 s4, v11, v11
	v_cmp_gt_f32_e64 s6, v5, v15
	v_cvt_f16_f32_e32 v8, v12
	v_cmp_gt_f32_e64 s5, v13, v17
	v_cvt_f16_f32_e32 v5, v5
	v_cvt_f16_f32_e32 v12, v13
	s_or_b32 vcc_lo, s3, vcc_lo
	s_or_b32 s2, s2, s6
	v_cndmask_b32_e32 v8, v8, v10, vcc_lo
	s_or_b32 vcc_lo, s4, s5
	v_cndmask_b32_e64 v5, v5, v9, s2
	v_cndmask_b32_e32 v9, v12, v11, vcc_lo
	s_add_u32 s7, s7, s23
	s_addc_u32 s17, s17, 0
	s_add_u32 s18, s18, s23
	s_addc_u32 s19, s19, 0
	v_perm_b32 v5, v9, v5, 0x5040100
	v_perm_b32 v4, v8, v4, 0x5040100
	s_and_b32 s2, exec_lo, s24
	s_delay_alu instid0(SALU_CYCLE_1)
	s_or_b32 s21, s2, s21
	global_store_b64 v[6:7], v[4:5], off
	s_and_not1_b32 exec_lo, exec_lo, s21
	s_cbranch_execnz .LBB104_3
.LBB104_4:
	s_or_b32 exec_lo, exec_lo, s20
	s_mov_b32 s2, 0
.LBB104_5:
	s_delay_alu instid0(SALU_CYCLE_1)
	s_and_not1_b32 vcc_lo, exec_lo, s2
	s_cbranch_vccnz .LBB104_25
; %bb.6:
	v_cmp_lt_i64_e64 s2, s[10:11], 1
	s_delay_alu instid0(VALU_DEP_1)
	s_and_b32 vcc_lo, exec_lo, s2
	s_cbranch_vccnz .LBB104_25
; %bb.7:
	s_load_b32 s0, s[0:1], 0xc5c
	v_dual_mov_b32 v10, 0 :: v_dual_lshlrev_b32 v9, 1, v0
	v_cmp_gt_u64_e64 s1, 0x10000, s[10:11]
	s_mov_b64 s[6:7], 0
	s_delay_alu instid0(VALU_DEP_2) | instskip(NEXT) | instid1(VALU_DEP_1)
	v_add_co_u32 v1, s2, s12, v9
	v_add_co_ci_u32_e64 v2, null, s13, 0, s2
	v_add_co_u32 v3, s2, s14, v9
	s_delay_alu instid0(VALU_DEP_1)
	v_add_co_ci_u32_e64 v4, null, s15, 0, s2
	s_waitcnt lgkmcnt(0)
	s_and_b32 s0, s0, 0xffff
	s_and_b32 s1, s1, exec_lo
	v_mad_u64_u32 v[7:8], null, s0, 6, v[9:10]
	s_cselect_b32 s5, s11, 0
	s_cselect_b32 s4, s10, 0x10000
	s_mul_i32 s2, s0, 3
	s_lshl_b32 s17, s0, 2
	s_lshl_b32 s1, s0, 1
	v_add_co_u32 v14, s3, s17, v9
	v_add_co_u32 v9, s2, s2, v0
	s_delay_alu instid0(VALU_DEP_1) | instskip(SKIP_3) | instid1(VALU_DEP_3)
	v_add_co_ci_u32_e64 v10, null, 0, 0, s2
	v_add_co_u32 v13, s2, v0, s0
	v_add_co_u32 v5, vcc_lo, s12, v7
	v_add_co_ci_u32_e32 v6, vcc_lo, s13, v8, vcc_lo
	v_lshlrev_b32_e32 v21, 1, v13
	v_add_co_u32 v7, vcc_lo, s14, v7
	v_add_co_ci_u32_e64 v15, null, 0, 0, s3
	v_add_co_ci_u32_e32 v8, vcc_lo, s15, v8, vcc_lo
	v_add_co_u32 v17, s1, s1, v0
	v_add_co_u32 v11, vcc_lo, s12, v14
	v_add_co_ci_u32_e64 v18, null, 0, 0, s1
	v_add_co_u32 v19, s1, s12, v21
	v_add_co_ci_u32_e32 v12, vcc_lo, s13, v15, vcc_lo
	v_add_co_u32 v14, vcc_lo, s14, v14
	v_add_co_ci_u32_e64 v20, null, s13, 0, s1
	v_add_co_u32 v21, s1, s14, v21
	v_add_co_ci_u32_e32 v15, vcc_lo, s15, v15, vcc_lo
	v_add_co_ci_u32_e64 v16, null, 0, 0, s2
	v_add_co_ci_u32_e64 v22, null, s15, 0, s1
	s_lshl_b32 s12, s0, 3
	s_branch .LBB104_9
.LBB104_8:                              ;   in Loop: Header=BB104_9 Depth=1
	s_or_b32 exec_lo, exec_lo, s1
	v_add_co_u32 v1, vcc_lo, v1, s12
	v_add_co_ci_u32_e32 v2, vcc_lo, 0, v2, vcc_lo
	v_add_co_u32 v3, vcc_lo, v3, s12
	v_add_co_ci_u32_e32 v4, vcc_lo, 0, v4, vcc_lo
	;; [unrolled: 2-line block ×5, first 2 shown]
	s_add_u32 s6, s6, s17
	v_add_co_u32 v14, vcc_lo, v14, s12
	s_addc_u32 s7, s7, 0
	v_add_co_ci_u32_e32 v15, vcc_lo, 0, v15, vcc_lo
	v_cmp_ge_i64_e64 s0, s[6:7], s[10:11]
	v_cmp_lt_u64_e64 s1, 0xffff, s[6:7]
	v_add_co_u32 v19, vcc_lo, v19, s12
	v_add_co_ci_u32_e32 v20, vcc_lo, 0, v20, vcc_lo
	v_add_co_u32 v21, vcc_lo, v21, s12
	v_add_co_ci_u32_e32 v22, vcc_lo, 0, v22, vcc_lo
	s_or_b32 s0, s0, s1
	s_delay_alu instid0(SALU_CYCLE_1)
	s_and_b32 vcc_lo, exec_lo, s0
	s_cbranch_vccnz .LBB104_25
.LBB104_9:                              ; =>This Inner Loop Header: Depth=1
	s_waitcnt vmcnt(1)
	v_add_co_u32 v23, s0, v0, s6
	s_delay_alu instid0(VALU_DEP_1) | instskip(SKIP_2) | instid1(VALU_DEP_2)
	v_add_co_ci_u32_e64 v24, null, 0, s7, s0
	s_waitcnt vmcnt(0)
	v_mov_b32_e32 v26, 0
	v_cmp_gt_u64_e32 vcc_lo, s[4:5], v[23:24]
	v_mov_b32_e32 v24, 0
	s_and_saveexec_b32 s1, vcc_lo
	s_cbranch_execz .LBB104_11
; %bb.10:                               ;   in Loop: Header=BB104_9 Depth=1
	v_add_co_u32 v23, s0, v1, s8
	s_delay_alu instid0(VALU_DEP_1) | instskip(SKIP_1) | instid1(VALU_DEP_1)
	v_add_co_ci_u32_e64 v24, s0, s9, v2, s0
	v_add_co_u32 v25, s0, v3, s8
	v_add_co_ci_u32_e64 v26, s0, s9, v4, s0
	global_load_u16 v24, v[23:24], off
	global_load_u16 v26, v[25:26], off
.LBB104_11:                             ;   in Loop: Header=BB104_9 Depth=1
	s_or_b32 exec_lo, exec_lo, s1
	v_add_co_u32 v27, s0, v13, s6
	s_delay_alu instid0(VALU_DEP_1) | instskip(SKIP_2) | instid1(VALU_DEP_3)
	v_add_co_ci_u32_e64 v28, s0, s7, v16, s0
	v_mov_b32_e32 v23, 0
	v_mov_b32_e32 v25, 0
	v_cmp_gt_u64_e64 s0, s[4:5], v[27:28]
	v_mov_b32_e32 v27, 0
	s_delay_alu instid0(VALU_DEP_2)
	s_and_saveexec_b32 s2, s0
	s_cbranch_execz .LBB104_13
; %bb.12:                               ;   in Loop: Header=BB104_9 Depth=1
	v_add_co_u32 v27, s1, v19, s8
	s_delay_alu instid0(VALU_DEP_1) | instskip(SKIP_1) | instid1(VALU_DEP_1)
	v_add_co_ci_u32_e64 v28, s1, s9, v20, s1
	v_add_co_u32 v29, s1, v21, s8
	v_add_co_ci_u32_e64 v30, s1, s9, v22, s1
	global_load_u16 v25, v[27:28], off
	global_load_u16 v27, v[29:30], off
.LBB104_13:                             ;   in Loop: Header=BB104_9 Depth=1
	s_or_b32 exec_lo, exec_lo, s2
	v_add_co_u32 v28, s1, v17, s6
	s_delay_alu instid0(VALU_DEP_1) | instskip(NEXT) | instid1(VALU_DEP_1)
	v_add_co_ci_u32_e64 v29, s1, s7, v18, s1
	v_cmp_gt_u64_e64 s1, s[4:5], v[28:29]
	v_mov_b32_e32 v29, 0
	s_delay_alu instid0(VALU_DEP_2)
	s_and_saveexec_b32 s3, s1
	s_cbranch_execz .LBB104_15
; %bb.14:                               ;   in Loop: Header=BB104_9 Depth=1
	v_add_co_u32 v28, s2, v11, s8
	s_delay_alu instid0(VALU_DEP_1) | instskip(SKIP_1) | instid1(VALU_DEP_1)
	v_add_co_ci_u32_e64 v29, s2, s9, v12, s2
	v_add_co_u32 v30, s2, v14, s8
	v_add_co_ci_u32_e64 v31, s2, s9, v15, s2
	global_load_u16 v23, v[28:29], off
	global_load_u16 v29, v[30:31], off
.LBB104_15:                             ;   in Loop: Header=BB104_9 Depth=1
	s_or_b32 exec_lo, exec_lo, s3
	v_add_co_u32 v30, s2, v9, s6
	s_delay_alu instid0(VALU_DEP_1) | instskip(SKIP_1) | instid1(VALU_DEP_2)
	v_add_co_ci_u32_e64 v31, s2, s7, v10, s2
	v_mov_b32_e32 v28, 0
	v_cmp_gt_u64_e64 s2, s[4:5], v[30:31]
	v_mov_b32_e32 v30, 0
	s_delay_alu instid0(VALU_DEP_2)
	s_and_saveexec_b32 s13, s2
	s_cbranch_execnz .LBB104_20
; %bb.16:                               ;   in Loop: Header=BB104_9 Depth=1
	s_or_b32 exec_lo, exec_lo, s13
	s_and_saveexec_b32 s13, vcc_lo
	s_cbranch_execnz .LBB104_21
.LBB104_17:                             ;   in Loop: Header=BB104_9 Depth=1
	s_or_b32 exec_lo, exec_lo, s13
	s_and_saveexec_b32 s3, s0
	s_cbranch_execnz .LBB104_22
.LBB104_18:                             ;   in Loop: Header=BB104_9 Depth=1
	s_or_b32 exec_lo, exec_lo, s3
	s_and_saveexec_b32 s3, s1
	s_cbranch_execnz .LBB104_23
.LBB104_19:                             ;   in Loop: Header=BB104_9 Depth=1
	s_or_b32 exec_lo, exec_lo, s3
	s_and_saveexec_b32 s1, s2
	s_cbranch_execz .LBB104_8
	s_branch .LBB104_24
.LBB104_20:                             ;   in Loop: Header=BB104_9 Depth=1
	v_add_co_u32 v30, s3, v5, s8
	s_delay_alu instid0(VALU_DEP_1) | instskip(SKIP_1) | instid1(VALU_DEP_1)
	v_add_co_ci_u32_e64 v31, s3, s9, v6, s3
	v_add_co_u32 v32, s3, v7, s8
	v_add_co_ci_u32_e64 v33, s3, s9, v8, s3
	global_load_u16 v28, v[30:31], off
	global_load_u16 v30, v[32:33], off
	s_or_b32 exec_lo, exec_lo, s13
	s_and_saveexec_b32 s13, vcc_lo
	s_cbranch_execz .LBB104_17
.LBB104_21:                             ;   in Loop: Header=BB104_9 Depth=1
	s_waitcnt vmcnt(0)
	v_cvt_f32_f16_e32 v26, v26
	v_cvt_f32_f16_e32 v31, v24
	v_cmp_u_f16_e32 vcc_lo, v24, v24
	s_delay_alu instid0(VALU_DEP_3) | instskip(NEXT) | instid1(VALU_DEP_1)
	v_mul_f32_e32 v26, s16, v26
	v_cmp_gt_f32_e64 s3, v26, v31
	v_cvt_f16_f32_e32 v26, v26
	s_delay_alu instid0(VALU_DEP_2) | instskip(NEXT) | instid1(VALU_DEP_1)
	s_or_b32 vcc_lo, vcc_lo, s3
	v_cndmask_b32_e32 v24, v26, v24, vcc_lo
	v_add_co_u32 v31, vcc_lo, v1, s8
	v_add_co_ci_u32_e32 v32, vcc_lo, s9, v2, vcc_lo
	global_store_b16 v[31:32], v24, off
	s_or_b32 exec_lo, exec_lo, s13
	s_and_saveexec_b32 s3, s0
	s_cbranch_execz .LBB104_18
.LBB104_22:                             ;   in Loop: Header=BB104_9 Depth=1
	s_waitcnt vmcnt(0)
	v_cvt_f32_f16_e32 v24, v27
	v_cvt_f32_f16_e32 v26, v25
	v_cmp_u_f16_e32 vcc_lo, v25, v25
	s_delay_alu instid0(VALU_DEP_3) | instskip(NEXT) | instid1(VALU_DEP_1)
	v_mul_f32_e32 v24, s16, v24
	v_cmp_gt_f32_e64 s0, v24, v26
	v_cvt_f16_f32_e32 v24, v24
	s_delay_alu instid0(VALU_DEP_2) | instskip(NEXT) | instid1(VALU_DEP_1)
	s_or_b32 vcc_lo, vcc_lo, s0
	v_cndmask_b32_e32 v26, v24, v25, vcc_lo
	v_add_co_u32 v24, vcc_lo, v19, s8
	v_add_co_ci_u32_e32 v25, vcc_lo, s9, v20, vcc_lo
	global_store_b16 v[24:25], v26, off
	s_or_b32 exec_lo, exec_lo, s3
	s_and_saveexec_b32 s3, s1
	s_cbranch_execz .LBB104_19
.LBB104_23:                             ;   in Loop: Header=BB104_9 Depth=1
	s_waitcnt vmcnt(0)
	v_cvt_f32_f16_e32 v24, v29
	v_cvt_f32_f16_e32 v25, v23
	v_cmp_u_f16_e32 vcc_lo, v23, v23
	s_delay_alu instid0(VALU_DEP_3) | instskip(NEXT) | instid1(VALU_DEP_1)
	v_mul_f32_e32 v24, s16, v24
	v_cmp_gt_f32_e64 s0, v24, v25
	v_cvt_f16_f32_e32 v24, v24
	s_delay_alu instid0(VALU_DEP_2) | instskip(NEXT) | instid1(VALU_DEP_1)
	s_or_b32 vcc_lo, vcc_lo, s0
	v_cndmask_b32_e32 v25, v24, v23, vcc_lo
	v_add_co_u32 v23, vcc_lo, v11, s8
	v_add_co_ci_u32_e32 v24, vcc_lo, s9, v12, vcc_lo
	global_store_b16 v[23:24], v25, off
	s_or_b32 exec_lo, exec_lo, s3
	s_and_saveexec_b32 s1, s2
	s_cbranch_execz .LBB104_8
.LBB104_24:                             ;   in Loop: Header=BB104_9 Depth=1
	s_waitcnt vmcnt(0)
	v_cvt_f32_f16_e32 v23, v30
	v_cvt_f32_f16_e32 v24, v28
	v_cmp_u_f16_e32 vcc_lo, v28, v28
	s_delay_alu instid0(VALU_DEP_3) | instskip(NEXT) | instid1(VALU_DEP_1)
	v_mul_f32_e32 v23, s16, v23
	v_cmp_gt_f32_e64 s0, v23, v24
	v_cvt_f16_f32_e32 v23, v23
	s_delay_alu instid0(VALU_DEP_2) | instskip(NEXT) | instid1(VALU_DEP_1)
	s_or_b32 vcc_lo, vcc_lo, s0
	v_cndmask_b32_e32 v25, v23, v28, vcc_lo
	v_add_co_u32 v23, vcc_lo, v5, s8
	v_add_co_ci_u32_e32 v24, vcc_lo, s9, v6, vcc_lo
	global_store_b16 v[23:24], v25, off
	s_branch .LBB104_8
.LBB104_25:
	s_nop 0
	s_sendmsg sendmsg(MSG_DEALLOC_VGPRS)
	s_endpgm
	.section	.rodata,"a",@progbits
	.p2align	6, 0x0
	.amdhsa_kernel _ZN2at6native12_GLOBAL__N_125multi_tensor_apply_kernelINS1_18TensorListMetadataILi2EEENS1_24BinaryOpListAlphaFunctorIN3c104HalfELi2ELi2ELi0EEEJNS0_7minimumIfEEfEEEvT_T0_DpT1_
		.amdhsa_group_segment_fixed_size 0
		.amdhsa_private_segment_fixed_size 0
		.amdhsa_kernarg_size 3408
		.amdhsa_user_sgpr_count 15
		.amdhsa_user_sgpr_dispatch_ptr 0
		.amdhsa_user_sgpr_queue_ptr 0
		.amdhsa_user_sgpr_kernarg_segment_ptr 1
		.amdhsa_user_sgpr_dispatch_id 0
		.amdhsa_user_sgpr_private_segment_size 0
		.amdhsa_wavefront_size32 1
		.amdhsa_uses_dynamic_stack 0
		.amdhsa_enable_private_segment 0
		.amdhsa_system_sgpr_workgroup_id_x 1
		.amdhsa_system_sgpr_workgroup_id_y 0
		.amdhsa_system_sgpr_workgroup_id_z 0
		.amdhsa_system_sgpr_workgroup_info 0
		.amdhsa_system_vgpr_workitem_id 0
		.amdhsa_next_free_vgpr 34
		.amdhsa_next_free_sgpr 25
		.amdhsa_reserve_vcc 1
		.amdhsa_float_round_mode_32 0
		.amdhsa_float_round_mode_16_64 0
		.amdhsa_float_denorm_mode_32 3
		.amdhsa_float_denorm_mode_16_64 3
		.amdhsa_dx10_clamp 1
		.amdhsa_ieee_mode 1
		.amdhsa_fp16_overflow 0
		.amdhsa_workgroup_processor_mode 1
		.amdhsa_memory_ordered 1
		.amdhsa_forward_progress 0
		.amdhsa_shared_vgpr_count 0
		.amdhsa_exception_fp_ieee_invalid_op 0
		.amdhsa_exception_fp_denorm_src 0
		.amdhsa_exception_fp_ieee_div_zero 0
		.amdhsa_exception_fp_ieee_overflow 0
		.amdhsa_exception_fp_ieee_underflow 0
		.amdhsa_exception_fp_ieee_inexact 0
		.amdhsa_exception_int_div_zero 0
	.end_amdhsa_kernel
	.section	.text._ZN2at6native12_GLOBAL__N_125multi_tensor_apply_kernelINS1_18TensorListMetadataILi2EEENS1_24BinaryOpListAlphaFunctorIN3c104HalfELi2ELi2ELi0EEEJNS0_7minimumIfEEfEEEvT_T0_DpT1_,"axG",@progbits,_ZN2at6native12_GLOBAL__N_125multi_tensor_apply_kernelINS1_18TensorListMetadataILi2EEENS1_24BinaryOpListAlphaFunctorIN3c104HalfELi2ELi2ELi0EEEJNS0_7minimumIfEEfEEEvT_T0_DpT1_,comdat
.Lfunc_end104:
	.size	_ZN2at6native12_GLOBAL__N_125multi_tensor_apply_kernelINS1_18TensorListMetadataILi2EEENS1_24BinaryOpListAlphaFunctorIN3c104HalfELi2ELi2ELi0EEEJNS0_7minimumIfEEfEEEvT_T0_DpT1_, .Lfunc_end104-_ZN2at6native12_GLOBAL__N_125multi_tensor_apply_kernelINS1_18TensorListMetadataILi2EEENS1_24BinaryOpListAlphaFunctorIN3c104HalfELi2ELi2ELi0EEEJNS0_7minimumIfEEfEEEvT_T0_DpT1_
                                        ; -- End function
	.section	.AMDGPU.csdata,"",@progbits
; Kernel info:
; codeLenInByte = 1864
; NumSgprs: 27
; NumVgprs: 34
; ScratchSize: 0
; MemoryBound: 0
; FloatMode: 240
; IeeeMode: 1
; LDSByteSize: 0 bytes/workgroup (compile time only)
; SGPRBlocks: 3
; VGPRBlocks: 4
; NumSGPRsForWavesPerEU: 27
; NumVGPRsForWavesPerEU: 34
; Occupancy: 16
; WaveLimiterHint : 0
; COMPUTE_PGM_RSRC2:SCRATCH_EN: 0
; COMPUTE_PGM_RSRC2:USER_SGPR: 15
; COMPUTE_PGM_RSRC2:TRAP_HANDLER: 0
; COMPUTE_PGM_RSRC2:TGID_X_EN: 1
; COMPUTE_PGM_RSRC2:TGID_Y_EN: 0
; COMPUTE_PGM_RSRC2:TGID_Z_EN: 0
; COMPUTE_PGM_RSRC2:TIDIG_COMP_CNT: 0
	.section	.text._ZN2at6native12_GLOBAL__N_125multi_tensor_apply_kernelINS1_18TensorListMetadataILi3EEENS1_24BinaryOpListAlphaFunctorIhLi3ELi2ELi2EEEJNS0_7minimumIhEEhEEEvT_T0_DpT1_,"axG",@progbits,_ZN2at6native12_GLOBAL__N_125multi_tensor_apply_kernelINS1_18TensorListMetadataILi3EEENS1_24BinaryOpListAlphaFunctorIhLi3ELi2ELi2EEEJNS0_7minimumIhEEhEEEvT_T0_DpT1_,comdat
	.globl	_ZN2at6native12_GLOBAL__N_125multi_tensor_apply_kernelINS1_18TensorListMetadataILi3EEENS1_24BinaryOpListAlphaFunctorIhLi3ELi2ELi2EEEJNS0_7minimumIhEEhEEEvT_T0_DpT1_ ; -- Begin function _ZN2at6native12_GLOBAL__N_125multi_tensor_apply_kernelINS1_18TensorListMetadataILi3EEENS1_24BinaryOpListAlphaFunctorIhLi3ELi2ELi2EEEJNS0_7minimumIhEEhEEEvT_T0_DpT1_
	.p2align	8
	.type	_ZN2at6native12_GLOBAL__N_125multi_tensor_apply_kernelINS1_18TensorListMetadataILi3EEENS1_24BinaryOpListAlphaFunctorIhLi3ELi2ELi2EEEJNS0_7minimumIhEEhEEEvT_T0_DpT1_,@function
_ZN2at6native12_GLOBAL__N_125multi_tensor_apply_kernelINS1_18TensorListMetadataILi3EEENS1_24BinaryOpListAlphaFunctorIhLi3ELi2ELi2EEEJNS0_7minimumIhEEhEEEvT_T0_DpT1_: ; @_ZN2at6native12_GLOBAL__N_125multi_tensor_apply_kernelINS1_18TensorListMetadataILi3EEENS1_24BinaryOpListAlphaFunctorIhLi3ELi2ELi2EEEJNS0_7minimumIhEEhEEEvT_T0_DpT1_
; %bb.0:
	v_mov_b32_e32 v1, s15
	s_add_u32 s2, s0, s15
	s_mul_hi_u32 s3, s15, 3
	s_mul_i32 s15, s15, 3
	s_addc_u32 s4, s1, 0
	global_load_u8 v1, v1, s[0:1] offset:1536
	s_add_u32 s2, s2, s15
	s_addc_u32 s3, s4, s3
	s_load_b32 s2, s[2:3], 0x740
	s_waitcnt vmcnt(0)
	v_readfirstlane_b32 s3, v1
	s_delay_alu instid0(VALU_DEP_1)
	s_lshl_b32 s3, s3, 3
	s_clause 0x3
	s_load_b64 s[8:9], s[0:1], s3 offset:0x0
	s_load_b64 s[10:11], s[0:1], s3 offset:0x180
	;; [unrolled: 1-line block ×4, first 2 shown]
	s_waitcnt lgkmcnt(0)
	s_ashr_i32 s3, s2, 31
	s_delay_alu instid0(SALU_CYCLE_1)
	s_lshl_b64 s[14:15], s[2:3], 16
	s_load_b32 s3, s[0:1], 0xc48
	s_add_u32 s6, s8, s14
	s_addc_u32 s7, s9, s15
	s_add_u32 s16, s10, s14
	s_addc_u32 s17, s11, s15
	;; [unrolled: 2-line block ×3, first 2 shown]
	s_or_b32 s2, s18, s16
	s_delay_alu instid0(SALU_CYCLE_1) | instskip(NEXT) | instid1(SALU_CYCLE_1)
	s_and_b32 s2, s2, 3
	s_cmp_lg_u32 s2, 0
	s_cselect_b32 s2, -1, 0
	s_sub_u32 s4, s20, s14
	s_subb_u32 s5, s21, s15
	s_or_b64 s[20:21], s[20:21], s[6:7]
	s_mov_b32 s21, 0
	s_and_b32 s20, s20, 3
	s_delay_alu instid0(SALU_CYCLE_1) | instskip(SKIP_1) | instid1(SALU_CYCLE_1)
	s_cmp_lg_u64 s[20:21], 0
	s_cselect_b32 s20, -1, 0
	s_or_b32 s2, s2, s20
	s_delay_alu instid0(SALU_CYCLE_1)
	s_and_not1_b32 vcc_lo, exec_lo, s2
	s_mov_b32 s2, -1
	s_cbranch_vccz .LBB105_5
; %bb.1:
	v_dual_mov_b32 v2, 0 :: v_dual_lshlrev_b32 v1, 2, v0
	s_mov_b32 s20, exec_lo
	s_delay_alu instid0(VALU_DEP_1)
	v_cmpx_gt_i64_e64 s[4:5], v[1:2]
	s_cbranch_execz .LBB105_4
; %bb.2:
	s_load_b32 s2, s[0:1], 0xc5c
	s_waitcnt lgkmcnt(0)
	s_lshr_b32 s23, s3, 16
	s_and_b32 s2, s2, 0xffff
	s_delay_alu instid0(SALU_CYCLE_1)
	s_lshl_b32 s22, s2, 2
.LBB105_3:                              ; =>This Inner Loop Header: Depth=1
	v_add_co_u32 v3, vcc_lo, s16, v1
	v_add_co_ci_u32_e32 v4, vcc_lo, s17, v2, vcc_lo
	v_add_co_u32 v5, vcc_lo, s6, v1
	v_add_co_ci_u32_e32 v6, vcc_lo, s7, v2, vcc_lo
	global_load_b32 v7, v[3:4], off
	global_load_b32 v5, v[5:6], off
	v_add_co_u32 v3, vcc_lo, s18, v1
	v_add_co_ci_u32_e32 v4, vcc_lo, s19, v2, vcc_lo
	v_add_co_u32 v1, vcc_lo, s22, v1
	v_add_co_ci_u32_e32 v2, vcc_lo, 0, v2, vcc_lo
	s_delay_alu instid0(VALU_DEP_1) | instskip(SKIP_1) | instid1(VALU_DEP_1)
	v_cmp_le_i64_e32 vcc_lo, s[4:5], v[1:2]
	v_cmp_lt_u64_e64 s2, 0xffff, v[1:2]
	s_or_b32 s2, vcc_lo, s2
	s_delay_alu instid0(SALU_CYCLE_1) | instskip(NEXT) | instid1(SALU_CYCLE_1)
	s_and_b32 s2, exec_lo, s2
	s_or_b32 s21, s2, s21
	s_waitcnt vmcnt(1)
	v_lshrrev_b32_e32 v10, 8, v7
	v_mul_lo_u16 v8, v7, s23
	s_waitcnt vmcnt(0)
	v_lshrrev_b32_e32 v9, 8, v5
	v_lshrrev_b32_e32 v12, 16, v7
	;; [unrolled: 1-line block ×3, first 2 shown]
	v_mul_lo_u16 v10, v10, s23
	v_and_b32_e32 v6, 0xff, v5
	v_lshrrev_b32_e32 v11, 16, v5
	v_and_b32_e32 v8, 0xff, v8
	v_and_b32_e32 v9, 0xff, v9
	v_mul_lo_u16 v12, v12, s23
	v_mul_lo_u16 v7, v7, s23
	v_and_b32_e32 v10, 0xff, v10
	v_lshrrev_b32_e32 v5, 24, v5
	v_and_b32_e32 v11, 0xff, v11
	v_min_u16 v6, v6, v8
	v_and_b32_e32 v8, 0xff, v12
	v_and_b32_e32 v7, 0xff, v7
	v_min_u16 v9, v9, v10
	s_delay_alu instid0(VALU_DEP_4) | instskip(NEXT) | instid1(VALU_DEP_4)
	v_and_b32_e32 v6, 0xffff, v6
	v_min_u16 v8, v11, v8
	s_delay_alu instid0(VALU_DEP_4) | instskip(NEXT) | instid1(VALU_DEP_4)
	v_min_u16 v5, v5, v7
	v_and_b32_e32 v7, 0xffff, v9
	s_delay_alu instid0(VALU_DEP_3) | instskip(NEXT) | instid1(VALU_DEP_3)
	v_lshlrev_b32_e32 v8, 16, v8
	v_lshlrev_b32_e32 v5, 24, v5
	s_delay_alu instid0(VALU_DEP_3) | instskip(NEXT) | instid1(VALU_DEP_1)
	v_lshl_or_b32 v6, v7, 8, v6
	v_or3_b32 v5, v6, v8, v5
	global_store_b32 v[3:4], v5, off
	s_and_not1_b32 exec_lo, exec_lo, s21
	s_cbranch_execnz .LBB105_3
.LBB105_4:
	s_or_b32 exec_lo, exec_lo, s20
	s_mov_b32 s2, 0
.LBB105_5:
	s_delay_alu instid0(SALU_CYCLE_1)
	s_and_not1_b32 vcc_lo, exec_lo, s2
	s_cbranch_vccnz .LBB105_25
; %bb.6:
	v_cmp_lt_i64_e64 s2, s[4:5], 1
	s_delay_alu instid0(VALU_DEP_1)
	s_and_b32 vcc_lo, exec_lo, s2
	s_cbranch_vccnz .LBB105_25
; %bb.7:
	s_load_b32 s0, s[0:1], 0xc5c
	v_add_co_u32 v21, s1, s14, v0
	s_delay_alu instid0(VALU_DEP_1) | instskip(SKIP_1) | instid1(VALU_DEP_3)
	v_add_co_ci_u32_e64 v22, null, s15, 0, s1
	v_cmp_gt_u64_e64 s1, 0x10000, s[4:5]
	v_add_co_u32 v1, vcc_lo, s8, v21
	s_delay_alu instid0(VALU_DEP_3)
	v_add_co_ci_u32_e32 v2, vcc_lo, s9, v22, vcc_lo
	v_add_co_u32 v3, vcc_lo, s10, v21
	v_add_co_ci_u32_e32 v4, vcc_lo, s11, v22, vcc_lo
	v_add_co_u32 v5, vcc_lo, s12, v21
	v_add_co_ci_u32_e32 v6, vcc_lo, s13, v22, vcc_lo
	s_waitcnt lgkmcnt(0)
	s_and_b32 s0, s0, 0xffff
	s_and_b32 s1, s1, exec_lo
	s_mul_i32 s2, s0, 3
	s_cselect_b32 s7, s5, 0
	s_cselect_b32 s6, s4, 0x10000
	s_lshl_b32 s1, s0, 1
	s_lshl_b32 s16, s0, 2
	s_add_u32 s17, s14, s2
	s_addc_u32 s18, s15, 0
	v_add_co_u32 v11, s17, s17, v0
	s_delay_alu instid0(VALU_DEP_1) | instskip(SKIP_1) | instid1(VALU_DEP_2)
	v_add_co_ci_u32_e64 v12, null, s18, 0, s17
	s_add_u32 s14, s14, s1
	v_add_co_u32 v7, vcc_lo, s8, v11
	s_delay_alu instid0(VALU_DEP_2)
	v_add_co_ci_u32_e32 v8, vcc_lo, s9, v12, vcc_lo
	v_add_co_u32 v9, vcc_lo, s10, v11
	s_addc_u32 s15, s15, 0
	v_add_co_u32 v19, s14, s14, v0
	v_add_co_ci_u32_e32 v10, vcc_lo, s11, v12, vcc_lo
	v_add_co_u32 v11, vcc_lo, s12, v11
	v_add_co_ci_u32_e64 v20, null, s15, 0, s14
	v_add_co_ci_u32_e32 v12, vcc_lo, s13, v12, vcc_lo
	v_add_co_u32 v15, vcc_lo, s8, v19
	s_delay_alu instid0(VALU_DEP_3)
	v_add_co_ci_u32_e32 v16, vcc_lo, s9, v20, vcc_lo
	v_add_co_u32 v17, vcc_lo, s10, v19
	v_add_co_ci_u32_e32 v18, vcc_lo, s11, v20, vcc_lo
	v_add_co_u32 v19, vcc_lo, s12, v19
	;; [unrolled: 2-line block ×3, first 2 shown]
	v_add_co_ci_u32_e32 v28, vcc_lo, 0, v22, vcc_lo
	v_add_co_u32 v13, s2, s2, v0
	s_delay_alu instid0(VALU_DEP_3) | instskip(NEXT) | instid1(VALU_DEP_3)
	v_add_co_u32 v23, vcc_lo, s8, v27
	v_add_co_ci_u32_e32 v24, vcc_lo, s9, v28, vcc_lo
	v_add_co_u32 v25, vcc_lo, s10, v27
	v_add_co_ci_u32_e32 v26, vcc_lo, s11, v28, vcc_lo
	v_add_co_u32 v21, s1, s1, v0
	v_add_co_u32 v27, vcc_lo, s12, v27
	v_add_co_u32 v29, s0, v0, s0
	v_add_co_ci_u32_e64 v14, null, 0, 0, s2
	v_add_co_ci_u32_e64 v22, null, 0, 0, s1
	v_add_co_ci_u32_e32 v28, vcc_lo, s13, v28, vcc_lo
	v_add_co_ci_u32_e64 v30, null, 0, 0, s0
	s_mov_b64 s[8:9], 0
	s_lshr_b32 s10, s3, 16
	s_branch .LBB105_9
.LBB105_8:                              ;   in Loop: Header=BB105_9 Depth=1
	s_or_b32 exec_lo, exec_lo, s0
	s_add_u32 s8, s8, s16
	s_addc_u32 s9, s9, 0
	s_delay_alu instid0(SALU_CYCLE_1) | instskip(SKIP_1) | instid1(VALU_DEP_1)
	v_cmp_ge_i64_e64 s0, s[8:9], s[4:5]
	v_cmp_lt_u64_e64 s1, 0xffff, s[8:9]
	s_or_b32 s0, s0, s1
	s_delay_alu instid0(SALU_CYCLE_1)
	s_and_b32 vcc_lo, exec_lo, s0
	s_cbranch_vccnz .LBB105_25
.LBB105_9:                              ; =>This Inner Loop Header: Depth=1
	s_waitcnt vmcnt(0)
	v_add_co_u32 v33, s0, v0, s8
	s_delay_alu instid0(VALU_DEP_1) | instskip(SKIP_1) | instid1(VALU_DEP_2)
	v_add_co_ci_u32_e64 v34, null, 0, s9, s0
	v_dual_mov_b32 v32, 0 :: v_dual_mov_b32 v31, 0
	v_cmp_gt_u64_e32 vcc_lo, s[6:7], v[33:34]
	v_mov_b32_e32 v33, 0
	s_and_saveexec_b32 s1, vcc_lo
	s_cbranch_execz .LBB105_11
; %bb.10:                               ;   in Loop: Header=BB105_9 Depth=1
	v_add_co_u32 v33, s0, v1, s8
	s_delay_alu instid0(VALU_DEP_1) | instskip(SKIP_1) | instid1(VALU_DEP_1)
	v_add_co_ci_u32_e64 v34, s0, s9, v2, s0
	v_add_co_u32 v35, s0, v3, s8
	v_add_co_ci_u32_e64 v36, s0, s9, v4, s0
	global_load_u8 v31, v[33:34], off
	global_load_u8 v33, v[35:36], off
.LBB105_11:                             ;   in Loop: Header=BB105_9 Depth=1
	s_or_b32 exec_lo, exec_lo, s1
	v_add_co_u32 v34, s0, v29, s8
	s_delay_alu instid0(VALU_DEP_1) | instskip(NEXT) | instid1(VALU_DEP_1)
	v_add_co_ci_u32_e64 v35, s0, s9, v30, s0
	v_cmp_gt_u64_e64 s0, s[6:7], v[34:35]
	s_delay_alu instid0(VALU_DEP_1)
	s_and_saveexec_b32 s2, s0
	s_cbranch_execz .LBB105_13
; %bb.12:                               ;   in Loop: Header=BB105_9 Depth=1
	v_add_co_u32 v34, s1, v23, s8
	s_delay_alu instid0(VALU_DEP_1) | instskip(SKIP_2) | instid1(VALU_DEP_1)
	v_add_co_ci_u32_e64 v35, s1, s9, v24, s1
	global_load_u8 v36, v[34:35], off
	v_add_co_u32 v34, s1, v25, s8
	v_add_co_ci_u32_e64 v35, s1, s9, v26, s1
	global_load_u8 v32, v[34:35], off
	s_waitcnt vmcnt(1)
	v_lshl_or_b32 v31, v36, 8, v31
.LBB105_13:                             ;   in Loop: Header=BB105_9 Depth=1
	s_or_b32 exec_lo, exec_lo, s2
	v_add_co_u32 v34, s1, v21, s8
	s_delay_alu instid0(VALU_DEP_1) | instskip(NEXT) | instid1(VALU_DEP_1)
	v_add_co_ci_u32_e64 v35, s1, s9, v22, s1
	v_cmp_gt_u64_e64 s1, s[6:7], v[34:35]
	v_dual_mov_b32 v34, 0 :: v_dual_mov_b32 v35, 0
	s_delay_alu instid0(VALU_DEP_2)
	s_and_saveexec_b32 s3, s1
	s_cbranch_execz .LBB105_15
; %bb.14:                               ;   in Loop: Header=BB105_9 Depth=1
	v_add_co_u32 v35, s2, v15, s8
	s_delay_alu instid0(VALU_DEP_1) | instskip(SKIP_2) | instid1(VALU_DEP_1)
	v_add_co_ci_u32_e64 v36, s2, s9, v16, s2
	global_load_u8 v37, v[35:36], off
	v_add_co_u32 v35, s2, v17, s8
	v_add_co_ci_u32_e64 v36, s2, s9, v18, s2
	global_load_u8 v35, v[35:36], off
	s_waitcnt vmcnt(1)
	v_lshl_or_b32 v31, v37, 16, v31
.LBB105_15:                             ;   in Loop: Header=BB105_9 Depth=1
	s_or_b32 exec_lo, exec_lo, s3
	v_add_co_u32 v36, s2, v13, s8
	s_delay_alu instid0(VALU_DEP_1) | instskip(NEXT) | instid1(VALU_DEP_1)
	v_add_co_ci_u32_e64 v37, s2, s9, v14, s2
	v_cmp_gt_u64_e64 s2, s[6:7], v[36:37]
	s_delay_alu instid0(VALU_DEP_1)
	s_and_saveexec_b32 s11, s2
	s_cbranch_execnz .LBB105_20
; %bb.16:                               ;   in Loop: Header=BB105_9 Depth=1
	s_or_b32 exec_lo, exec_lo, s11
	s_and_saveexec_b32 s3, vcc_lo
	s_cbranch_execnz .LBB105_21
.LBB105_17:                             ;   in Loop: Header=BB105_9 Depth=1
	s_or_b32 exec_lo, exec_lo, s3
	s_and_saveexec_b32 s3, s0
	s_cbranch_execnz .LBB105_22
.LBB105_18:                             ;   in Loop: Header=BB105_9 Depth=1
	s_or_b32 exec_lo, exec_lo, s3
	s_and_saveexec_b32 s0, s1
	s_cbranch_execnz .LBB105_23
.LBB105_19:                             ;   in Loop: Header=BB105_9 Depth=1
	s_or_b32 exec_lo, exec_lo, s0
	s_and_saveexec_b32 s0, s2
	s_cbranch_execz .LBB105_8
	s_branch .LBB105_24
.LBB105_20:                             ;   in Loop: Header=BB105_9 Depth=1
	v_add_co_u32 v36, s3, v7, s8
	s_delay_alu instid0(VALU_DEP_1) | instskip(SKIP_2) | instid1(VALU_DEP_1)
	v_add_co_ci_u32_e64 v37, s3, s9, v8, s3
	global_load_u8 v38, v[36:37], off
	v_add_co_u32 v36, s3, v9, s8
	v_add_co_ci_u32_e64 v37, s3, s9, v10, s3
	global_load_u8 v34, v[36:37], off
	s_waitcnt vmcnt(1)
	v_lshl_or_b32 v31, v38, 24, v31
	s_or_b32 exec_lo, exec_lo, s11
	s_and_saveexec_b32 s3, vcc_lo
	s_cbranch_execz .LBB105_17
.LBB105_21:                             ;   in Loop: Header=BB105_9 Depth=1
	s_waitcnt vmcnt(0)
	v_mul_lo_u16 v33, v33, s10
	v_and_b32_e32 v36, 0xff, v31
	s_delay_alu instid0(VALU_DEP_2) | instskip(NEXT) | instid1(VALU_DEP_1)
	v_and_b32_e32 v33, 0xff, v33
	v_min_u16 v33, v36, v33
	v_add_co_u32 v36, vcc_lo, v5, s8
	v_add_co_ci_u32_e32 v37, vcc_lo, s9, v6, vcc_lo
	global_store_b8 v[36:37], v33, off
	s_or_b32 exec_lo, exec_lo, s3
	s_and_saveexec_b32 s3, s0
	s_cbranch_execz .LBB105_18
.LBB105_22:                             ;   in Loop: Header=BB105_9 Depth=1
	s_waitcnt vmcnt(0)
	v_lshrrev_b32_e32 v33, 8, v31
	v_mul_lo_u16 v32, v32, s10
	s_delay_alu instid0(VALU_DEP_2) | instskip(NEXT) | instid1(VALU_DEP_2)
	v_and_b32_e32 v33, 0xff, v33
	v_and_b32_e32 v32, 0xff, v32
	s_delay_alu instid0(VALU_DEP_1)
	v_min_u16 v36, v33, v32
	v_add_co_u32 v32, vcc_lo, v27, s8
	v_add_co_ci_u32_e32 v33, vcc_lo, s9, v28, vcc_lo
	global_store_b8 v[32:33], v36, off
	s_or_b32 exec_lo, exec_lo, s3
	s_and_saveexec_b32 s0, s1
	s_cbranch_execz .LBB105_19
.LBB105_23:                             ;   in Loop: Header=BB105_9 Depth=1
	s_waitcnt vmcnt(0)
	v_lshrrev_b32_e32 v32, 16, v31
	v_mul_lo_u16 v33, v35, s10
	s_delay_alu instid0(VALU_DEP_2) | instskip(NEXT) | instid1(VALU_DEP_2)
	v_and_b32_e32 v32, 0xff, v32
	v_and_b32_e32 v33, 0xff, v33
	s_delay_alu instid0(VALU_DEP_1)
	v_min_u16 v35, v32, v33
	v_add_co_u32 v32, vcc_lo, v19, s8
	v_add_co_ci_u32_e32 v33, vcc_lo, s9, v20, vcc_lo
	global_store_b8 v[32:33], v35, off
	s_or_b32 exec_lo, exec_lo, s0
	s_and_saveexec_b32 s0, s2
	s_cbranch_execz .LBB105_8
.LBB105_24:                             ;   in Loop: Header=BB105_9 Depth=1
	s_waitcnt vmcnt(0)
	v_mul_lo_u16 v32, v34, s10
	v_lshrrev_b32_e32 v31, 24, v31
	s_delay_alu instid0(VALU_DEP_2) | instskip(NEXT) | instid1(VALU_DEP_1)
	v_and_b32_e32 v32, 0xff, v32
	v_min_u16 v33, v31, v32
	v_add_co_u32 v31, vcc_lo, v11, s8
	v_add_co_ci_u32_e32 v32, vcc_lo, s9, v12, vcc_lo
	global_store_b8 v[31:32], v33, off
	s_branch .LBB105_8
.LBB105_25:
	s_nop 0
	s_sendmsg sendmsg(MSG_DEALLOC_VGPRS)
	s_endpgm
	.section	.rodata,"a",@progbits
	.p2align	6, 0x0
	.amdhsa_kernel _ZN2at6native12_GLOBAL__N_125multi_tensor_apply_kernelINS1_18TensorListMetadataILi3EEENS1_24BinaryOpListAlphaFunctorIhLi3ELi2ELi2EEEJNS0_7minimumIhEEhEEEvT_T0_DpT1_
		.amdhsa_group_segment_fixed_size 0
		.amdhsa_private_segment_fixed_size 0
		.amdhsa_kernarg_size 3408
		.amdhsa_user_sgpr_count 15
		.amdhsa_user_sgpr_dispatch_ptr 0
		.amdhsa_user_sgpr_queue_ptr 0
		.amdhsa_user_sgpr_kernarg_segment_ptr 1
		.amdhsa_user_sgpr_dispatch_id 0
		.amdhsa_user_sgpr_private_segment_size 0
		.amdhsa_wavefront_size32 1
		.amdhsa_uses_dynamic_stack 0
		.amdhsa_enable_private_segment 0
		.amdhsa_system_sgpr_workgroup_id_x 1
		.amdhsa_system_sgpr_workgroup_id_y 0
		.amdhsa_system_sgpr_workgroup_id_z 0
		.amdhsa_system_sgpr_workgroup_info 0
		.amdhsa_system_vgpr_workitem_id 0
		.amdhsa_next_free_vgpr 39
		.amdhsa_next_free_sgpr 24
		.amdhsa_reserve_vcc 1
		.amdhsa_float_round_mode_32 0
		.amdhsa_float_round_mode_16_64 0
		.amdhsa_float_denorm_mode_32 3
		.amdhsa_float_denorm_mode_16_64 3
		.amdhsa_dx10_clamp 1
		.amdhsa_ieee_mode 1
		.amdhsa_fp16_overflow 0
		.amdhsa_workgroup_processor_mode 1
		.amdhsa_memory_ordered 1
		.amdhsa_forward_progress 0
		.amdhsa_shared_vgpr_count 0
		.amdhsa_exception_fp_ieee_invalid_op 0
		.amdhsa_exception_fp_denorm_src 0
		.amdhsa_exception_fp_ieee_div_zero 0
		.amdhsa_exception_fp_ieee_overflow 0
		.amdhsa_exception_fp_ieee_underflow 0
		.amdhsa_exception_fp_ieee_inexact 0
		.amdhsa_exception_int_div_zero 0
	.end_amdhsa_kernel
	.section	.text._ZN2at6native12_GLOBAL__N_125multi_tensor_apply_kernelINS1_18TensorListMetadataILi3EEENS1_24BinaryOpListAlphaFunctorIhLi3ELi2ELi2EEEJNS0_7minimumIhEEhEEEvT_T0_DpT1_,"axG",@progbits,_ZN2at6native12_GLOBAL__N_125multi_tensor_apply_kernelINS1_18TensorListMetadataILi3EEENS1_24BinaryOpListAlphaFunctorIhLi3ELi2ELi2EEEJNS0_7minimumIhEEhEEEvT_T0_DpT1_,comdat
.Lfunc_end105:
	.size	_ZN2at6native12_GLOBAL__N_125multi_tensor_apply_kernelINS1_18TensorListMetadataILi3EEENS1_24BinaryOpListAlphaFunctorIhLi3ELi2ELi2EEEJNS0_7minimumIhEEhEEEvT_T0_DpT1_, .Lfunc_end105-_ZN2at6native12_GLOBAL__N_125multi_tensor_apply_kernelINS1_18TensorListMetadataILi3EEENS1_24BinaryOpListAlphaFunctorIhLi3ELi2ELi2EEEJNS0_7minimumIhEEhEEEvT_T0_DpT1_
                                        ; -- End function
	.section	.AMDGPU.csdata,"",@progbits
; Kernel info:
; codeLenInByte = 1856
; NumSgprs: 26
; NumVgprs: 39
; ScratchSize: 0
; MemoryBound: 0
; FloatMode: 240
; IeeeMode: 1
; LDSByteSize: 0 bytes/workgroup (compile time only)
; SGPRBlocks: 3
; VGPRBlocks: 4
; NumSGPRsForWavesPerEU: 26
; NumVGPRsForWavesPerEU: 39
; Occupancy: 16
; WaveLimiterHint : 0
; COMPUTE_PGM_RSRC2:SCRATCH_EN: 0
; COMPUTE_PGM_RSRC2:USER_SGPR: 15
; COMPUTE_PGM_RSRC2:TRAP_HANDLER: 0
; COMPUTE_PGM_RSRC2:TGID_X_EN: 1
; COMPUTE_PGM_RSRC2:TGID_Y_EN: 0
; COMPUTE_PGM_RSRC2:TGID_Z_EN: 0
; COMPUTE_PGM_RSRC2:TIDIG_COMP_CNT: 0
	.section	.text._ZN2at6native12_GLOBAL__N_125multi_tensor_apply_kernelINS1_18TensorListMetadataILi3EEENS1_24BinaryOpListAlphaFunctorIaLi3ELi2ELi2EEEJNS0_7minimumIaEEaEEEvT_T0_DpT1_,"axG",@progbits,_ZN2at6native12_GLOBAL__N_125multi_tensor_apply_kernelINS1_18TensorListMetadataILi3EEENS1_24BinaryOpListAlphaFunctorIaLi3ELi2ELi2EEEJNS0_7minimumIaEEaEEEvT_T0_DpT1_,comdat
	.globl	_ZN2at6native12_GLOBAL__N_125multi_tensor_apply_kernelINS1_18TensorListMetadataILi3EEENS1_24BinaryOpListAlphaFunctorIaLi3ELi2ELi2EEEJNS0_7minimumIaEEaEEEvT_T0_DpT1_ ; -- Begin function _ZN2at6native12_GLOBAL__N_125multi_tensor_apply_kernelINS1_18TensorListMetadataILi3EEENS1_24BinaryOpListAlphaFunctorIaLi3ELi2ELi2EEEJNS0_7minimumIaEEaEEEvT_T0_DpT1_
	.p2align	8
	.type	_ZN2at6native12_GLOBAL__N_125multi_tensor_apply_kernelINS1_18TensorListMetadataILi3EEENS1_24BinaryOpListAlphaFunctorIaLi3ELi2ELi2EEEJNS0_7minimumIaEEaEEEvT_T0_DpT1_,@function
_ZN2at6native12_GLOBAL__N_125multi_tensor_apply_kernelINS1_18TensorListMetadataILi3EEENS1_24BinaryOpListAlphaFunctorIaLi3ELi2ELi2EEEJNS0_7minimumIaEEaEEEvT_T0_DpT1_: ; @_ZN2at6native12_GLOBAL__N_125multi_tensor_apply_kernelINS1_18TensorListMetadataILi3EEENS1_24BinaryOpListAlphaFunctorIaLi3ELi2ELi2EEEJNS0_7minimumIaEEaEEEvT_T0_DpT1_
; %bb.0:
	v_mov_b32_e32 v1, s15
	s_add_u32 s2, s0, s15
	s_mul_hi_u32 s3, s15, 3
	s_mul_i32 s15, s15, 3
	s_addc_u32 s4, s1, 0
	global_load_u8 v1, v1, s[0:1] offset:1536
	s_add_u32 s2, s2, s15
	s_addc_u32 s3, s4, s3
	s_load_b32 s2, s[2:3], 0x740
	s_waitcnt vmcnt(0)
	v_readfirstlane_b32 s3, v1
	s_delay_alu instid0(VALU_DEP_1)
	s_lshl_b32 s3, s3, 3
	s_clause 0x3
	s_load_b64 s[8:9], s[0:1], s3 offset:0x0
	s_load_b64 s[10:11], s[0:1], s3 offset:0x180
	;; [unrolled: 1-line block ×4, first 2 shown]
	s_waitcnt lgkmcnt(0)
	s_ashr_i32 s3, s2, 31
	s_delay_alu instid0(SALU_CYCLE_1)
	s_lshl_b64 s[14:15], s[2:3], 16
	s_load_b32 s3, s[0:1], 0xc48
	s_add_u32 s6, s8, s14
	s_addc_u32 s7, s9, s15
	s_add_u32 s16, s10, s14
	s_addc_u32 s17, s11, s15
	s_add_u32 s18, s12, s14
	s_addc_u32 s19, s13, s15
	s_or_b32 s2, s18, s16
	s_delay_alu instid0(SALU_CYCLE_1) | instskip(NEXT) | instid1(SALU_CYCLE_1)
	s_and_b32 s2, s2, 3
	s_cmp_lg_u32 s2, 0
	s_cselect_b32 s2, -1, 0
	s_sub_u32 s4, s20, s14
	s_subb_u32 s5, s21, s15
	s_or_b64 s[20:21], s[20:21], s[6:7]
	s_mov_b32 s21, 0
	s_and_b32 s20, s20, 3
	s_delay_alu instid0(SALU_CYCLE_1) | instskip(SKIP_1) | instid1(SALU_CYCLE_1)
	s_cmp_lg_u64 s[20:21], 0
	s_cselect_b32 s20, -1, 0
	s_or_b32 s2, s2, s20
	s_delay_alu instid0(SALU_CYCLE_1)
	s_and_not1_b32 vcc_lo, exec_lo, s2
	s_mov_b32 s2, -1
	s_cbranch_vccz .LBB106_5
; %bb.1:
	v_dual_mov_b32 v2, 0 :: v_dual_lshlrev_b32 v1, 2, v0
	s_mov_b32 s20, exec_lo
	s_delay_alu instid0(VALU_DEP_1)
	v_cmpx_gt_i64_e64 s[4:5], v[1:2]
	s_cbranch_execz .LBB106_4
; %bb.2:
	s_load_b32 s2, s[0:1], 0xc5c
	s_waitcnt lgkmcnt(0)
	s_lshr_b32 s23, s3, 16
	s_and_b32 s2, s2, 0xffff
	s_delay_alu instid0(SALU_CYCLE_1)
	s_lshl_b32 s22, s2, 2
.LBB106_3:                              ; =>This Inner Loop Header: Depth=1
	v_add_co_u32 v3, vcc_lo, s16, v1
	v_add_co_ci_u32_e32 v4, vcc_lo, s17, v2, vcc_lo
	v_add_co_u32 v5, vcc_lo, s6, v1
	v_add_co_ci_u32_e32 v6, vcc_lo, s7, v2, vcc_lo
	global_load_b32 v7, v[3:4], off
	global_load_b32 v5, v[5:6], off
	v_add_co_u32 v3, vcc_lo, s18, v1
	v_add_co_ci_u32_e32 v4, vcc_lo, s19, v2, vcc_lo
	v_add_co_u32 v1, vcc_lo, s22, v1
	v_add_co_ci_u32_e32 v2, vcc_lo, 0, v2, vcc_lo
	s_delay_alu instid0(VALU_DEP_1) | instskip(SKIP_1) | instid1(VALU_DEP_1)
	v_cmp_le_i64_e32 vcc_lo, s[4:5], v[1:2]
	v_cmp_lt_u64_e64 s2, 0xffff, v[1:2]
	s_or_b32 s2, vcc_lo, s2
	s_delay_alu instid0(SALU_CYCLE_1) | instskip(NEXT) | instid1(SALU_CYCLE_1)
	s_and_b32 s2, exec_lo, s2
	s_or_b32 s21, s2, s21
	s_waitcnt vmcnt(1)
	v_lshrrev_b32_e32 v10, 8, v7
	v_lshrrev_b32_e32 v12, 16, v7
	v_mul_lo_u16 v8, v7, s23
	s_waitcnt vmcnt(0)
	v_lshrrev_b32_e32 v9, 8, v5
	v_lshrrev_b32_e32 v11, 16, v5
	;; [unrolled: 1-line block ×3, first 2 shown]
	v_mul_lo_u16 v10, v10, s23
	v_mul_lo_u16 v12, v12, s23
	v_bfe_i32 v6, v5, 0, 8
	v_lshrrev_b32_e32 v5, 24, v5
	v_bfe_i32 v9, v9, 0, 8
	v_bfe_i32 v11, v11, 0, 8
	v_mul_lo_u16 v7, v7, s23
	v_bfe_i32 v10, v10, 0, 8
	v_bfe_i32 v12, v12, 0, 8
	;; [unrolled: 1-line block ×5, first 2 shown]
	v_min_i16 v9, v9, v10
	v_min_i16 v10, v11, v12
	;; [unrolled: 1-line block ×3, first 2 shown]
	s_delay_alu instid0(VALU_DEP_4) | instskip(NEXT) | instid1(VALU_DEP_4)
	v_min_i16 v5, v5, v7
	v_and_b32_e32 v7, 0xff, v9
	s_delay_alu instid0(VALU_DEP_4) | instskip(NEXT) | instid1(VALU_DEP_3)
	v_and_b32_e32 v8, 0xff, v10
	v_lshlrev_b32_e32 v5, 24, v5
	s_delay_alu instid0(VALU_DEP_3) | instskip(NEXT) | instid1(VALU_DEP_3)
	v_perm_b32 v6, v7, v6, 0x6050400
	v_lshlrev_b32_e32 v7, 16, v8
	s_delay_alu instid0(VALU_DEP_1)
	v_or3_b32 v5, v6, v7, v5
	global_store_b32 v[3:4], v5, off
	s_and_not1_b32 exec_lo, exec_lo, s21
	s_cbranch_execnz .LBB106_3
.LBB106_4:
	s_or_b32 exec_lo, exec_lo, s20
	s_mov_b32 s2, 0
.LBB106_5:
	s_delay_alu instid0(SALU_CYCLE_1)
	s_and_not1_b32 vcc_lo, exec_lo, s2
	s_cbranch_vccnz .LBB106_25
; %bb.6:
	v_cmp_lt_i64_e64 s2, s[4:5], 1
	s_delay_alu instid0(VALU_DEP_1)
	s_and_b32 vcc_lo, exec_lo, s2
	s_cbranch_vccnz .LBB106_25
; %bb.7:
	s_load_b32 s0, s[0:1], 0xc5c
	v_add_co_u32 v21, s1, s14, v0
	s_delay_alu instid0(VALU_DEP_1) | instskip(SKIP_1) | instid1(VALU_DEP_3)
	v_add_co_ci_u32_e64 v22, null, s15, 0, s1
	v_cmp_gt_u64_e64 s1, 0x10000, s[4:5]
	v_add_co_u32 v1, vcc_lo, s8, v21
	s_delay_alu instid0(VALU_DEP_3)
	v_add_co_ci_u32_e32 v2, vcc_lo, s9, v22, vcc_lo
	v_add_co_u32 v3, vcc_lo, s10, v21
	v_add_co_ci_u32_e32 v4, vcc_lo, s11, v22, vcc_lo
	v_add_co_u32 v5, vcc_lo, s12, v21
	v_add_co_ci_u32_e32 v6, vcc_lo, s13, v22, vcc_lo
	s_waitcnt lgkmcnt(0)
	s_and_b32 s0, s0, 0xffff
	s_and_b32 s1, s1, exec_lo
	s_mul_i32 s2, s0, 3
	s_cselect_b32 s7, s5, 0
	s_cselect_b32 s6, s4, 0x10000
	s_lshl_b32 s1, s0, 1
	s_lshl_b32 s16, s0, 2
	s_add_u32 s17, s14, s2
	s_addc_u32 s18, s15, 0
	v_add_co_u32 v11, s17, s17, v0
	s_delay_alu instid0(VALU_DEP_1) | instskip(SKIP_1) | instid1(VALU_DEP_2)
	v_add_co_ci_u32_e64 v12, null, s18, 0, s17
	s_add_u32 s14, s14, s1
	v_add_co_u32 v7, vcc_lo, s8, v11
	s_delay_alu instid0(VALU_DEP_2)
	v_add_co_ci_u32_e32 v8, vcc_lo, s9, v12, vcc_lo
	v_add_co_u32 v9, vcc_lo, s10, v11
	s_addc_u32 s15, s15, 0
	v_add_co_u32 v19, s14, s14, v0
	v_add_co_ci_u32_e32 v10, vcc_lo, s11, v12, vcc_lo
	v_add_co_u32 v11, vcc_lo, s12, v11
	v_add_co_ci_u32_e64 v20, null, s15, 0, s14
	v_add_co_ci_u32_e32 v12, vcc_lo, s13, v12, vcc_lo
	v_add_co_u32 v15, vcc_lo, s8, v19
	s_delay_alu instid0(VALU_DEP_3)
	v_add_co_ci_u32_e32 v16, vcc_lo, s9, v20, vcc_lo
	v_add_co_u32 v17, vcc_lo, s10, v19
	v_add_co_ci_u32_e32 v18, vcc_lo, s11, v20, vcc_lo
	v_add_co_u32 v19, vcc_lo, s12, v19
	;; [unrolled: 2-line block ×3, first 2 shown]
	v_add_co_ci_u32_e32 v28, vcc_lo, 0, v22, vcc_lo
	v_add_co_u32 v13, s2, s2, v0
	s_delay_alu instid0(VALU_DEP_3) | instskip(NEXT) | instid1(VALU_DEP_3)
	v_add_co_u32 v23, vcc_lo, s8, v27
	v_add_co_ci_u32_e32 v24, vcc_lo, s9, v28, vcc_lo
	v_add_co_u32 v25, vcc_lo, s10, v27
	v_add_co_ci_u32_e32 v26, vcc_lo, s11, v28, vcc_lo
	v_add_co_u32 v21, s1, s1, v0
	v_add_co_u32 v27, vcc_lo, s12, v27
	v_add_co_u32 v29, s0, v0, s0
	v_add_co_ci_u32_e64 v14, null, 0, 0, s2
	v_add_co_ci_u32_e64 v22, null, 0, 0, s1
	v_add_co_ci_u32_e32 v28, vcc_lo, s13, v28, vcc_lo
	v_add_co_ci_u32_e64 v30, null, 0, 0, s0
	s_mov_b64 s[8:9], 0
	s_lshr_b32 s10, s3, 16
	s_branch .LBB106_9
.LBB106_8:                              ;   in Loop: Header=BB106_9 Depth=1
	s_or_b32 exec_lo, exec_lo, s0
	s_add_u32 s8, s8, s16
	s_addc_u32 s9, s9, 0
	s_delay_alu instid0(SALU_CYCLE_1) | instskip(SKIP_1) | instid1(VALU_DEP_1)
	v_cmp_ge_i64_e64 s0, s[8:9], s[4:5]
	v_cmp_lt_u64_e64 s1, 0xffff, s[8:9]
	s_or_b32 s0, s0, s1
	s_delay_alu instid0(SALU_CYCLE_1)
	s_and_b32 vcc_lo, exec_lo, s0
	s_cbranch_vccnz .LBB106_25
.LBB106_9:                              ; =>This Inner Loop Header: Depth=1
	s_waitcnt vmcnt(0)
	v_add_co_u32 v33, s0, v0, s8
	s_delay_alu instid0(VALU_DEP_1) | instskip(SKIP_1) | instid1(VALU_DEP_2)
	v_add_co_ci_u32_e64 v34, null, 0, s9, s0
	v_dual_mov_b32 v32, 0 :: v_dual_mov_b32 v31, 0
	v_cmp_gt_u64_e32 vcc_lo, s[6:7], v[33:34]
	v_mov_b32_e32 v33, 0
	s_and_saveexec_b32 s1, vcc_lo
	s_cbranch_execz .LBB106_11
; %bb.10:                               ;   in Loop: Header=BB106_9 Depth=1
	v_add_co_u32 v33, s0, v1, s8
	s_delay_alu instid0(VALU_DEP_1) | instskip(SKIP_1) | instid1(VALU_DEP_1)
	v_add_co_ci_u32_e64 v34, s0, s9, v2, s0
	v_add_co_u32 v35, s0, v3, s8
	v_add_co_ci_u32_e64 v36, s0, s9, v4, s0
	global_load_u8 v31, v[33:34], off
	global_load_u8 v33, v[35:36], off
.LBB106_11:                             ;   in Loop: Header=BB106_9 Depth=1
	s_or_b32 exec_lo, exec_lo, s1
	v_add_co_u32 v34, s0, v29, s8
	s_delay_alu instid0(VALU_DEP_1) | instskip(NEXT) | instid1(VALU_DEP_1)
	v_add_co_ci_u32_e64 v35, s0, s9, v30, s0
	v_cmp_gt_u64_e64 s0, s[6:7], v[34:35]
	s_delay_alu instid0(VALU_DEP_1)
	s_and_saveexec_b32 s2, s0
	s_cbranch_execz .LBB106_13
; %bb.12:                               ;   in Loop: Header=BB106_9 Depth=1
	v_add_co_u32 v34, s1, v23, s8
	s_delay_alu instid0(VALU_DEP_1) | instskip(SKIP_2) | instid1(VALU_DEP_1)
	v_add_co_ci_u32_e64 v35, s1, s9, v24, s1
	global_load_u8 v36, v[34:35], off
	v_add_co_u32 v34, s1, v25, s8
	v_add_co_ci_u32_e64 v35, s1, s9, v26, s1
	global_load_u8 v32, v[34:35], off
	s_waitcnt vmcnt(1)
	v_lshl_or_b32 v31, v36, 8, v31
.LBB106_13:                             ;   in Loop: Header=BB106_9 Depth=1
	s_or_b32 exec_lo, exec_lo, s2
	v_add_co_u32 v34, s1, v21, s8
	s_delay_alu instid0(VALU_DEP_1) | instskip(NEXT) | instid1(VALU_DEP_1)
	v_add_co_ci_u32_e64 v35, s1, s9, v22, s1
	v_cmp_gt_u64_e64 s1, s[6:7], v[34:35]
	v_dual_mov_b32 v34, 0 :: v_dual_mov_b32 v35, 0
	s_delay_alu instid0(VALU_DEP_2)
	s_and_saveexec_b32 s3, s1
	s_cbranch_execz .LBB106_15
; %bb.14:                               ;   in Loop: Header=BB106_9 Depth=1
	v_add_co_u32 v35, s2, v15, s8
	s_delay_alu instid0(VALU_DEP_1) | instskip(SKIP_2) | instid1(VALU_DEP_1)
	v_add_co_ci_u32_e64 v36, s2, s9, v16, s2
	global_load_u8 v37, v[35:36], off
	v_add_co_u32 v35, s2, v17, s8
	v_add_co_ci_u32_e64 v36, s2, s9, v18, s2
	global_load_u8 v35, v[35:36], off
	s_waitcnt vmcnt(1)
	v_lshl_or_b32 v31, v37, 16, v31
.LBB106_15:                             ;   in Loop: Header=BB106_9 Depth=1
	s_or_b32 exec_lo, exec_lo, s3
	v_add_co_u32 v36, s2, v13, s8
	s_delay_alu instid0(VALU_DEP_1) | instskip(NEXT) | instid1(VALU_DEP_1)
	v_add_co_ci_u32_e64 v37, s2, s9, v14, s2
	v_cmp_gt_u64_e64 s2, s[6:7], v[36:37]
	s_delay_alu instid0(VALU_DEP_1)
	s_and_saveexec_b32 s11, s2
	s_cbranch_execnz .LBB106_20
; %bb.16:                               ;   in Loop: Header=BB106_9 Depth=1
	s_or_b32 exec_lo, exec_lo, s11
	s_and_saveexec_b32 s3, vcc_lo
	s_cbranch_execnz .LBB106_21
.LBB106_17:                             ;   in Loop: Header=BB106_9 Depth=1
	s_or_b32 exec_lo, exec_lo, s3
	s_and_saveexec_b32 s3, s0
	s_cbranch_execnz .LBB106_22
.LBB106_18:                             ;   in Loop: Header=BB106_9 Depth=1
	s_or_b32 exec_lo, exec_lo, s3
	s_and_saveexec_b32 s0, s1
	s_cbranch_execnz .LBB106_23
.LBB106_19:                             ;   in Loop: Header=BB106_9 Depth=1
	s_or_b32 exec_lo, exec_lo, s0
	s_and_saveexec_b32 s0, s2
	s_cbranch_execz .LBB106_8
	s_branch .LBB106_24
.LBB106_20:                             ;   in Loop: Header=BB106_9 Depth=1
	v_add_co_u32 v36, s3, v7, s8
	s_delay_alu instid0(VALU_DEP_1) | instskip(SKIP_2) | instid1(VALU_DEP_1)
	v_add_co_ci_u32_e64 v37, s3, s9, v8, s3
	global_load_u8 v38, v[36:37], off
	v_add_co_u32 v36, s3, v9, s8
	v_add_co_ci_u32_e64 v37, s3, s9, v10, s3
	global_load_u8 v34, v[36:37], off
	s_waitcnt vmcnt(1)
	v_lshl_or_b32 v31, v38, 24, v31
	s_or_b32 exec_lo, exec_lo, s11
	s_and_saveexec_b32 s3, vcc_lo
	s_cbranch_execz .LBB106_17
.LBB106_21:                             ;   in Loop: Header=BB106_9 Depth=1
	s_waitcnt vmcnt(0)
	v_mul_lo_u16 v33, v33, s10
	v_bfe_i32 v36, v31, 0, 8
	s_delay_alu instid0(VALU_DEP_2) | instskip(NEXT) | instid1(VALU_DEP_1)
	v_bfe_i32 v33, v33, 0, 8
	v_min_i16 v33, v36, v33
	v_add_co_u32 v36, vcc_lo, v5, s8
	v_add_co_ci_u32_e32 v37, vcc_lo, s9, v6, vcc_lo
	global_store_b8 v[36:37], v33, off
	s_or_b32 exec_lo, exec_lo, s3
	s_and_saveexec_b32 s3, s0
	s_cbranch_execz .LBB106_18
.LBB106_22:                             ;   in Loop: Header=BB106_9 Depth=1
	s_waitcnt vmcnt(0)
	v_lshrrev_b32_e32 v33, 8, v31
	v_mul_lo_u16 v32, v32, s10
	s_delay_alu instid0(VALU_DEP_2) | instskip(NEXT) | instid1(VALU_DEP_2)
	v_bfe_i32 v33, v33, 0, 8
	v_bfe_i32 v32, v32, 0, 8
	s_delay_alu instid0(VALU_DEP_1)
	v_min_i16 v36, v33, v32
	v_add_co_u32 v32, vcc_lo, v27, s8
	v_add_co_ci_u32_e32 v33, vcc_lo, s9, v28, vcc_lo
	global_store_b8 v[32:33], v36, off
	s_or_b32 exec_lo, exec_lo, s3
	s_and_saveexec_b32 s0, s1
	s_cbranch_execz .LBB106_19
.LBB106_23:                             ;   in Loop: Header=BB106_9 Depth=1
	s_waitcnt vmcnt(0)
	v_lshrrev_b32_e32 v32, 16, v31
	v_mul_lo_u16 v33, v35, s10
	s_delay_alu instid0(VALU_DEP_2) | instskip(NEXT) | instid1(VALU_DEP_2)
	v_bfe_i32 v32, v32, 0, 8
	v_bfe_i32 v33, v33, 0, 8
	s_delay_alu instid0(VALU_DEP_1)
	v_min_i16 v35, v32, v33
	v_add_co_u32 v32, vcc_lo, v19, s8
	v_add_co_ci_u32_e32 v33, vcc_lo, s9, v20, vcc_lo
	global_store_b8 v[32:33], v35, off
	s_or_b32 exec_lo, exec_lo, s0
	s_and_saveexec_b32 s0, s2
	s_cbranch_execz .LBB106_8
.LBB106_24:                             ;   in Loop: Header=BB106_9 Depth=1
	s_waitcnt vmcnt(1)
	v_lshrrev_b32_e32 v31, 24, v31
	s_waitcnt vmcnt(0)
	v_mul_lo_u16 v32, v34, s10
	s_delay_alu instid0(VALU_DEP_2) | instskip(NEXT) | instid1(VALU_DEP_2)
	v_bfe_i32 v31, v31, 0, 8
	v_bfe_i32 v32, v32, 0, 8
	s_delay_alu instid0(VALU_DEP_1)
	v_min_i16 v33, v31, v32
	v_add_co_u32 v31, vcc_lo, v11, s8
	v_add_co_ci_u32_e32 v32, vcc_lo, s9, v12, vcc_lo
	global_store_b8 v[31:32], v33, off
	s_branch .LBB106_8
.LBB106_25:
	s_nop 0
	s_sendmsg sendmsg(MSG_DEALLOC_VGPRS)
	s_endpgm
	.section	.rodata,"a",@progbits
	.p2align	6, 0x0
	.amdhsa_kernel _ZN2at6native12_GLOBAL__N_125multi_tensor_apply_kernelINS1_18TensorListMetadataILi3EEENS1_24BinaryOpListAlphaFunctorIaLi3ELi2ELi2EEEJNS0_7minimumIaEEaEEEvT_T0_DpT1_
		.amdhsa_group_segment_fixed_size 0
		.amdhsa_private_segment_fixed_size 0
		.amdhsa_kernarg_size 3408
		.amdhsa_user_sgpr_count 15
		.amdhsa_user_sgpr_dispatch_ptr 0
		.amdhsa_user_sgpr_queue_ptr 0
		.amdhsa_user_sgpr_kernarg_segment_ptr 1
		.amdhsa_user_sgpr_dispatch_id 0
		.amdhsa_user_sgpr_private_segment_size 0
		.amdhsa_wavefront_size32 1
		.amdhsa_uses_dynamic_stack 0
		.amdhsa_enable_private_segment 0
		.amdhsa_system_sgpr_workgroup_id_x 1
		.amdhsa_system_sgpr_workgroup_id_y 0
		.amdhsa_system_sgpr_workgroup_id_z 0
		.amdhsa_system_sgpr_workgroup_info 0
		.amdhsa_system_vgpr_workitem_id 0
		.amdhsa_next_free_vgpr 39
		.amdhsa_next_free_sgpr 24
		.amdhsa_reserve_vcc 1
		.amdhsa_float_round_mode_32 0
		.amdhsa_float_round_mode_16_64 0
		.amdhsa_float_denorm_mode_32 3
		.amdhsa_float_denorm_mode_16_64 3
		.amdhsa_dx10_clamp 1
		.amdhsa_ieee_mode 1
		.amdhsa_fp16_overflow 0
		.amdhsa_workgroup_processor_mode 1
		.amdhsa_memory_ordered 1
		.amdhsa_forward_progress 0
		.amdhsa_shared_vgpr_count 0
		.amdhsa_exception_fp_ieee_invalid_op 0
		.amdhsa_exception_fp_denorm_src 0
		.amdhsa_exception_fp_ieee_div_zero 0
		.amdhsa_exception_fp_ieee_overflow 0
		.amdhsa_exception_fp_ieee_underflow 0
		.amdhsa_exception_fp_ieee_inexact 0
		.amdhsa_exception_int_div_zero 0
	.end_amdhsa_kernel
	.section	.text._ZN2at6native12_GLOBAL__N_125multi_tensor_apply_kernelINS1_18TensorListMetadataILi3EEENS1_24BinaryOpListAlphaFunctorIaLi3ELi2ELi2EEEJNS0_7minimumIaEEaEEEvT_T0_DpT1_,"axG",@progbits,_ZN2at6native12_GLOBAL__N_125multi_tensor_apply_kernelINS1_18TensorListMetadataILi3EEENS1_24BinaryOpListAlphaFunctorIaLi3ELi2ELi2EEEJNS0_7minimumIaEEaEEEvT_T0_DpT1_,comdat
.Lfunc_end106:
	.size	_ZN2at6native12_GLOBAL__N_125multi_tensor_apply_kernelINS1_18TensorListMetadataILi3EEENS1_24BinaryOpListAlphaFunctorIaLi3ELi2ELi2EEEJNS0_7minimumIaEEaEEEvT_T0_DpT1_, .Lfunc_end106-_ZN2at6native12_GLOBAL__N_125multi_tensor_apply_kernelINS1_18TensorListMetadataILi3EEENS1_24BinaryOpListAlphaFunctorIaLi3ELi2ELi2EEEJNS0_7minimumIaEEaEEEvT_T0_DpT1_
                                        ; -- End function
	.section	.AMDGPU.csdata,"",@progbits
; Kernel info:
; codeLenInByte = 1884
; NumSgprs: 26
; NumVgprs: 39
; ScratchSize: 0
; MemoryBound: 0
; FloatMode: 240
; IeeeMode: 1
; LDSByteSize: 0 bytes/workgroup (compile time only)
; SGPRBlocks: 3
; VGPRBlocks: 4
; NumSGPRsForWavesPerEU: 26
; NumVGPRsForWavesPerEU: 39
; Occupancy: 16
; WaveLimiterHint : 0
; COMPUTE_PGM_RSRC2:SCRATCH_EN: 0
; COMPUTE_PGM_RSRC2:USER_SGPR: 15
; COMPUTE_PGM_RSRC2:TRAP_HANDLER: 0
; COMPUTE_PGM_RSRC2:TGID_X_EN: 1
; COMPUTE_PGM_RSRC2:TGID_Y_EN: 0
; COMPUTE_PGM_RSRC2:TGID_Z_EN: 0
; COMPUTE_PGM_RSRC2:TIDIG_COMP_CNT: 0
	.section	.text._ZN2at6native12_GLOBAL__N_125multi_tensor_apply_kernelINS1_18TensorListMetadataILi3EEENS1_24BinaryOpListAlphaFunctorIiLi3ELi2ELi2EEEJNS0_7minimumIiEEiEEEvT_T0_DpT1_,"axG",@progbits,_ZN2at6native12_GLOBAL__N_125multi_tensor_apply_kernelINS1_18TensorListMetadataILi3EEENS1_24BinaryOpListAlphaFunctorIiLi3ELi2ELi2EEEJNS0_7minimumIiEEiEEEvT_T0_DpT1_,comdat
	.globl	_ZN2at6native12_GLOBAL__N_125multi_tensor_apply_kernelINS1_18TensorListMetadataILi3EEENS1_24BinaryOpListAlphaFunctorIiLi3ELi2ELi2EEEJNS0_7minimumIiEEiEEEvT_T0_DpT1_ ; -- Begin function _ZN2at6native12_GLOBAL__N_125multi_tensor_apply_kernelINS1_18TensorListMetadataILi3EEENS1_24BinaryOpListAlphaFunctorIiLi3ELi2ELi2EEEJNS0_7minimumIiEEiEEEvT_T0_DpT1_
	.p2align	8
	.type	_ZN2at6native12_GLOBAL__N_125multi_tensor_apply_kernelINS1_18TensorListMetadataILi3EEENS1_24BinaryOpListAlphaFunctorIiLi3ELi2ELi2EEEJNS0_7minimumIiEEiEEEvT_T0_DpT1_,@function
_ZN2at6native12_GLOBAL__N_125multi_tensor_apply_kernelINS1_18TensorListMetadataILi3EEENS1_24BinaryOpListAlphaFunctorIiLi3ELi2ELi2EEEJNS0_7minimumIiEEiEEEvT_T0_DpT1_: ; @_ZN2at6native12_GLOBAL__N_125multi_tensor_apply_kernelINS1_18TensorListMetadataILi3EEENS1_24BinaryOpListAlphaFunctorIiLi3ELi2ELi2EEEJNS0_7minimumIiEEiEEEvT_T0_DpT1_
; %bb.0:
	v_mov_b32_e32 v1, s15
	s_add_u32 s2, s0, s15
	s_mul_hi_u32 s3, s15, 3
	s_mul_i32 s15, s15, 3
	s_addc_u32 s4, s1, 0
	global_load_u8 v1, v1, s[0:1] offset:1536
	s_load_b32 s16, s[0:1], 0xc4c
	s_add_u32 s2, s2, s15
	s_addc_u32 s3, s4, s3
	s_mov_b32 s25, 0
	s_load_b32 s2, s[2:3], 0x740
	s_mov_b32 s27, s25
	s_waitcnt vmcnt(0)
	v_readfirstlane_b32 s3, v1
	s_delay_alu instid0(VALU_DEP_1)
	s_lshl_b32 s3, s3, 3
	s_clause 0x3
	s_load_b64 s[10:11], s[0:1], s3 offset:0x0
	s_load_b64 s[12:13], s[0:1], s3 offset:0x180
	;; [unrolled: 1-line block ×4, first 2 shown]
	s_waitcnt lgkmcnt(0)
	s_ashr_i32 s3, s2, 31
	s_delay_alu instid0(SALU_CYCLE_1) | instskip(NEXT) | instid1(SALU_CYCLE_1)
	s_lshl_b64 s[4:5], s[2:3], 18
	s_add_u32 s8, s10, s4
	s_addc_u32 s9, s11, s5
	s_and_b32 s24, s8, 15
	s_add_u32 s17, s12, s4
	s_addc_u32 s18, s13, s5
	s_add_u32 s19, s14, s4
	s_addc_u32 s20, s15, s5
	s_or_b32 s6, s19, s17
	s_delay_alu instid0(SALU_CYCLE_1) | instskip(NEXT) | instid1(SALU_CYCLE_1)
	s_and_b32 s6, s6, 15
	s_cmp_lg_u32 s6, 0
	s_cselect_b32 s21, -1, 0
	s_lshl_b64 s[2:3], s[2:3], 16
	s_delay_alu instid0(SALU_CYCLE_1) | instskip(SKIP_2) | instid1(SALU_CYCLE_1)
	s_sub_u32 s6, s22, s2
	s_subb_u32 s7, s23, s3
	s_and_b32 s26, s22, 3
	s_or_b64 s[2:3], s[24:25], s[26:27]
	s_delay_alu instid0(SALU_CYCLE_1) | instskip(SKIP_1) | instid1(SALU_CYCLE_1)
	s_cmp_lg_u64 s[2:3], 0
	s_cselect_b32 s2, -1, 0
	s_or_b32 s2, s21, s2
	s_delay_alu instid0(SALU_CYCLE_1)
	s_and_not1_b32 vcc_lo, exec_lo, s2
	s_mov_b32 s2, -1
	s_cbranch_vccz .LBB107_5
; %bb.1:
	v_dual_mov_b32 v2, 0 :: v_dual_lshlrev_b32 v1, 2, v0
	s_mov_b32 s21, exec_lo
	s_delay_alu instid0(VALU_DEP_1)
	v_cmpx_gt_i64_e64 s[6:7], v[1:2]
	s_cbranch_execz .LBB107_4
; %bb.2:
	s_load_b32 s2, s[0:1], 0xc5c
	v_lshlrev_b32_e32 v3, 4, v0
	s_mov_b32 s22, 0
	s_waitcnt lgkmcnt(0)
	s_and_b32 s2, s2, 0xffff
	s_delay_alu instid0(SALU_CYCLE_1)
	v_add_lshl_u32 v1, v0, s2, 2
	s_lshl_b32 s23, s2, 2
	s_lshl_b32 s24, s2, 4
.LBB107_3:                              ; =>This Inner Loop Header: Depth=1
	v_add_co_u32 v4, s2, s17, v3
	s_delay_alu instid0(VALU_DEP_1) | instskip(SKIP_1) | instid1(VALU_DEP_1)
	v_add_co_ci_u32_e64 v5, null, s18, 0, s2
	v_add_co_u32 v8, s2, s8, v3
	v_add_co_ci_u32_e64 v9, null, s9, 0, s2
	global_load_b128 v[4:7], v[4:5], off
	v_cmp_le_i64_e32 vcc_lo, s[6:7], v[1:2]
	v_cmp_lt_u64_e64 s2, 0xffff, v[1:2]
	global_load_b128 v[8:11], v[8:9], off
	v_add_co_u32 v12, s3, s19, v3
	s_delay_alu instid0(VALU_DEP_1)
	v_add_co_ci_u32_e64 v13, null, s20, 0, s3
	s_or_b32 s2, vcc_lo, s2
	s_add_u32 s8, s8, s24
	s_addc_u32 s9, s9, 0
	s_add_u32 s19, s19, s24
	v_add_co_u32 v1, s3, v1, s23
	s_addc_u32 s20, s20, 0
	s_add_u32 s17, s17, s24
	v_add_co_ci_u32_e64 v2, s3, 0, v2, s3
	s_addc_u32 s18, s18, 0
	s_and_b32 s2, exec_lo, s2
	s_delay_alu instid0(SALU_CYCLE_1)
	s_or_b32 s22, s2, s22
	s_waitcnt vmcnt(1)
	v_mul_lo_u32 v4, v4, s16
	v_mul_lo_u32 v5, v5, s16
	;; [unrolled: 1-line block ×4, first 2 shown]
	s_waitcnt vmcnt(0)
	s_delay_alu instid0(VALU_DEP_4) | instskip(NEXT) | instid1(VALU_DEP_4)
	v_min_i32_e32 v4, v8, v4
	v_min_i32_e32 v5, v9, v5
	s_delay_alu instid0(VALU_DEP_4) | instskip(NEXT) | instid1(VALU_DEP_4)
	v_min_i32_e32 v6, v10, v6
	v_min_i32_e32 v7, v11, v7
	global_store_b128 v[12:13], v[4:7], off
	s_and_not1_b32 exec_lo, exec_lo, s22
	s_cbranch_execnz .LBB107_3
.LBB107_4:
	s_or_b32 exec_lo, exec_lo, s21
	s_mov_b32 s2, 0
.LBB107_5:
	s_delay_alu instid0(SALU_CYCLE_1)
	s_and_not1_b32 vcc_lo, exec_lo, s2
	s_cbranch_vccnz .LBB107_25
; %bb.6:
	v_cmp_lt_i64_e64 s2, s[6:7], 1
	s_delay_alu instid0(VALU_DEP_1)
	s_and_b32 vcc_lo, exec_lo, s2
	s_cbranch_vccnz .LBB107_25
; %bb.7:
	s_load_b32 s0, s[0:1], 0xc5c
	v_dual_mov_b32 v14, 0 :: v_dual_lshlrev_b32 v13, 2, v0
	v_cmp_gt_u64_e64 s1, 0x10000, s[6:7]
	s_delay_alu instid0(VALU_DEP_2) | instskip(NEXT) | instid1(VALU_DEP_1)
	v_add_co_u32 v1, s2, s10, v13
	v_add_co_ci_u32_e64 v2, null, s11, 0, s2
	v_add_co_u32 v3, s2, s12, v13
	s_delay_alu instid0(VALU_DEP_1) | instskip(SKIP_1) | instid1(VALU_DEP_1)
	v_add_co_ci_u32_e64 v4, null, s13, 0, s2
	v_add_co_u32 v5, s2, s14, v13
	v_add_co_ci_u32_e64 v6, null, s15, 0, s2
	s_waitcnt lgkmcnt(0)
	s_and_b32 s0, s0, 0xffff
	s_and_b32 s1, s1, exec_lo
	v_mad_u64_u32 v[11:12], null, s0, 12, v[13:14]
	s_cselect_b32 s9, s7, 0
	s_cselect_b32 s8, s6, 0x10000
	s_mul_i32 s2, s0, 3
	s_lshl_b32 s3, s0, 3
	s_lshl_b32 s1, s0, 1
	v_add_co_u32 v20, s3, s3, v13
	v_add_co_u32 v13, s2, s2, v0
	v_add_co_u32 v7, vcc_lo, s10, v11
	v_add_co_ci_u32_e64 v14, null, 0, 0, s2
	v_add_co_u32 v19, s2, v0, s0
	v_add_co_ci_u32_e32 v8, vcc_lo, s11, v12, vcc_lo
	v_add_co_u32 v9, vcc_lo, s12, v11
	v_add_co_ci_u32_e32 v10, vcc_lo, s13, v12, vcc_lo
	v_add_co_u32 v11, vcc_lo, s14, v11
	v_add_co_ci_u32_e64 v21, null, 0, 0, s3
	v_lshlrev_b32_e32 v29, 2, v19
	v_add_co_ci_u32_e32 v12, vcc_lo, s15, v12, vcc_lo
	v_add_co_u32 v15, vcc_lo, s10, v20
	v_add_co_u32 v23, s1, s1, v0
	v_add_co_ci_u32_e32 v16, vcc_lo, s11, v21, vcc_lo
	v_add_co_ci_u32_e64 v24, null, 0, 0, s1
	v_add_co_u32 v25, s1, s10, v29
	v_add_co_u32 v17, vcc_lo, s12, v20
	v_add_co_ci_u32_e64 v26, null, s11, 0, s1
	v_add_co_u32 v27, s1, s12, v29
	v_add_co_ci_u32_e32 v18, vcc_lo, s13, v21, vcc_lo
	v_add_co_u32 v20, vcc_lo, s14, v20
	v_add_co_ci_u32_e64 v28, null, s13, 0, s1
	v_add_co_u32 v29, s1, s14, v29
	v_add_co_ci_u32_e32 v21, vcc_lo, s15, v21, vcc_lo
	v_add_co_ci_u32_e64 v22, null, 0, 0, s2
	v_add_co_ci_u32_e64 v30, null, s15, 0, s1
	s_lshl_b32 s12, s0, 2
	s_lshl_b32 s13, s0, 4
	s_mov_b64 s[10:11], 0
	s_branch .LBB107_9
.LBB107_8:                              ;   in Loop: Header=BB107_9 Depth=1
	s_or_b32 exec_lo, exec_lo, s0
	v_add_co_u32 v1, vcc_lo, v1, s13
	v_add_co_ci_u32_e32 v2, vcc_lo, 0, v2, vcc_lo
	v_add_co_u32 v3, vcc_lo, v3, s13
	v_add_co_ci_u32_e32 v4, vcc_lo, 0, v4, vcc_lo
	;; [unrolled: 2-line block ×9, first 2 shown]
	s_add_u32 s10, s10, s12
	v_add_co_u32 v25, vcc_lo, v25, s13
	s_addc_u32 s11, s11, 0
	v_add_co_ci_u32_e32 v26, vcc_lo, 0, v26, vcc_lo
	v_cmp_ge_i64_e64 s0, s[10:11], s[6:7]
	v_cmp_lt_u64_e64 s1, 0xffff, s[10:11]
	v_add_co_u32 v27, vcc_lo, v27, s13
	v_add_co_ci_u32_e32 v28, vcc_lo, 0, v28, vcc_lo
	v_add_co_u32 v29, vcc_lo, v29, s13
	v_add_co_ci_u32_e32 v30, vcc_lo, 0, v30, vcc_lo
	s_or_b32 s0, s0, s1
	s_delay_alu instid0(SALU_CYCLE_1)
	s_and_b32 vcc_lo, exec_lo, s0
	s_cbranch_vccnz .LBB107_25
.LBB107_9:                              ; =>This Inner Loop Header: Depth=1
	s_waitcnt vmcnt(1)
	v_add_co_u32 v31, s0, v0, s10
	s_waitcnt vmcnt(0)
	v_add_co_ci_u32_e64 v32, null, 0, s11, s0
	s_delay_alu instid0(VALU_DEP_1)
	v_cmp_gt_u64_e32 vcc_lo, s[8:9], v[31:32]
	v_dual_mov_b32 v31, 0 :: v_dual_mov_b32 v32, 0
	s_and_saveexec_b32 s1, vcc_lo
	s_cbranch_execz .LBB107_11
; %bb.10:                               ;   in Loop: Header=BB107_9 Depth=1
	v_add_co_u32 v31, s0, v1, s4
	s_delay_alu instid0(VALU_DEP_1) | instskip(SKIP_1) | instid1(VALU_DEP_1)
	v_add_co_ci_u32_e64 v32, s0, s5, v2, s0
	v_add_co_u32 v33, s0, v3, s4
	v_add_co_ci_u32_e64 v34, s0, s5, v4, s0
	global_load_b32 v31, v[31:32], off
	global_load_b32 v32, v[33:34], off
.LBB107_11:                             ;   in Loop: Header=BB107_9 Depth=1
	s_or_b32 exec_lo, exec_lo, s1
	v_add_co_u32 v34, s0, v19, s10
	s_delay_alu instid0(VALU_DEP_1) | instskip(SKIP_1) | instid1(VALU_DEP_2)
	v_add_co_ci_u32_e64 v35, s0, s11, v22, s0
	v_mov_b32_e32 v33, 0
	v_cmp_gt_u64_e64 s0, s[8:9], v[34:35]
	v_dual_mov_b32 v34, 0 :: v_dual_mov_b32 v35, 0
	s_delay_alu instid0(VALU_DEP_2)
	s_and_saveexec_b32 s2, s0
	s_cbranch_execz .LBB107_13
; %bb.12:                               ;   in Loop: Header=BB107_9 Depth=1
	v_add_co_u32 v34, s1, v25, s4
	s_delay_alu instid0(VALU_DEP_1) | instskip(SKIP_1) | instid1(VALU_DEP_1)
	v_add_co_ci_u32_e64 v35, s1, s5, v26, s1
	v_add_co_u32 v36, s1, v27, s4
	v_add_co_ci_u32_e64 v37, s1, s5, v28, s1
	global_load_b32 v34, v[34:35], off
	global_load_b32 v35, v[36:37], off
.LBB107_13:                             ;   in Loop: Header=BB107_9 Depth=1
	s_or_b32 exec_lo, exec_lo, s2
	v_add_co_u32 v36, s1, v23, s10
	s_delay_alu instid0(VALU_DEP_1) | instskip(NEXT) | instid1(VALU_DEP_1)
	v_add_co_ci_u32_e64 v37, s1, s11, v24, s1
	v_cmp_gt_u64_e64 s1, s[8:9], v[36:37]
	v_mov_b32_e32 v36, 0
	s_delay_alu instid0(VALU_DEP_2)
	s_and_saveexec_b32 s3, s1
	s_cbranch_execz .LBB107_15
; %bb.14:                               ;   in Loop: Header=BB107_9 Depth=1
	v_add_co_u32 v36, s2, v15, s4
	s_delay_alu instid0(VALU_DEP_1) | instskip(SKIP_1) | instid1(VALU_DEP_1)
	v_add_co_ci_u32_e64 v37, s2, s5, v16, s2
	v_add_co_u32 v38, s2, v17, s4
	v_add_co_ci_u32_e64 v39, s2, s5, v18, s2
	global_load_b32 v33, v[36:37], off
	global_load_b32 v36, v[38:39], off
.LBB107_15:                             ;   in Loop: Header=BB107_9 Depth=1
	s_or_b32 exec_lo, exec_lo, s3
	v_add_co_u32 v37, s2, v13, s10
	s_delay_alu instid0(VALU_DEP_1) | instskip(NEXT) | instid1(VALU_DEP_1)
	v_add_co_ci_u32_e64 v38, s2, s11, v14, s2
	v_cmp_gt_u64_e64 s2, s[8:9], v[37:38]
	v_dual_mov_b32 v37, 0 :: v_dual_mov_b32 v38, 0
	s_delay_alu instid0(VALU_DEP_2)
	s_and_saveexec_b32 s14, s2
	s_cbranch_execnz .LBB107_20
; %bb.16:                               ;   in Loop: Header=BB107_9 Depth=1
	s_or_b32 exec_lo, exec_lo, s14
	s_and_saveexec_b32 s3, vcc_lo
	s_cbranch_execnz .LBB107_21
.LBB107_17:                             ;   in Loop: Header=BB107_9 Depth=1
	s_or_b32 exec_lo, exec_lo, s3
	s_and_saveexec_b32 s3, s0
	s_cbranch_execnz .LBB107_22
.LBB107_18:                             ;   in Loop: Header=BB107_9 Depth=1
	s_or_b32 exec_lo, exec_lo, s3
	s_and_saveexec_b32 s0, s1
	s_cbranch_execnz .LBB107_23
.LBB107_19:                             ;   in Loop: Header=BB107_9 Depth=1
	s_or_b32 exec_lo, exec_lo, s0
	s_and_saveexec_b32 s0, s2
	s_cbranch_execz .LBB107_8
	s_branch .LBB107_24
.LBB107_20:                             ;   in Loop: Header=BB107_9 Depth=1
	v_add_co_u32 v37, s3, v7, s4
	s_delay_alu instid0(VALU_DEP_1) | instskip(SKIP_1) | instid1(VALU_DEP_1)
	v_add_co_ci_u32_e64 v38, s3, s5, v8, s3
	v_add_co_u32 v39, s3, v9, s4
	v_add_co_ci_u32_e64 v40, s3, s5, v10, s3
	global_load_b32 v37, v[37:38], off
	global_load_b32 v38, v[39:40], off
	s_or_b32 exec_lo, exec_lo, s14
	s_and_saveexec_b32 s3, vcc_lo
	s_cbranch_execz .LBB107_17
.LBB107_21:                             ;   in Loop: Header=BB107_9 Depth=1
	s_waitcnt vmcnt(0)
	v_mul_lo_u32 v32, v32, s16
	v_add_co_u32 v39, vcc_lo, v5, s4
	v_add_co_ci_u32_e32 v40, vcc_lo, s5, v6, vcc_lo
	s_delay_alu instid0(VALU_DEP_3)
	v_min_i32_e32 v31, v31, v32
	global_store_b32 v[39:40], v31, off
	s_or_b32 exec_lo, exec_lo, s3
	s_and_saveexec_b32 s3, s0
	s_cbranch_execz .LBB107_18
.LBB107_22:                             ;   in Loop: Header=BB107_9 Depth=1
	s_waitcnt vmcnt(0)
	v_mul_lo_u32 v31, v35, s16
	s_delay_alu instid0(VALU_DEP_1)
	v_min_i32_e32 v34, v34, v31
	v_add_co_u32 v31, vcc_lo, v29, s4
	v_add_co_ci_u32_e32 v32, vcc_lo, s5, v30, vcc_lo
	global_store_b32 v[31:32], v34, off
	s_or_b32 exec_lo, exec_lo, s3
	s_and_saveexec_b32 s0, s1
	s_cbranch_execz .LBB107_19
.LBB107_23:                             ;   in Loop: Header=BB107_9 Depth=1
	s_waitcnt vmcnt(0)
	v_mul_lo_u32 v31, v36, s16
	s_delay_alu instid0(VALU_DEP_1)
	v_min_i32_e32 v33, v33, v31
	v_add_co_u32 v31, vcc_lo, v20, s4
	v_add_co_ci_u32_e32 v32, vcc_lo, s5, v21, vcc_lo
	global_store_b32 v[31:32], v33, off
	s_or_b32 exec_lo, exec_lo, s0
	s_and_saveexec_b32 s0, s2
	s_cbranch_execz .LBB107_8
.LBB107_24:                             ;   in Loop: Header=BB107_9 Depth=1
	s_waitcnt vmcnt(0)
	v_mul_lo_u32 v31, v38, s16
	s_delay_alu instid0(VALU_DEP_1)
	v_min_i32_e32 v33, v37, v31
	v_add_co_u32 v31, vcc_lo, v11, s4
	v_add_co_ci_u32_e32 v32, vcc_lo, s5, v12, vcc_lo
	global_store_b32 v[31:32], v33, off
	s_branch .LBB107_8
.LBB107_25:
	s_nop 0
	s_sendmsg sendmsg(MSG_DEALLOC_VGPRS)
	s_endpgm
	.section	.rodata,"a",@progbits
	.p2align	6, 0x0
	.amdhsa_kernel _ZN2at6native12_GLOBAL__N_125multi_tensor_apply_kernelINS1_18TensorListMetadataILi3EEENS1_24BinaryOpListAlphaFunctorIiLi3ELi2ELi2EEEJNS0_7minimumIiEEiEEEvT_T0_DpT1_
		.amdhsa_group_segment_fixed_size 0
		.amdhsa_private_segment_fixed_size 0
		.amdhsa_kernarg_size 3408
		.amdhsa_user_sgpr_count 15
		.amdhsa_user_sgpr_dispatch_ptr 0
		.amdhsa_user_sgpr_queue_ptr 0
		.amdhsa_user_sgpr_kernarg_segment_ptr 1
		.amdhsa_user_sgpr_dispatch_id 0
		.amdhsa_user_sgpr_private_segment_size 0
		.amdhsa_wavefront_size32 1
		.amdhsa_uses_dynamic_stack 0
		.amdhsa_enable_private_segment 0
		.amdhsa_system_sgpr_workgroup_id_x 1
		.amdhsa_system_sgpr_workgroup_id_y 0
		.amdhsa_system_sgpr_workgroup_id_z 0
		.amdhsa_system_sgpr_workgroup_info 0
		.amdhsa_system_vgpr_workitem_id 0
		.amdhsa_next_free_vgpr 41
		.amdhsa_next_free_sgpr 28
		.amdhsa_reserve_vcc 1
		.amdhsa_float_round_mode_32 0
		.amdhsa_float_round_mode_16_64 0
		.amdhsa_float_denorm_mode_32 3
		.amdhsa_float_denorm_mode_16_64 3
		.amdhsa_dx10_clamp 1
		.amdhsa_ieee_mode 1
		.amdhsa_fp16_overflow 0
		.amdhsa_workgroup_processor_mode 1
		.amdhsa_memory_ordered 1
		.amdhsa_forward_progress 0
		.amdhsa_shared_vgpr_count 0
		.amdhsa_exception_fp_ieee_invalid_op 0
		.amdhsa_exception_fp_denorm_src 0
		.amdhsa_exception_fp_ieee_div_zero 0
		.amdhsa_exception_fp_ieee_overflow 0
		.amdhsa_exception_fp_ieee_underflow 0
		.amdhsa_exception_fp_ieee_inexact 0
		.amdhsa_exception_int_div_zero 0
	.end_amdhsa_kernel
	.section	.text._ZN2at6native12_GLOBAL__N_125multi_tensor_apply_kernelINS1_18TensorListMetadataILi3EEENS1_24BinaryOpListAlphaFunctorIiLi3ELi2ELi2EEEJNS0_7minimumIiEEiEEEvT_T0_DpT1_,"axG",@progbits,_ZN2at6native12_GLOBAL__N_125multi_tensor_apply_kernelINS1_18TensorListMetadataILi3EEENS1_24BinaryOpListAlphaFunctorIiLi3ELi2ELi2EEEJNS0_7minimumIiEEiEEEvT_T0_DpT1_,comdat
.Lfunc_end107:
	.size	_ZN2at6native12_GLOBAL__N_125multi_tensor_apply_kernelINS1_18TensorListMetadataILi3EEENS1_24BinaryOpListAlphaFunctorIiLi3ELi2ELi2EEEJNS0_7minimumIiEEiEEEvT_T0_DpT1_, .Lfunc_end107-_ZN2at6native12_GLOBAL__N_125multi_tensor_apply_kernelINS1_18TensorListMetadataILi3EEENS1_24BinaryOpListAlphaFunctorIiLi3ELi2ELi2EEEJNS0_7minimumIiEEiEEEvT_T0_DpT1_
                                        ; -- End function
	.section	.AMDGPU.csdata,"",@progbits
; Kernel info:
; codeLenInByte = 1788
; NumSgprs: 30
; NumVgprs: 41
; ScratchSize: 0
; MemoryBound: 0
; FloatMode: 240
; IeeeMode: 1
; LDSByteSize: 0 bytes/workgroup (compile time only)
; SGPRBlocks: 3
; VGPRBlocks: 5
; NumSGPRsForWavesPerEU: 30
; NumVGPRsForWavesPerEU: 41
; Occupancy: 16
; WaveLimiterHint : 0
; COMPUTE_PGM_RSRC2:SCRATCH_EN: 0
; COMPUTE_PGM_RSRC2:USER_SGPR: 15
; COMPUTE_PGM_RSRC2:TRAP_HANDLER: 0
; COMPUTE_PGM_RSRC2:TGID_X_EN: 1
; COMPUTE_PGM_RSRC2:TGID_Y_EN: 0
; COMPUTE_PGM_RSRC2:TGID_Z_EN: 0
; COMPUTE_PGM_RSRC2:TIDIG_COMP_CNT: 0
	.section	.text._ZN2at6native12_GLOBAL__N_125multi_tensor_apply_kernelINS1_18TensorListMetadataILi3EEENS1_24BinaryOpListAlphaFunctorIlLi3ELi2ELi2EEEJNS0_7minimumIlEElEEEvT_T0_DpT1_,"axG",@progbits,_ZN2at6native12_GLOBAL__N_125multi_tensor_apply_kernelINS1_18TensorListMetadataILi3EEENS1_24BinaryOpListAlphaFunctorIlLi3ELi2ELi2EEEJNS0_7minimumIlEElEEEvT_T0_DpT1_,comdat
	.globl	_ZN2at6native12_GLOBAL__N_125multi_tensor_apply_kernelINS1_18TensorListMetadataILi3EEENS1_24BinaryOpListAlphaFunctorIlLi3ELi2ELi2EEEJNS0_7minimumIlEElEEEvT_T0_DpT1_ ; -- Begin function _ZN2at6native12_GLOBAL__N_125multi_tensor_apply_kernelINS1_18TensorListMetadataILi3EEENS1_24BinaryOpListAlphaFunctorIlLi3ELi2ELi2EEEJNS0_7minimumIlEElEEEvT_T0_DpT1_
	.p2align	8
	.type	_ZN2at6native12_GLOBAL__N_125multi_tensor_apply_kernelINS1_18TensorListMetadataILi3EEENS1_24BinaryOpListAlphaFunctorIlLi3ELi2ELi2EEEJNS0_7minimumIlEElEEEvT_T0_DpT1_,@function
_ZN2at6native12_GLOBAL__N_125multi_tensor_apply_kernelINS1_18TensorListMetadataILi3EEENS1_24BinaryOpListAlphaFunctorIlLi3ELi2ELi2EEEJNS0_7minimumIlEElEEEvT_T0_DpT1_: ; @_ZN2at6native12_GLOBAL__N_125multi_tensor_apply_kernelINS1_18TensorListMetadataILi3EEENS1_24BinaryOpListAlphaFunctorIlLi3ELi2ELi2EEEJNS0_7minimumIlEElEEEvT_T0_DpT1_
; %bb.0:
	v_mov_b32_e32 v1, s15
	s_add_u32 s2, s0, s15
	s_mul_hi_u32 s3, s15, 3
	s_mul_i32 s15, s15, 3
	s_addc_u32 s4, s1, 0
	global_load_u8 v1, v1, s[0:1] offset:1536
	s_add_u32 s2, s2, s15
	s_addc_u32 s3, s4, s3
	s_mov_b32 s25, 0
	s_load_b32 s2, s[2:3], 0x740
	s_mov_b32 s27, s25
	s_waitcnt vmcnt(0)
	v_readfirstlane_b32 s3, v1
	s_delay_alu instid0(VALU_DEP_1)
	s_lshl_b32 s3, s3, 3
	s_clause 0x3
	s_load_b64 s[12:13], s[0:1], s3 offset:0x0
	s_load_b64 s[14:15], s[0:1], s3 offset:0x180
	;; [unrolled: 1-line block ×4, first 2 shown]
	s_waitcnt lgkmcnt(0)
	s_ashr_i32 s3, s2, 31
	s_delay_alu instid0(SALU_CYCLE_1) | instskip(NEXT) | instid1(SALU_CYCLE_1)
	s_lshl_b64 s[6:7], s[2:3], 19
	s_add_u32 s5, s12, s6
	s_addc_u32 s18, s13, s7
	s_and_b32 s24, s5, 31
	s_add_u32 s19, s14, s6
	s_addc_u32 s20, s15, s7
	s_add_u32 s21, s16, s6
	s_addc_u32 s22, s17, s7
	s_or_b32 s4, s21, s19
	s_delay_alu instid0(SALU_CYCLE_1) | instskip(NEXT) | instid1(SALU_CYCLE_1)
	s_and_b32 s4, s4, 31
	s_cmp_lg_u32 s4, 0
	s_cselect_b32 s4, -1, 0
	s_lshl_b64 s[2:3], s[2:3], 16
	s_delay_alu instid0(SALU_CYCLE_1) | instskip(SKIP_4) | instid1(SALU_CYCLE_1)
	s_sub_u32 s8, s10, s2
	s_subb_u32 s9, s11, s3
	s_and_b32 s26, s10, 3
	s_load_b64 s[10:11], s[0:1], 0xc50
	s_or_b64 s[2:3], s[24:25], s[26:27]
	s_cmp_lg_u64 s[2:3], 0
	s_cselect_b32 s2, -1, 0
	s_delay_alu instid0(SALU_CYCLE_1) | instskip(NEXT) | instid1(SALU_CYCLE_1)
	s_or_b32 s2, s4, s2
	s_and_not1_b32 vcc_lo, exec_lo, s2
	s_mov_b32 s2, -1
	s_cbranch_vccz .LBB108_5
; %bb.1:
	v_dual_mov_b32 v2, 0 :: v_dual_lshlrev_b32 v1, 2, v0
	s_mov_b32 s23, exec_lo
	s_delay_alu instid0(VALU_DEP_1)
	v_cmpx_gt_i64_e64 s[8:9], v[1:2]
	s_cbranch_execz .LBB108_4
; %bb.2:
	s_load_b32 s2, s[0:1], 0xc64
	v_lshlrev_b32_e32 v3, 5, v0
	s_mov_b32 s24, 0
	s_waitcnt lgkmcnt(0)
	s_and_b32 s2, s2, 0xffff
	s_delay_alu instid0(SALU_CYCLE_1)
	v_add_lshl_u32 v1, v0, s2, 2
	s_lshl_b32 s25, s2, 2
	s_lshl_b32 s26, s2, 5
.LBB108_3:                              ; =>This Inner Loop Header: Depth=1
	v_add_co_u32 v8, s2, s19, v3
	s_delay_alu instid0(VALU_DEP_1) | instskip(SKIP_1) | instid1(VALU_DEP_1)
	v_add_co_ci_u32_e64 v9, null, s20, 0, s2
	v_add_co_u32 v16, s2, s5, v3
	v_add_co_ci_u32_e64 v17, null, s18, 0, s2
	s_clause 0x1
	global_load_b128 v[4:7], v[8:9], off
	global_load_b128 v[8:11], v[8:9], off offset:16
	s_clause 0x1
	global_load_b128 v[12:15], v[16:17], off
	global_load_b128 v[16:19], v[16:17], off offset:16
	v_cmp_le_i64_e32 vcc_lo, s[8:9], v[1:2]
	v_cmp_lt_u64_e64 s2, 0xffff, v[1:2]
	v_add_co_u32 v20, s3, s21, v3
	s_delay_alu instid0(VALU_DEP_1) | instskip(SKIP_1) | instid1(VALU_DEP_1)
	v_add_co_ci_u32_e64 v21, null, s22, 0, s3
	v_add_co_u32 v1, s3, v1, s25
	v_add_co_ci_u32_e64 v2, s3, 0, v2, s3
	s_or_b32 s27, vcc_lo, s2
	s_add_u32 s5, s5, s26
	s_addc_u32 s18, s18, 0
	s_add_u32 s21, s21, s26
	s_addc_u32 s22, s22, 0
	;; [unrolled: 2-line block ×3, first 2 shown]
	s_waitcnt vmcnt(3)
	v_mul_lo_u32 v5, v5, s10
	v_mul_lo_u32 v30, v4, s11
	v_mad_u64_u32 v[22:23], null, v4, s10, 0
	v_mul_lo_u32 v4, v7, s10
	v_mul_lo_u32 v7, v6, s11
	v_mad_u64_u32 v[24:25], null, v6, s10, 0
	s_waitcnt vmcnt(2)
	v_mul_lo_u32 v6, v9, s10
	v_mul_lo_u32 v9, v8, s11
	v_mad_u64_u32 v[26:27], null, v8, s10, 0
	v_mul_lo_u32 v8, v11, s10
	v_mul_lo_u32 v11, v10, s11
	v_mad_u64_u32 v[28:29], null, v10, s10, 0
	v_add3_u32 v23, v23, v30, v5
	v_add3_u32 v25, v25, v7, v4
	;; [unrolled: 1-line block ×3, first 2 shown]
	s_waitcnt vmcnt(1)
	s_delay_alu instid0(VALU_DEP_3) | instskip(SKIP_4) | instid1(VALU_DEP_3)
	v_cmp_lt_i64_e32 vcc_lo, v[12:13], v[22:23]
	v_add3_u32 v29, v29, v11, v8
	v_cmp_lt_i64_e64 s2, v[14:15], v[24:25]
	s_waitcnt vmcnt(0)
	v_cmp_lt_i64_e64 s3, v[16:17], v[26:27]
	v_cmp_lt_i64_e64 s4, v[18:19], v[28:29]
	v_dual_cndmask_b32 v5, v23, v13 :: v_dual_cndmask_b32 v4, v22, v12
	s_delay_alu instid0(VALU_DEP_4)
	v_cndmask_b32_e64 v7, v25, v15, s2
	v_cndmask_b32_e64 v6, v24, v14, s2
	;; [unrolled: 1-line block ×6, first 2 shown]
	s_and_b32 s2, exec_lo, s27
	s_clause 0x1
	global_store_b128 v[20:21], v[4:7], off
	global_store_b128 v[20:21], v[8:11], off offset:16
	s_or_b32 s24, s2, s24
	s_delay_alu instid0(SALU_CYCLE_1)
	s_and_not1_b32 exec_lo, exec_lo, s24
	s_cbranch_execnz .LBB108_3
.LBB108_4:
	s_or_b32 exec_lo, exec_lo, s23
	s_mov_b32 s2, 0
.LBB108_5:
	s_delay_alu instid0(SALU_CYCLE_1)
	s_and_not1_b32 vcc_lo, exec_lo, s2
	s_cbranch_vccnz .LBB108_25
; %bb.6:
	v_cmp_lt_i64_e64 s2, s[8:9], 1
	s_delay_alu instid0(VALU_DEP_1)
	s_and_b32 vcc_lo, exec_lo, s2
	s_cbranch_vccnz .LBB108_25
; %bb.7:
	s_load_b32 s0, s[0:1], 0xc64
	v_dual_mov_b32 v2, 0 :: v_dual_lshlrev_b32 v1, 3, v0
	v_cmp_gt_u64_e64 s1, 0x10000, s[8:9]
	s_delay_alu instid0(VALU_DEP_2) | instskip(NEXT) | instid1(VALU_DEP_1)
	v_add_co_u32 v17, s2, s12, v1
	v_add_co_ci_u32_e64 v18, null, s13, 0, s2
	v_add_co_u32 v19, s2, s14, v1
	s_delay_alu instid0(VALU_DEP_1) | instskip(SKIP_1) | instid1(VALU_DEP_1)
	v_add_co_ci_u32_e64 v20, null, s15, 0, s2
	v_add_co_u32 v21, s2, s16, v1
	v_add_co_ci_u32_e64 v22, null, s17, 0, s2
	s_waitcnt lgkmcnt(0)
	s_and_b32 s0, s0, 0xffff
	s_and_b32 s1, s1, exec_lo
	v_mad_u64_u32 v[3:4], null, s0, 24, v[1:2]
	s_cselect_b32 s5, s9, 0
	s_cselect_b32 s4, s8, 0x10000
	s_lshl_b32 s3, s0, 4
	s_mul_i32 s2, s0, 3
	v_add_co_u32 v1, s3, s3, v1
	s_delay_alu instid0(VALU_DEP_2) | instskip(NEXT) | instid1(VALU_DEP_3)
	v_add_co_u32 v23, vcc_lo, s12, v3
	v_add_co_ci_u32_e32 v24, vcc_lo, s13, v4, vcc_lo
	v_add_co_u32 v25, vcc_lo, s14, v3
	v_add_co_ci_u32_e32 v26, vcc_lo, s15, v4, vcc_lo
	v_add_co_u32 v27, vcc_lo, s16, v3
	v_add_co_ci_u32_e64 v2, null, 0, 0, s3
	v_add_co_ci_u32_e32 v28, vcc_lo, s17, v4, vcc_lo
	v_add_co_u32 v29, s2, s2, v0
	v_add_co_u32 v31, vcc_lo, s12, v1
	v_add_co_ci_u32_e64 v30, null, 0, 0, s2
	v_add_co_u32 v35, s2, v0, s0
	v_add_co_ci_u32_e32 v32, vcc_lo, s13, v2, vcc_lo
	v_add_co_u32 v33, vcc_lo, s14, v1
	v_add_co_ci_u32_e32 v34, vcc_lo, s15, v2, vcc_lo
	v_add_co_u32 v36, vcc_lo, s16, v1
	v_lshlrev_b32_e32 v1, 3, v35
	s_lshl_b32 s1, s0, 1
	v_add_co_ci_u32_e32 v37, vcc_lo, s17, v2, vcc_lo
	v_add_co_u32 v39, s1, s1, v0
	s_delay_alu instid0(VALU_DEP_1) | instskip(SKIP_1) | instid1(VALU_DEP_1)
	v_add_co_ci_u32_e64 v40, null, 0, 0, s1
	v_add_co_u32 v41, s1, s12, v1
	v_add_co_ci_u32_e64 v42, null, s13, 0, s1
	v_add_co_u32 v43, s1, s14, v1
	s_delay_alu instid0(VALU_DEP_1)
	v_add_co_ci_u32_e64 v44, null, s15, 0, s1
	v_add_co_u32 v45, s1, s16, v1
	v_add_co_ci_u32_e64 v38, null, 0, 0, s2
	v_add_co_ci_u32_e64 v46, null, s17, 0, s1
	s_lshl_b32 s14, s0, 2
	s_lshl_b32 s15, s0, 5
	s_mov_b64 s[12:13], 0
	s_branch .LBB108_9
.LBB108_8:                              ;   in Loop: Header=BB108_9 Depth=1
	s_or_b32 exec_lo, exec_lo, s0
	v_add_co_u32 v17, vcc_lo, v17, s15
	v_add_co_ci_u32_e32 v18, vcc_lo, 0, v18, vcc_lo
	v_add_co_u32 v19, vcc_lo, v19, s15
	v_add_co_ci_u32_e32 v20, vcc_lo, 0, v20, vcc_lo
	v_add_co_u32 v21, vcc_lo, v21, s15
	v_add_co_ci_u32_e32 v22, vcc_lo, 0, v22, vcc_lo
	v_add_co_u32 v23, vcc_lo, v23, s15
	v_add_co_ci_u32_e32 v24, vcc_lo, 0, v24, vcc_lo
	v_add_co_u32 v25, vcc_lo, v25, s15
	v_add_co_ci_u32_e32 v26, vcc_lo, 0, v26, vcc_lo
	v_add_co_u32 v27, vcc_lo, v27, s15
	v_add_co_ci_u32_e32 v28, vcc_lo, 0, v28, vcc_lo
	v_add_co_u32 v31, vcc_lo, v31, s15
	v_add_co_ci_u32_e32 v32, vcc_lo, 0, v32, vcc_lo
	v_add_co_u32 v33, vcc_lo, v33, s15
	v_add_co_ci_u32_e32 v34, vcc_lo, 0, v34, vcc_lo
	v_add_co_u32 v36, vcc_lo, v36, s15
	v_add_co_ci_u32_e32 v37, vcc_lo, 0, v37, vcc_lo
	s_add_u32 s12, s12, s14
	v_add_co_u32 v41, vcc_lo, v41, s15
	s_addc_u32 s13, s13, 0
	v_add_co_ci_u32_e32 v42, vcc_lo, 0, v42, vcc_lo
	v_cmp_ge_i64_e64 s0, s[12:13], s[8:9]
	v_cmp_lt_u64_e64 s1, 0xffff, s[12:13]
	v_add_co_u32 v43, vcc_lo, v43, s15
	v_add_co_ci_u32_e32 v44, vcc_lo, 0, v44, vcc_lo
	v_add_co_u32 v45, vcc_lo, v45, s15
	v_add_co_ci_u32_e32 v46, vcc_lo, 0, v46, vcc_lo
	s_or_b32 s0, s0, s1
	s_delay_alu instid0(SALU_CYCLE_1)
	s_and_b32 vcc_lo, exec_lo, s0
	s_cbranch_vccnz .LBB108_25
.LBB108_9:                              ; =>This Inner Loop Header: Depth=1
	s_waitcnt vmcnt(1)
	v_add_co_u32 v3, s0, v0, s12
	s_delay_alu instid0(VALU_DEP_1) | instskip(SKIP_2) | instid1(VALU_DEP_3)
	v_add_co_ci_u32_e64 v4, null, 0, s13, s0
	v_mov_b32_e32 v1, 0
	v_mov_b32_e32 v2, 0
	v_cmp_gt_u64_e32 vcc_lo, s[4:5], v[3:4]
	s_delay_alu instid0(VALU_DEP_2)
	v_dual_mov_b32 v6, v2 :: v_dual_mov_b32 v5, v1
	s_waitcnt vmcnt(0)
	v_dual_mov_b32 v8, v2 :: v_dual_mov_b32 v7, v1
	s_and_saveexec_b32 s1, vcc_lo
	s_cbranch_execz .LBB108_11
; %bb.10:                               ;   in Loop: Header=BB108_9 Depth=1
	v_add_co_u32 v3, s0, v17, s6
	s_delay_alu instid0(VALU_DEP_1) | instskip(SKIP_1) | instid1(VALU_DEP_1)
	v_add_co_ci_u32_e64 v4, s0, s7, v18, s0
	v_add_co_u32 v7, s0, v19, s6
	v_add_co_ci_u32_e64 v8, s0, s7, v20, s0
	global_load_b64 v[5:6], v[3:4], off
	global_load_b64 v[7:8], v[7:8], off
.LBB108_11:                             ;   in Loop: Header=BB108_9 Depth=1
	s_or_b32 exec_lo, exec_lo, s1
	v_add_co_u32 v3, s0, v35, s12
	s_delay_alu instid0(VALU_DEP_1) | instskip(SKIP_1) | instid1(VALU_DEP_2)
	v_add_co_ci_u32_e64 v4, s0, s13, v38, s0
	v_dual_mov_b32 v10, v2 :: v_dual_mov_b32 v9, v1
	v_cmp_gt_u64_e64 s0, s[4:5], v[3:4]
	s_delay_alu instid0(VALU_DEP_1)
	s_and_saveexec_b32 s2, s0
	s_cbranch_execz .LBB108_13
; %bb.12:                               ;   in Loop: Header=BB108_9 Depth=1
	v_add_co_u32 v1, s1, v41, s6
	s_delay_alu instid0(VALU_DEP_1) | instskip(SKIP_1) | instid1(VALU_DEP_1)
	v_add_co_ci_u32_e64 v2, s1, s7, v42, s1
	v_add_co_u32 v3, s1, v43, s6
	v_add_co_ci_u32_e64 v4, s1, s7, v44, s1
	global_load_b64 v[1:2], v[1:2], off
	global_load_b64 v[9:10], v[3:4], off
.LBB108_13:                             ;   in Loop: Header=BB108_9 Depth=1
	s_or_b32 exec_lo, exec_lo, s2
	v_add_co_u32 v11, s1, v39, s12
	s_delay_alu instid0(VALU_DEP_1) | instskip(SKIP_2) | instid1(VALU_DEP_3)
	v_add_co_ci_u32_e64 v12, s1, s13, v40, s1
	v_mov_b32_e32 v3, 0
	v_mov_b32_e32 v4, 0
	v_cmp_gt_u64_e64 s1, s[4:5], v[11:12]
	s_delay_alu instid0(VALU_DEP_2) | instskip(SKIP_1) | instid1(VALU_DEP_3)
	v_dual_mov_b32 v12, v4 :: v_dual_mov_b32 v11, v3
	v_dual_mov_b32 v14, v4 :: v_dual_mov_b32 v13, v3
	s_and_saveexec_b32 s3, s1
	s_cbranch_execz .LBB108_15
; %bb.14:                               ;   in Loop: Header=BB108_9 Depth=1
	v_add_co_u32 v11, s2, v31, s6
	s_delay_alu instid0(VALU_DEP_1) | instskip(SKIP_1) | instid1(VALU_DEP_1)
	v_add_co_ci_u32_e64 v12, s2, s7, v32, s2
	v_add_co_u32 v13, s2, v33, s6
	v_add_co_ci_u32_e64 v14, s2, s7, v34, s2
	global_load_b64 v[11:12], v[11:12], off
	global_load_b64 v[13:14], v[13:14], off
.LBB108_15:                             ;   in Loop: Header=BB108_9 Depth=1
	s_or_b32 exec_lo, exec_lo, s3
	v_add_co_u32 v15, s2, v29, s12
	s_delay_alu instid0(VALU_DEP_1) | instskip(NEXT) | instid1(VALU_DEP_1)
	v_add_co_ci_u32_e64 v16, s2, s13, v30, s2
	v_cmp_gt_u64_e64 s2, s[4:5], v[15:16]
	v_dual_mov_b32 v16, v4 :: v_dual_mov_b32 v15, v3
	s_delay_alu instid0(VALU_DEP_2)
	s_and_saveexec_b32 s16, s2
	s_cbranch_execnz .LBB108_20
; %bb.16:                               ;   in Loop: Header=BB108_9 Depth=1
	s_or_b32 exec_lo, exec_lo, s16
	s_and_saveexec_b32 s3, vcc_lo
	s_cbranch_execnz .LBB108_21
.LBB108_17:                             ;   in Loop: Header=BB108_9 Depth=1
	s_or_b32 exec_lo, exec_lo, s3
	s_and_saveexec_b32 s3, s0
	s_cbranch_execnz .LBB108_22
.LBB108_18:                             ;   in Loop: Header=BB108_9 Depth=1
	s_or_b32 exec_lo, exec_lo, s3
	s_and_saveexec_b32 s0, s1
	s_cbranch_execnz .LBB108_23
.LBB108_19:                             ;   in Loop: Header=BB108_9 Depth=1
	s_or_b32 exec_lo, exec_lo, s0
	s_and_saveexec_b32 s0, s2
	s_cbranch_execz .LBB108_8
	s_branch .LBB108_24
.LBB108_20:                             ;   in Loop: Header=BB108_9 Depth=1
	v_add_co_u32 v3, s3, v23, s6
	s_delay_alu instid0(VALU_DEP_1) | instskip(SKIP_1) | instid1(VALU_DEP_1)
	v_add_co_ci_u32_e64 v4, s3, s7, v24, s3
	v_add_co_u32 v15, s3, v25, s6
	v_add_co_ci_u32_e64 v16, s3, s7, v26, s3
	global_load_b64 v[3:4], v[3:4], off
	global_load_b64 v[15:16], v[15:16], off
	s_or_b32 exec_lo, exec_lo, s16
	s_and_saveexec_b32 s3, vcc_lo
	s_cbranch_execz .LBB108_17
.LBB108_21:                             ;   in Loop: Header=BB108_9 Depth=1
	s_waitcnt vmcnt(0)
	v_mul_lo_u32 v8, v8, s10
	v_mul_lo_u32 v49, v7, s11
	v_mad_u64_u32 v[47:48], null, v7, s10, 0
	s_delay_alu instid0(VALU_DEP_1) | instskip(NEXT) | instid1(VALU_DEP_1)
	v_add3_u32 v48, v48, v49, v8
	v_cmp_lt_i64_e32 vcc_lo, v[5:6], v[47:48]
	v_dual_cndmask_b32 v6, v48, v6 :: v_dual_cndmask_b32 v5, v47, v5
	v_add_co_u32 v7, vcc_lo, v21, s6
	v_add_co_ci_u32_e32 v8, vcc_lo, s7, v22, vcc_lo
	global_store_b64 v[7:8], v[5:6], off
	s_or_b32 exec_lo, exec_lo, s3
	s_and_saveexec_b32 s3, s0
	s_cbranch_execz .LBB108_18
.LBB108_22:                             ;   in Loop: Header=BB108_9 Depth=1
	s_waitcnt vmcnt(0)
	v_mul_lo_u32 v7, v10, s10
	v_mul_lo_u32 v8, v9, s11
	v_mad_u64_u32 v[5:6], null, v9, s10, 0
	s_delay_alu instid0(VALU_DEP_1) | instskip(NEXT) | instid1(VALU_DEP_1)
	v_add3_u32 v6, v6, v8, v7
	v_cmp_lt_i64_e32 vcc_lo, v[1:2], v[5:6]
	v_dual_cndmask_b32 v2, v6, v2 :: v_dual_cndmask_b32 v1, v5, v1
	v_add_co_u32 v5, vcc_lo, v45, s6
	v_add_co_ci_u32_e32 v6, vcc_lo, s7, v46, vcc_lo
	global_store_b64 v[5:6], v[1:2], off
	s_or_b32 exec_lo, exec_lo, s3
	s_and_saveexec_b32 s0, s1
	s_cbranch_execz .LBB108_19
.LBB108_23:                             ;   in Loop: Header=BB108_9 Depth=1
	s_waitcnt vmcnt(0)
	v_mul_lo_u32 v5, v14, s10
	v_mul_lo_u32 v6, v13, s11
	v_mad_u64_u32 v[1:2], null, v13, s10, 0
	s_delay_alu instid0(VALU_DEP_1) | instskip(NEXT) | instid1(VALU_DEP_1)
	v_add3_u32 v2, v2, v6, v5
	v_cmp_lt_i64_e32 vcc_lo, v[11:12], v[1:2]
	v_dual_cndmask_b32 v2, v2, v12 :: v_dual_cndmask_b32 v1, v1, v11
	v_add_co_u32 v5, vcc_lo, v36, s6
	v_add_co_ci_u32_e32 v6, vcc_lo, s7, v37, vcc_lo
	global_store_b64 v[5:6], v[1:2], off
	s_or_b32 exec_lo, exec_lo, s0
	s_and_saveexec_b32 s0, s2
	s_cbranch_execz .LBB108_8
.LBB108_24:                             ;   in Loop: Header=BB108_9 Depth=1
	s_waitcnt vmcnt(0)
	v_mul_lo_u32 v5, v16, s10
	v_mul_lo_u32 v6, v15, s11
	v_mad_u64_u32 v[1:2], null, v15, s10, 0
	s_delay_alu instid0(VALU_DEP_1) | instskip(NEXT) | instid1(VALU_DEP_1)
	v_add3_u32 v2, v2, v6, v5
	v_cmp_lt_i64_e32 vcc_lo, v[3:4], v[1:2]
	v_dual_cndmask_b32 v2, v2, v4 :: v_dual_cndmask_b32 v1, v1, v3
	v_add_co_u32 v3, vcc_lo, v27, s6
	v_add_co_ci_u32_e32 v4, vcc_lo, s7, v28, vcc_lo
	global_store_b64 v[3:4], v[1:2], off
	s_branch .LBB108_8
.LBB108_25:
	s_nop 0
	s_sendmsg sendmsg(MSG_DEALLOC_VGPRS)
	s_endpgm
	.section	.rodata,"a",@progbits
	.p2align	6, 0x0
	.amdhsa_kernel _ZN2at6native12_GLOBAL__N_125multi_tensor_apply_kernelINS1_18TensorListMetadataILi3EEENS1_24BinaryOpListAlphaFunctorIlLi3ELi2ELi2EEEJNS0_7minimumIlEElEEEvT_T0_DpT1_
		.amdhsa_group_segment_fixed_size 0
		.amdhsa_private_segment_fixed_size 0
		.amdhsa_kernarg_size 3416
		.amdhsa_user_sgpr_count 15
		.amdhsa_user_sgpr_dispatch_ptr 0
		.amdhsa_user_sgpr_queue_ptr 0
		.amdhsa_user_sgpr_kernarg_segment_ptr 1
		.amdhsa_user_sgpr_dispatch_id 0
		.amdhsa_user_sgpr_private_segment_size 0
		.amdhsa_wavefront_size32 1
		.amdhsa_uses_dynamic_stack 0
		.amdhsa_enable_private_segment 0
		.amdhsa_system_sgpr_workgroup_id_x 1
		.amdhsa_system_sgpr_workgroup_id_y 0
		.amdhsa_system_sgpr_workgroup_id_z 0
		.amdhsa_system_sgpr_workgroup_info 0
		.amdhsa_system_vgpr_workitem_id 0
		.amdhsa_next_free_vgpr 50
		.amdhsa_next_free_sgpr 28
		.amdhsa_reserve_vcc 1
		.amdhsa_float_round_mode_32 0
		.amdhsa_float_round_mode_16_64 0
		.amdhsa_float_denorm_mode_32 3
		.amdhsa_float_denorm_mode_16_64 3
		.amdhsa_dx10_clamp 1
		.amdhsa_ieee_mode 1
		.amdhsa_fp16_overflow 0
		.amdhsa_workgroup_processor_mode 1
		.amdhsa_memory_ordered 1
		.amdhsa_forward_progress 0
		.amdhsa_shared_vgpr_count 0
		.amdhsa_exception_fp_ieee_invalid_op 0
		.amdhsa_exception_fp_denorm_src 0
		.amdhsa_exception_fp_ieee_div_zero 0
		.amdhsa_exception_fp_ieee_overflow 0
		.amdhsa_exception_fp_ieee_underflow 0
		.amdhsa_exception_fp_ieee_inexact 0
		.amdhsa_exception_int_div_zero 0
	.end_amdhsa_kernel
	.section	.text._ZN2at6native12_GLOBAL__N_125multi_tensor_apply_kernelINS1_18TensorListMetadataILi3EEENS1_24BinaryOpListAlphaFunctorIlLi3ELi2ELi2EEEJNS0_7minimumIlEElEEEvT_T0_DpT1_,"axG",@progbits,_ZN2at6native12_GLOBAL__N_125multi_tensor_apply_kernelINS1_18TensorListMetadataILi3EEENS1_24BinaryOpListAlphaFunctorIlLi3ELi2ELi2EEEJNS0_7minimumIlEElEEEvT_T0_DpT1_,comdat
.Lfunc_end108:
	.size	_ZN2at6native12_GLOBAL__N_125multi_tensor_apply_kernelINS1_18TensorListMetadataILi3EEENS1_24BinaryOpListAlphaFunctorIlLi3ELi2ELi2EEEJNS0_7minimumIlEElEEEvT_T0_DpT1_, .Lfunc_end108-_ZN2at6native12_GLOBAL__N_125multi_tensor_apply_kernelINS1_18TensorListMetadataILi3EEENS1_24BinaryOpListAlphaFunctorIlLi3ELi2ELi2EEEJNS0_7minimumIlEElEEEvT_T0_DpT1_
                                        ; -- End function
	.section	.AMDGPU.csdata,"",@progbits
; Kernel info:
; codeLenInByte = 2168
; NumSgprs: 30
; NumVgprs: 50
; ScratchSize: 0
; MemoryBound: 0
; FloatMode: 240
; IeeeMode: 1
; LDSByteSize: 0 bytes/workgroup (compile time only)
; SGPRBlocks: 3
; VGPRBlocks: 6
; NumSGPRsForWavesPerEU: 30
; NumVGPRsForWavesPerEU: 50
; Occupancy: 16
; WaveLimiterHint : 0
; COMPUTE_PGM_RSRC2:SCRATCH_EN: 0
; COMPUTE_PGM_RSRC2:USER_SGPR: 15
; COMPUTE_PGM_RSRC2:TRAP_HANDLER: 0
; COMPUTE_PGM_RSRC2:TGID_X_EN: 1
; COMPUTE_PGM_RSRC2:TGID_Y_EN: 0
; COMPUTE_PGM_RSRC2:TGID_Z_EN: 0
; COMPUTE_PGM_RSRC2:TIDIG_COMP_CNT: 0
	.section	.text._ZN2at6native12_GLOBAL__N_125multi_tensor_apply_kernelINS1_18TensorListMetadataILi3EEENS1_24BinaryOpListAlphaFunctorIsLi3ELi2ELi2EEEJNS0_7minimumIsEEsEEEvT_T0_DpT1_,"axG",@progbits,_ZN2at6native12_GLOBAL__N_125multi_tensor_apply_kernelINS1_18TensorListMetadataILi3EEENS1_24BinaryOpListAlphaFunctorIsLi3ELi2ELi2EEEJNS0_7minimumIsEEsEEEvT_T0_DpT1_,comdat
	.globl	_ZN2at6native12_GLOBAL__N_125multi_tensor_apply_kernelINS1_18TensorListMetadataILi3EEENS1_24BinaryOpListAlphaFunctorIsLi3ELi2ELi2EEEJNS0_7minimumIsEEsEEEvT_T0_DpT1_ ; -- Begin function _ZN2at6native12_GLOBAL__N_125multi_tensor_apply_kernelINS1_18TensorListMetadataILi3EEENS1_24BinaryOpListAlphaFunctorIsLi3ELi2ELi2EEEJNS0_7minimumIsEEsEEEvT_T0_DpT1_
	.p2align	8
	.type	_ZN2at6native12_GLOBAL__N_125multi_tensor_apply_kernelINS1_18TensorListMetadataILi3EEENS1_24BinaryOpListAlphaFunctorIsLi3ELi2ELi2EEEJNS0_7minimumIsEEsEEEvT_T0_DpT1_,@function
_ZN2at6native12_GLOBAL__N_125multi_tensor_apply_kernelINS1_18TensorListMetadataILi3EEENS1_24BinaryOpListAlphaFunctorIsLi3ELi2ELi2EEEJNS0_7minimumIsEEsEEEvT_T0_DpT1_: ; @_ZN2at6native12_GLOBAL__N_125multi_tensor_apply_kernelINS1_18TensorListMetadataILi3EEENS1_24BinaryOpListAlphaFunctorIsLi3ELi2ELi2EEEJNS0_7minimumIsEEsEEEvT_T0_DpT1_
; %bb.0:
	v_mov_b32_e32 v1, s15
	s_mul_i32 s4, s15, 3
	s_mul_hi_u32 s3, s15, 3
	s_mov_b32 s19, 0
	s_load_b32 s2, s[0:1], 0xc48
	global_load_u8 v1, v1, s[0:1] offset:1536
	s_mov_b32 s21, s19
	s_waitcnt lgkmcnt(0)
	s_lshr_b32 s16, s2, 16
	s_add_u32 s2, s0, s15
	s_addc_u32 s5, s1, 0
	s_add_u32 s2, s2, s4
	s_addc_u32 s3, s5, s3
	s_load_b32 s2, s[2:3], 0x740
	s_waitcnt vmcnt(0)
	v_readfirstlane_b32 s4, v1
	s_delay_alu instid0(VALU_DEP_1)
	s_lshl_b32 s3, s4, 3
	s_clause 0x3
	s_load_b64 s[12:13], s[0:1], s3 offset:0x180
	s_load_b64 s[10:11], s[0:1], s3 offset:0x300
	s_load_b64 s[14:15], s[0:1], s3 offset:0x0
	s_load_b64 s[8:9], s[0:1], s3 offset:0x480
	s_waitcnt lgkmcnt(0)
	s_ashr_i32 s3, s2, 31
	s_delay_alu instid0(SALU_CYCLE_1) | instskip(NEXT) | instid1(SALU_CYCLE_1)
	s_lshl_b64 s[4:5], s[2:3], 17
	s_add_u32 s6, s12, s4
	s_delay_alu instid0(SALU_CYCLE_1) | instskip(SKIP_2) | instid1(SALU_CYCLE_1)
	s_or_b32 s6, s10, s6
	s_and_b32 s18, s14, 7
	s_and_b32 s6, s6, 7
	s_cmp_lg_u32 s6, 0
	s_cselect_b32 s17, -1, 0
	s_lshl_b64 s[2:3], s[2:3], 16
	s_delay_alu instid0(SALU_CYCLE_1) | instskip(SKIP_2) | instid1(SALU_CYCLE_1)
	s_sub_u32 s6, s8, s2
	s_subb_u32 s7, s9, s3
	s_and_b32 s20, s8, 3
	s_or_b64 s[2:3], s[18:19], s[20:21]
	s_delay_alu instid0(SALU_CYCLE_1) | instskip(SKIP_1) | instid1(SALU_CYCLE_1)
	s_cmp_lg_u64 s[2:3], 0
	s_cselect_b32 s2, -1, 0
	s_or_b32 s2, s17, s2
	s_delay_alu instid0(SALU_CYCLE_1)
	s_and_not1_b32 vcc_lo, exec_lo, s2
	s_mov_b32 s2, -1
	s_cbranch_vccz .LBB109_5
; %bb.1:
	v_dual_mov_b32 v2, 0 :: v_dual_lshlrev_b32 v1, 2, v0
	s_mov_b32 s8, exec_lo
	s_delay_alu instid0(VALU_DEP_1)
	v_cmpx_gt_i64_e64 s[6:7], v[1:2]
	s_cbranch_execz .LBB109_4
; %bb.2:
	s_load_b32 s2, s[0:1], 0xc5c
	v_lshlrev_b32_e32 v1, 3, v0
	s_mov_b32 s9, 0
	s_delay_alu instid0(VALU_DEP_1) | instskip(NEXT) | instid1(VALU_DEP_1)
	v_add_co_u32 v3, s3, s4, v1
	v_add_co_ci_u32_e64 v4, null, s5, 0, s3
	s_waitcnt lgkmcnt(0)
	s_and_b32 s2, s2, 0xffff
	s_delay_alu instid0(SALU_CYCLE_1)
	v_add_lshl_u32 v1, v0, s2, 2
	s_lshl_b32 s17, s2, 3
	s_lshl_b32 s18, s2, 2
.LBB109_3:                              ; =>This Inner Loop Header: Depth=1
	v_add_co_u32 v5, vcc_lo, s12, v3
	v_add_co_ci_u32_e32 v6, vcc_lo, s13, v4, vcc_lo
	v_add_co_u32 v7, vcc_lo, s14, v3
	v_add_co_ci_u32_e32 v8, vcc_lo, s15, v4, vcc_lo
	v_add_co_u32 v9, vcc_lo, s10, v3
	global_load_b64 v[5:6], v[5:6], off
	global_load_b64 v[7:8], v[7:8], off
	v_add_co_ci_u32_e32 v10, vcc_lo, s11, v4, vcc_lo
	v_cmp_le_i64_e32 vcc_lo, s[6:7], v[1:2]
	v_cmp_lt_u64_e64 s2, 0xffff, v[1:2]
	v_add_co_u32 v3, s3, v3, s17
	s_delay_alu instid0(VALU_DEP_1) | instskip(SKIP_1) | instid1(VALU_DEP_4)
	v_add_co_ci_u32_e64 v4, s3, 0, v4, s3
	v_add_co_u32 v1, s3, v1, s18
	s_or_b32 s2, vcc_lo, s2
	v_add_co_ci_u32_e64 v2, s3, 0, v2, s3
	s_and_b32 s2, exec_lo, s2
	s_delay_alu instid0(SALU_CYCLE_1)
	s_or_b32 s9, s2, s9
	s_waitcnt vmcnt(1)
	v_lshrrev_b32_e32 v11, 16, v5
	v_mul_lo_u16 v5, v5, s16
	s_waitcnt vmcnt(0)
	v_lshrrev_b32_e32 v12, 16, v7
	v_mul_lo_u16 v13, v6, s16
	v_lshrrev_b32_e32 v6, 16, v6
	v_mul_lo_u16 v11, v11, s16
	v_lshrrev_b32_e32 v14, 16, v8
	v_min_i16 v5, v7, v5
	v_min_i16 v8, v8, v13
	v_mul_lo_u16 v6, v6, s16
	v_min_i16 v7, v12, v11
	s_delay_alu instid0(VALU_DEP_4) | instskip(NEXT) | instid1(VALU_DEP_4)
	v_and_b32_e32 v5, 0xffff, v5
	v_and_b32_e32 v8, 0xffff, v8
	s_delay_alu instid0(VALU_DEP_4) | instskip(NEXT) | instid1(VALU_DEP_4)
	v_min_i16 v6, v14, v6
	v_lshlrev_b32_e32 v7, 16, v7
	s_delay_alu instid0(VALU_DEP_2) | instskip(NEXT) | instid1(VALU_DEP_2)
	v_lshlrev_b32_e32 v6, 16, v6
	v_or_b32_e32 v5, v7, v5
	s_delay_alu instid0(VALU_DEP_2) | instskip(NEXT) | instid1(VALU_DEP_2)
	v_or3_b32 v6, 0, v8, v6
	v_or3_b32 v5, v5, 0, 0
	global_store_b64 v[9:10], v[5:6], off
	s_and_not1_b32 exec_lo, exec_lo, s9
	s_cbranch_execnz .LBB109_3
.LBB109_4:
	s_or_b32 exec_lo, exec_lo, s8
	s_mov_b32 s2, 0
.LBB109_5:
	s_delay_alu instid0(SALU_CYCLE_1)
	s_and_not1_b32 vcc_lo, exec_lo, s2
	s_cbranch_vccnz .LBB109_25
; %bb.6:
	v_cmp_lt_i64_e64 s2, s[6:7], 1
	s_delay_alu instid0(VALU_DEP_1)
	s_and_b32 vcc_lo, exec_lo, s2
	s_cbranch_vccnz .LBB109_25
; %bb.7:
	s_load_b32 s0, s[0:1], 0xc5c
	v_dual_mov_b32 v2, 0 :: v_dual_lshlrev_b32 v1, 1, v0
	v_cmp_gt_u64_e64 s1, 0x10000, s[6:7]
	s_delay_alu instid0(VALU_DEP_2) | instskip(NEXT) | instid1(VALU_DEP_1)
	v_add_co_u32 v3, s2, s14, v1
	v_add_co_ci_u32_e64 v4, null, s15, 0, s2
	v_add_co_u32 v5, s2, s12, v1
	s_delay_alu instid0(VALU_DEP_1) | instskip(SKIP_1) | instid1(VALU_DEP_1)
	v_add_co_ci_u32_e64 v6, null, s13, 0, s2
	v_add_co_u32 v7, s2, s10, v1
	v_add_co_ci_u32_e64 v8, null, s11, 0, s2
	s_waitcnt lgkmcnt(0)
	s_and_b32 s0, s0, 0xffff
	s_and_b32 s1, s1, exec_lo
	v_mad_u64_u32 v[13:14], null, s0, 6, v[1:2]
	s_cselect_b32 s9, s7, 0
	s_cselect_b32 s8, s6, 0x10000
	s_lshl_b32 s17, s0, 2
	s_mul_i32 s2, s0, 3
	v_add_co_u32 v1, s3, s17, v1
	s_delay_alu instid0(VALU_DEP_2) | instskip(NEXT) | instid1(VALU_DEP_3)
	v_add_co_u32 v9, vcc_lo, s14, v13
	v_add_co_ci_u32_e32 v10, vcc_lo, s15, v14, vcc_lo
	v_add_co_u32 v11, vcc_lo, s12, v13
	v_add_co_ci_u32_e32 v12, vcc_lo, s13, v14, vcc_lo
	v_add_co_u32 v13, vcc_lo, s10, v13
	v_add_co_ci_u32_e64 v2, null, 0, 0, s3
	v_add_co_ci_u32_e32 v14, vcc_lo, s11, v14, vcc_lo
	v_add_co_u32 v15, s2, s2, v0
	v_add_co_u32 v17, vcc_lo, s14, v1
	v_add_co_ci_u32_e64 v16, null, 0, 0, s2
	v_add_co_u32 v21, s2, v0, s0
	v_add_co_ci_u32_e32 v18, vcc_lo, s15, v2, vcc_lo
	v_add_co_u32 v19, vcc_lo, s12, v1
	v_add_co_ci_u32_e32 v20, vcc_lo, s13, v2, vcc_lo
	v_add_co_u32 v22, vcc_lo, s10, v1
	v_lshlrev_b32_e32 v1, 1, v21
	s_lshl_b32 s1, s0, 1
	v_add_co_ci_u32_e32 v23, vcc_lo, s11, v2, vcc_lo
	v_add_co_u32 v25, s1, s1, v0
	s_delay_alu instid0(VALU_DEP_1) | instskip(SKIP_1) | instid1(VALU_DEP_1)
	v_add_co_ci_u32_e64 v26, null, 0, 0, s1
	v_add_co_u32 v27, s1, s14, v1
	v_add_co_ci_u32_e64 v28, null, s15, 0, s1
	v_add_co_u32 v29, s1, s12, v1
	s_delay_alu instid0(VALU_DEP_1)
	v_add_co_ci_u32_e64 v30, null, s13, 0, s1
	v_add_co_u32 v31, s1, s10, v1
	v_add_co_ci_u32_e64 v24, null, 0, 0, s2
	v_add_co_ci_u32_e64 v32, null, s11, 0, s1
	s_mov_b32 s12, 0
	s_lshl_b32 s13, s0, 3
	s_mov_b64 s[10:11], 0
	s_branch .LBB109_9
.LBB109_8:                              ;   in Loop: Header=BB109_9 Depth=1
	s_or_b32 exec_lo, exec_lo, s0
	v_add_co_u32 v3, vcc_lo, v3, s13
	v_add_co_ci_u32_e32 v4, vcc_lo, 0, v4, vcc_lo
	v_add_co_u32 v5, vcc_lo, v5, s13
	v_add_co_ci_u32_e32 v6, vcc_lo, 0, v6, vcc_lo
	;; [unrolled: 2-line block ×9, first 2 shown]
	s_add_u32 s10, s10, s17
	v_add_co_u32 v27, vcc_lo, v27, s13
	s_addc_u32 s11, s11, 0
	v_add_co_ci_u32_e32 v28, vcc_lo, 0, v28, vcc_lo
	v_cmp_ge_i64_e64 s0, s[10:11], s[6:7]
	v_cmp_lt_u64_e64 s1, 0xffff, s[10:11]
	v_add_co_u32 v29, vcc_lo, v29, s13
	v_add_co_ci_u32_e32 v30, vcc_lo, 0, v30, vcc_lo
	v_add_co_u32 v31, vcc_lo, v31, s13
	v_add_co_ci_u32_e32 v32, vcc_lo, 0, v32, vcc_lo
	s_or_b32 s0, s0, s1
	s_delay_alu instid0(SALU_CYCLE_1)
	s_and_b32 vcc_lo, exec_lo, s0
	s_cbranch_vccnz .LBB109_25
.LBB109_9:                              ; =>This Inner Loop Header: Depth=1
	v_add_co_u32 v1, s0, v0, s10
	s_delay_alu instid0(VALU_DEP_1) | instskip(SKIP_2) | instid1(VALU_DEP_2)
	v_add_co_ci_u32_e64 v2, null, 0, s11, s0
	s_waitcnt vmcnt(0)
	v_mov_b32_e32 v33, 0
	v_cmp_gt_u64_e32 vcc_lo, s[8:9], v[1:2]
	v_mov_b32_e32 v1, 0
	v_mov_b32_e32 v2, 0
	s_and_saveexec_b32 s1, vcc_lo
	s_cbranch_execz .LBB109_11
; %bb.10:                               ;   in Loop: Header=BB109_9 Depth=1
	v_add_co_u32 v1, s0, v3, s4
	s_delay_alu instid0(VALU_DEP_1) | instskip(SKIP_2) | instid1(VALU_DEP_1)
	v_add_co_ci_u32_e64 v2, s0, s5, v4, s0
	global_load_u16 v34, v[1:2], off
	v_add_co_u32 v1, s0, v5, s4
	v_add_co_ci_u32_e64 v2, s0, s5, v6, s0
	global_load_u16 v33, v[1:2], off
	s_waitcnt vmcnt(1)
	v_dual_mov_b32 v2, s12 :: v_dual_and_b32 v1, 0xffff, v34
.LBB109_11:                             ;   in Loop: Header=BB109_9 Depth=1
	s_or_b32 exec_lo, exec_lo, s1
	v_add_co_u32 v34, s0, v21, s10
	s_delay_alu instid0(VALU_DEP_1) | instskip(NEXT) | instid1(VALU_DEP_1)
	v_add_co_ci_u32_e64 v35, s0, s11, v24, s0
	v_cmp_gt_u64_e64 s0, s[8:9], v[34:35]
	v_dual_mov_b32 v34, 0 :: v_dual_mov_b32 v35, 0
	s_delay_alu instid0(VALU_DEP_2)
	s_and_saveexec_b32 s2, s0
	s_cbranch_execz .LBB109_13
; %bb.12:                               ;   in Loop: Header=BB109_9 Depth=1
	v_add_co_u32 v35, s1, v27, s4
	s_delay_alu instid0(VALU_DEP_1) | instskip(SKIP_2) | instid1(VALU_DEP_1)
	v_add_co_ci_u32_e64 v36, s1, s5, v28, s1
	global_load_u16 v37, v[35:36], off
	v_add_co_u32 v35, s1, v29, s4
	v_add_co_ci_u32_e64 v36, s1, s5, v30, s1
	global_load_u16 v35, v[35:36], off
	s_waitcnt vmcnt(1)
	v_lshl_or_b32 v1, v37, 16, v1
.LBB109_13:                             ;   in Loop: Header=BB109_9 Depth=1
	s_or_b32 exec_lo, exec_lo, s2
	v_add_co_u32 v36, s1, v25, s10
	s_delay_alu instid0(VALU_DEP_1) | instskip(NEXT) | instid1(VALU_DEP_1)
	v_add_co_ci_u32_e64 v37, s1, s11, v26, s1
	v_cmp_gt_u64_e64 s1, s[8:9], v[36:37]
	s_delay_alu instid0(VALU_DEP_1)
	s_and_saveexec_b32 s3, s1
	s_cbranch_execz .LBB109_15
; %bb.14:                               ;   in Loop: Header=BB109_9 Depth=1
	v_add_co_u32 v36, s2, v17, s4
	s_delay_alu instid0(VALU_DEP_1) | instskip(SKIP_2) | instid1(VALU_DEP_1)
	v_add_co_ci_u32_e64 v37, s2, s5, v18, s2
	global_load_u16 v38, v[36:37], off
	v_add_co_u32 v36, s2, v19, s4
	v_add_co_ci_u32_e64 v37, s2, s5, v20, s2
	global_load_u16 v34, v[36:37], off
	s_waitcnt vmcnt(1)
	v_or_b32_e32 v2, v38, v2
.LBB109_15:                             ;   in Loop: Header=BB109_9 Depth=1
	s_or_b32 exec_lo, exec_lo, s3
	v_add_co_u32 v36, s2, v15, s10
	s_delay_alu instid0(VALU_DEP_1) | instskip(NEXT) | instid1(VALU_DEP_1)
	v_add_co_ci_u32_e64 v37, s2, s11, v16, s2
	v_cmp_gt_u64_e64 s2, s[8:9], v[36:37]
	v_mov_b32_e32 v36, 0
	s_delay_alu instid0(VALU_DEP_2)
	s_and_saveexec_b32 s14, s2
	s_cbranch_execnz .LBB109_20
; %bb.16:                               ;   in Loop: Header=BB109_9 Depth=1
	s_or_b32 exec_lo, exec_lo, s14
	s_and_saveexec_b32 s3, vcc_lo
	s_cbranch_execnz .LBB109_21
.LBB109_17:                             ;   in Loop: Header=BB109_9 Depth=1
	s_or_b32 exec_lo, exec_lo, s3
	s_and_saveexec_b32 s3, s0
	s_cbranch_execnz .LBB109_22
.LBB109_18:                             ;   in Loop: Header=BB109_9 Depth=1
	s_or_b32 exec_lo, exec_lo, s3
	s_and_saveexec_b32 s0, s1
	s_cbranch_execnz .LBB109_23
.LBB109_19:                             ;   in Loop: Header=BB109_9 Depth=1
	s_or_b32 exec_lo, exec_lo, s0
	s_and_saveexec_b32 s0, s2
	s_cbranch_execz .LBB109_8
	s_branch .LBB109_24
.LBB109_20:                             ;   in Loop: Header=BB109_9 Depth=1
	v_add_co_u32 v36, s3, v9, s4
	s_delay_alu instid0(VALU_DEP_1) | instskip(SKIP_3) | instid1(VALU_DEP_1)
	v_add_co_ci_u32_e64 v37, s3, s5, v10, s3
	v_mov_b32_e32 v38, 0
	global_load_d16_hi_b16 v38, v[36:37], off
	v_add_co_u32 v36, s3, v11, s4
	v_add_co_ci_u32_e64 v37, s3, s5, v12, s3
	global_load_u16 v36, v[36:37], off
	s_waitcnt vmcnt(1)
	v_or_b32_e32 v2, v38, v2
	s_or_b32 exec_lo, exec_lo, s14
	s_and_saveexec_b32 s3, vcc_lo
	s_cbranch_execz .LBB109_17
.LBB109_21:                             ;   in Loop: Header=BB109_9 Depth=1
	s_waitcnt vmcnt(0)
	v_mul_lo_u16 v33, v33, s16
	v_add_co_u32 v37, vcc_lo, v7, s4
	v_add_co_ci_u32_e32 v38, vcc_lo, s5, v8, vcc_lo
	s_delay_alu instid0(VALU_DEP_3)
	v_min_i16 v33, v1, v33
	global_store_b16 v[37:38], v33, off
	s_or_b32 exec_lo, exec_lo, s3
	s_and_saveexec_b32 s3, s0
	s_cbranch_execz .LBB109_18
.LBB109_22:                             ;   in Loop: Header=BB109_9 Depth=1
	v_lshrrev_b32_e32 v1, 16, v1
	s_waitcnt vmcnt(0)
	v_mul_lo_u16 v33, v35, s16
	v_add_co_u32 v37, vcc_lo, v31, s4
	v_add_co_ci_u32_e32 v38, vcc_lo, s5, v32, vcc_lo
	s_delay_alu instid0(VALU_DEP_3)
	v_min_i16 v1, v1, v33
	global_store_b16 v[37:38], v1, off
	s_or_b32 exec_lo, exec_lo, s3
	s_and_saveexec_b32 s0, s1
	s_cbranch_execz .LBB109_19
.LBB109_23:                             ;   in Loop: Header=BB109_9 Depth=1
	s_waitcnt vmcnt(0)
	v_mul_lo_u16 v1, v34, s16
	v_add_co_u32 v33, vcc_lo, v22, s4
	v_add_co_ci_u32_e32 v34, vcc_lo, s5, v23, vcc_lo
	s_delay_alu instid0(VALU_DEP_3)
	v_min_i16 v1, v2, v1
	global_store_b16 v[33:34], v1, off
	s_or_b32 exec_lo, exec_lo, s0
	s_and_saveexec_b32 s0, s2
	s_cbranch_execz .LBB109_8
.LBB109_24:                             ;   in Loop: Header=BB109_9 Depth=1
	v_lshrrev_b32_e32 v1, 16, v2
	s_waitcnt vmcnt(0)
	v_mul_lo_u16 v2, v36, s16
	s_delay_alu instid0(VALU_DEP_1)
	v_min_i16 v33, v1, v2
	v_add_co_u32 v1, vcc_lo, v13, s4
	v_add_co_ci_u32_e32 v2, vcc_lo, s5, v14, vcc_lo
	global_store_b16 v[1:2], v33, off
	s_branch .LBB109_8
.LBB109_25:
	s_nop 0
	s_sendmsg sendmsg(MSG_DEALLOC_VGPRS)
	s_endpgm
	.section	.rodata,"a",@progbits
	.p2align	6, 0x0
	.amdhsa_kernel _ZN2at6native12_GLOBAL__N_125multi_tensor_apply_kernelINS1_18TensorListMetadataILi3EEENS1_24BinaryOpListAlphaFunctorIsLi3ELi2ELi2EEEJNS0_7minimumIsEEsEEEvT_T0_DpT1_
		.amdhsa_group_segment_fixed_size 0
		.amdhsa_private_segment_fixed_size 0
		.amdhsa_kernarg_size 3408
		.amdhsa_user_sgpr_count 15
		.amdhsa_user_sgpr_dispatch_ptr 0
		.amdhsa_user_sgpr_queue_ptr 0
		.amdhsa_user_sgpr_kernarg_segment_ptr 1
		.amdhsa_user_sgpr_dispatch_id 0
		.amdhsa_user_sgpr_private_segment_size 0
		.amdhsa_wavefront_size32 1
		.amdhsa_uses_dynamic_stack 0
		.amdhsa_enable_private_segment 0
		.amdhsa_system_sgpr_workgroup_id_x 1
		.amdhsa_system_sgpr_workgroup_id_y 0
		.amdhsa_system_sgpr_workgroup_id_z 0
		.amdhsa_system_sgpr_workgroup_info 0
		.amdhsa_system_vgpr_workitem_id 0
		.amdhsa_next_free_vgpr 39
		.amdhsa_next_free_sgpr 22
		.amdhsa_reserve_vcc 1
		.amdhsa_float_round_mode_32 0
		.amdhsa_float_round_mode_16_64 0
		.amdhsa_float_denorm_mode_32 3
		.amdhsa_float_denorm_mode_16_64 3
		.amdhsa_dx10_clamp 1
		.amdhsa_ieee_mode 1
		.amdhsa_fp16_overflow 0
		.amdhsa_workgroup_processor_mode 1
		.amdhsa_memory_ordered 1
		.amdhsa_forward_progress 0
		.amdhsa_shared_vgpr_count 0
		.amdhsa_exception_fp_ieee_invalid_op 0
		.amdhsa_exception_fp_denorm_src 0
		.amdhsa_exception_fp_ieee_div_zero 0
		.amdhsa_exception_fp_ieee_overflow 0
		.amdhsa_exception_fp_ieee_underflow 0
		.amdhsa_exception_fp_ieee_inexact 0
		.amdhsa_exception_int_div_zero 0
	.end_amdhsa_kernel
	.section	.text._ZN2at6native12_GLOBAL__N_125multi_tensor_apply_kernelINS1_18TensorListMetadataILi3EEENS1_24BinaryOpListAlphaFunctorIsLi3ELi2ELi2EEEJNS0_7minimumIsEEsEEEvT_T0_DpT1_,"axG",@progbits,_ZN2at6native12_GLOBAL__N_125multi_tensor_apply_kernelINS1_18TensorListMetadataILi3EEENS1_24BinaryOpListAlphaFunctorIsLi3ELi2ELi2EEEJNS0_7minimumIsEEsEEEvT_T0_DpT1_,comdat
.Lfunc_end109:
	.size	_ZN2at6native12_GLOBAL__N_125multi_tensor_apply_kernelINS1_18TensorListMetadataILi3EEENS1_24BinaryOpListAlphaFunctorIsLi3ELi2ELi2EEEJNS0_7minimumIsEEsEEEvT_T0_DpT1_, .Lfunc_end109-_ZN2at6native12_GLOBAL__N_125multi_tensor_apply_kernelINS1_18TensorListMetadataILi3EEENS1_24BinaryOpListAlphaFunctorIsLi3ELi2ELi2EEEJNS0_7minimumIsEEsEEEvT_T0_DpT1_
                                        ; -- End function
	.section	.AMDGPU.csdata,"",@progbits
; Kernel info:
; codeLenInByte = 1928
; NumSgprs: 24
; NumVgprs: 39
; ScratchSize: 0
; MemoryBound: 0
; FloatMode: 240
; IeeeMode: 1
; LDSByteSize: 0 bytes/workgroup (compile time only)
; SGPRBlocks: 2
; VGPRBlocks: 4
; NumSGPRsForWavesPerEU: 24
; NumVGPRsForWavesPerEU: 39
; Occupancy: 16
; WaveLimiterHint : 0
; COMPUTE_PGM_RSRC2:SCRATCH_EN: 0
; COMPUTE_PGM_RSRC2:USER_SGPR: 15
; COMPUTE_PGM_RSRC2:TRAP_HANDLER: 0
; COMPUTE_PGM_RSRC2:TGID_X_EN: 1
; COMPUTE_PGM_RSRC2:TGID_Y_EN: 0
; COMPUTE_PGM_RSRC2:TGID_Z_EN: 0
; COMPUTE_PGM_RSRC2:TIDIG_COMP_CNT: 0
	.section	.text._ZN2at6native12_GLOBAL__N_125multi_tensor_apply_kernelINS1_18TensorListMetadataILi3EEENS1_24BinaryOpListAlphaFunctorIdLi3ELi2ELi2EEEJNS0_7minimumIdEEdEEEvT_T0_DpT1_,"axG",@progbits,_ZN2at6native12_GLOBAL__N_125multi_tensor_apply_kernelINS1_18TensorListMetadataILi3EEENS1_24BinaryOpListAlphaFunctorIdLi3ELi2ELi2EEEJNS0_7minimumIdEEdEEEvT_T0_DpT1_,comdat
	.globl	_ZN2at6native12_GLOBAL__N_125multi_tensor_apply_kernelINS1_18TensorListMetadataILi3EEENS1_24BinaryOpListAlphaFunctorIdLi3ELi2ELi2EEEJNS0_7minimumIdEEdEEEvT_T0_DpT1_ ; -- Begin function _ZN2at6native12_GLOBAL__N_125multi_tensor_apply_kernelINS1_18TensorListMetadataILi3EEENS1_24BinaryOpListAlphaFunctorIdLi3ELi2ELi2EEEJNS0_7minimumIdEEdEEEvT_T0_DpT1_
	.p2align	8
	.type	_ZN2at6native12_GLOBAL__N_125multi_tensor_apply_kernelINS1_18TensorListMetadataILi3EEENS1_24BinaryOpListAlphaFunctorIdLi3ELi2ELi2EEEJNS0_7minimumIdEEdEEEvT_T0_DpT1_,@function
_ZN2at6native12_GLOBAL__N_125multi_tensor_apply_kernelINS1_18TensorListMetadataILi3EEENS1_24BinaryOpListAlphaFunctorIdLi3ELi2ELi2EEEJNS0_7minimumIdEEdEEEvT_T0_DpT1_: ; @_ZN2at6native12_GLOBAL__N_125multi_tensor_apply_kernelINS1_18TensorListMetadataILi3EEENS1_24BinaryOpListAlphaFunctorIdLi3ELi2ELi2EEEJNS0_7minimumIdEEdEEEvT_T0_DpT1_
; %bb.0:
	v_mov_b32_e32 v1, s15
	s_add_u32 s2, s0, s15
	s_mul_hi_u32 s3, s15, 3
	s_mul_i32 s15, s15, 3
	s_addc_u32 s4, s1, 0
	global_load_u8 v1, v1, s[0:1] offset:1536
	s_load_b64 s[16:17], s[0:1], 0xc50
	s_add_u32 s2, s2, s15
	s_addc_u32 s3, s4, s3
	s_load_b32 s2, s[2:3], 0x740
	s_waitcnt vmcnt(0)
	v_readfirstlane_b32 s3, v1
	s_delay_alu instid0(VALU_DEP_1)
	s_lshl_b32 s3, s3, 3
	s_clause 0x3
	s_load_b64 s[18:19], s[0:1], s3 offset:0x0
	s_load_b64 s[20:21], s[0:1], s3 offset:0x180
	;; [unrolled: 1-line block ×4, first 2 shown]
	s_waitcnt lgkmcnt(0)
	s_ashr_i32 s3, s2, 31
	s_delay_alu instid0(SALU_CYCLE_1) | instskip(NEXT) | instid1(SALU_CYCLE_1)
	s_lshl_b64 s[12:13], s[2:3], 19
	s_add_u32 s24, s18, s12
	s_addc_u32 s25, s19, s13
	s_and_b32 s6, s24, 31
	s_add_u32 s26, s20, s12
	s_addc_u32 s27, s21, s13
	s_add_u32 s28, s22, s12
	s_addc_u32 s29, s23, s13
	s_or_b32 s7, s28, s26
	s_delay_alu instid0(SALU_CYCLE_1) | instskip(NEXT) | instid1(SALU_CYCLE_1)
	s_and_b32 s7, s7, 31
	s_cmp_lg_u32 s7, 0
	s_mov_b32 s7, 0
	s_cselect_b32 s10, -1, 0
	s_lshl_b64 s[2:3], s[2:3], 16
	s_mov_b32 s9, s7
	s_sub_u32 s14, s4, s2
	s_subb_u32 s15, s5, s3
	s_and_b32 s8, s4, 3
	s_delay_alu instid0(SALU_CYCLE_1) | instskip(NEXT) | instid1(SALU_CYCLE_1)
	s_or_b64 s[2:3], s[6:7], s[8:9]
	s_cmp_lg_u64 s[2:3], 0
	s_cselect_b32 s2, -1, 0
	s_delay_alu instid0(SALU_CYCLE_1) | instskip(NEXT) | instid1(SALU_CYCLE_1)
	s_or_b32 s2, s10, s2
	s_and_not1_b32 vcc_lo, exec_lo, s2
	s_mov_b32 s2, -1
	s_cbranch_vccz .LBB110_5
; %bb.1:
	v_dual_mov_b32 v2, 0 :: v_dual_lshlrev_b32 v1, 2, v0
	s_mov_b32 s30, exec_lo
	s_delay_alu instid0(VALU_DEP_1)
	v_cmpx_gt_i64_e64 s[14:15], v[1:2]
	s_cbranch_execz .LBB110_4
; %bb.2:
	s_load_b32 s2, s[0:1], 0xc64
	v_lshlrev_b32_e32 v3, 5, v0
	s_mov_b32 s31, 0
	s_waitcnt lgkmcnt(0)
	s_and_b32 s2, s2, 0xffff
	s_delay_alu instid0(SALU_CYCLE_1)
	v_add_lshl_u32 v1, v0, s2, 2
	s_lshl_b32 s33, s2, 2
	s_lshl_b32 s34, s2, 5
.LBB110_3:                              ; =>This Inner Loop Header: Depth=1
	v_add_co_u32 v8, s2, s26, v3
	s_delay_alu instid0(VALU_DEP_1) | instskip(SKIP_1) | instid1(VALU_DEP_1)
	v_add_co_ci_u32_e64 v9, null, s27, 0, s2
	v_add_co_u32 v16, s2, s24, v3
	v_add_co_ci_u32_e64 v17, null, s25, 0, s2
	s_clause 0x1
	global_load_b128 v[4:7], v[8:9], off
	global_load_b128 v[8:11], v[8:9], off offset:16
	s_clause 0x1
	global_load_b128 v[12:15], v[16:17], off
	global_load_b128 v[16:19], v[16:17], off offset:16
	v_cmp_le_i64_e64 s9, s[14:15], v[1:2]
	v_cmp_lt_u64_e64 s10, 0xffff, v[1:2]
	v_add_co_u32 v20, s11, s28, v3
	s_delay_alu instid0(VALU_DEP_1) | instskip(SKIP_1) | instid1(VALU_DEP_4)
	v_add_co_ci_u32_e64 v21, null, s29, 0, s11
	v_add_co_u32 v1, s11, v1, s33
	s_or_b32 s9, s9, s10
	v_add_co_ci_u32_e64 v2, s11, 0, v2, s11
	s_waitcnt vmcnt(3)
	v_mul_f64 v[4:5], v[4:5], s[16:17]
	v_mul_f64 v[6:7], v[6:7], s[16:17]
	s_waitcnt vmcnt(2)
	v_mul_f64 v[8:9], v[8:9], s[16:17]
	v_mul_f64 v[10:11], v[10:11], s[16:17]
	s_waitcnt vmcnt(1)
	v_cmp_u_f64_e32 vcc_lo, v[12:13], v[12:13]
	v_cmp_u_f64_e64 s2, v[14:15], v[14:15]
	s_waitcnt vmcnt(0)
	v_cmp_u_f64_e64 s3, v[16:17], v[16:17]
	v_cmp_u_f64_e64 s4, v[18:19], v[18:19]
	v_cmp_lt_f64_e64 s5, v[12:13], v[4:5]
	v_cmp_lt_f64_e64 s6, v[14:15], v[6:7]
	;; [unrolled: 1-line block ×4, first 2 shown]
	s_delay_alu instid0(VALU_DEP_4) | instskip(NEXT) | instid1(VALU_DEP_3)
	s_or_b32 vcc_lo, vcc_lo, s5
	s_or_b32 s2, s2, s6
	s_delay_alu instid0(VALU_DEP_2) | instskip(NEXT) | instid1(VALU_DEP_1)
	s_or_b32 s3, s3, s7
	s_or_b32 s4, s4, s8
	s_add_u32 s24, s24, s34
	s_addc_u32 s25, s25, 0
	s_add_u32 s28, s28, s34
	s_addc_u32 s29, s29, 0
	s_add_u32 s26, s26, s34
	v_dual_cndmask_b32 v5, v5, v13 :: v_dual_cndmask_b32 v4, v4, v12
	v_cndmask_b32_e64 v7, v7, v15, s2
	v_cndmask_b32_e64 v6, v6, v14, s2
	s_addc_u32 s27, s27, 0
	v_cndmask_b32_e64 v9, v9, v17, s3
	v_cndmask_b32_e64 v11, v11, v19, s4
	;; [unrolled: 1-line block ×4, first 2 shown]
	s_and_b32 s2, exec_lo, s9
	s_clause 0x1
	global_store_b128 v[20:21], v[4:7], off
	global_store_b128 v[20:21], v[8:11], off offset:16
	s_or_b32 s31, s2, s31
	s_delay_alu instid0(SALU_CYCLE_1)
	s_and_not1_b32 exec_lo, exec_lo, s31
	s_cbranch_execnz .LBB110_3
.LBB110_4:
	s_or_b32 exec_lo, exec_lo, s30
	s_mov_b32 s2, 0
.LBB110_5:
	s_delay_alu instid0(SALU_CYCLE_1)
	s_and_not1_b32 vcc_lo, exec_lo, s2
	s_cbranch_vccnz .LBB110_25
; %bb.6:
	v_cmp_lt_i64_e64 s2, s[14:15], 1
	s_delay_alu instid0(VALU_DEP_1)
	s_and_b32 vcc_lo, exec_lo, s2
	s_cbranch_vccnz .LBB110_25
; %bb.7:
	s_load_b32 s0, s[0:1], 0xc64
	v_dual_mov_b32 v2, 0 :: v_dual_lshlrev_b32 v1, 3, v0
	v_cmp_gt_u64_e64 s1, 0x10000, s[14:15]
	s_mov_b64 s[6:7], 0
	s_delay_alu instid0(VALU_DEP_2) | instskip(NEXT) | instid1(VALU_DEP_1)
	v_add_co_u32 v17, s2, s18, v1
	v_add_co_ci_u32_e64 v18, null, s19, 0, s2
	v_add_co_u32 v19, s2, s20, v1
	s_delay_alu instid0(VALU_DEP_1) | instskip(SKIP_1) | instid1(VALU_DEP_1)
	v_add_co_ci_u32_e64 v20, null, s21, 0, s2
	v_add_co_u32 v21, s2, s22, v1
	v_add_co_ci_u32_e64 v22, null, s23, 0, s2
	s_waitcnt lgkmcnt(0)
	s_and_b32 s0, s0, 0xffff
	s_and_b32 s1, s1, exec_lo
	v_mad_u64_u32 v[3:4], null, s0, 24, v[1:2]
	s_cselect_b32 s5, s15, 0
	s_cselect_b32 s4, s14, 0x10000
	s_lshl_b32 s3, s0, 4
	s_mul_i32 s2, s0, 3
	v_add_co_u32 v1, s3, s3, v1
	s_delay_alu instid0(VALU_DEP_2) | instskip(NEXT) | instid1(VALU_DEP_3)
	v_add_co_u32 v23, vcc_lo, s18, v3
	v_add_co_ci_u32_e32 v24, vcc_lo, s19, v4, vcc_lo
	v_add_co_u32 v25, vcc_lo, s20, v3
	v_add_co_ci_u32_e32 v26, vcc_lo, s21, v4, vcc_lo
	v_add_co_u32 v27, vcc_lo, s22, v3
	v_add_co_ci_u32_e64 v2, null, 0, 0, s3
	v_add_co_ci_u32_e32 v28, vcc_lo, s23, v4, vcc_lo
	v_add_co_u32 v29, s2, s2, v0
	v_add_co_u32 v31, vcc_lo, s18, v1
	v_add_co_ci_u32_e64 v30, null, 0, 0, s2
	v_add_co_u32 v35, s2, v0, s0
	v_add_co_ci_u32_e32 v32, vcc_lo, s19, v2, vcc_lo
	v_add_co_u32 v33, vcc_lo, s20, v1
	v_add_co_ci_u32_e32 v34, vcc_lo, s21, v2, vcc_lo
	v_add_co_u32 v36, vcc_lo, s22, v1
	v_lshlrev_b32_e32 v1, 3, v35
	s_lshl_b32 s1, s0, 1
	v_add_co_ci_u32_e32 v37, vcc_lo, s23, v2, vcc_lo
	v_add_co_u32 v39, s1, s1, v0
	s_delay_alu instid0(VALU_DEP_1) | instskip(SKIP_1) | instid1(VALU_DEP_1)
	v_add_co_ci_u32_e64 v40, null, 0, 0, s1
	v_add_co_u32 v41, s1, s18, v1
	v_add_co_ci_u32_e64 v42, null, s19, 0, s1
	v_add_co_u32 v43, s1, s20, v1
	s_delay_alu instid0(VALU_DEP_1)
	v_add_co_ci_u32_e64 v44, null, s21, 0, s1
	v_add_co_u32 v45, s1, s22, v1
	v_add_co_ci_u32_e64 v38, null, 0, 0, s2
	v_add_co_ci_u32_e64 v46, null, s23, 0, s1
	s_lshl_b32 s8, s0, 2
	s_lshl_b32 s9, s0, 5
	s_branch .LBB110_9
.LBB110_8:                              ;   in Loop: Header=BB110_9 Depth=1
	s_or_b32 exec_lo, exec_lo, s1
	v_add_co_u32 v17, vcc_lo, v17, s9
	v_add_co_ci_u32_e32 v18, vcc_lo, 0, v18, vcc_lo
	v_add_co_u32 v19, vcc_lo, v19, s9
	v_add_co_ci_u32_e32 v20, vcc_lo, 0, v20, vcc_lo
	;; [unrolled: 2-line block ×9, first 2 shown]
	s_add_u32 s6, s6, s8
	v_add_co_u32 v41, vcc_lo, v41, s9
	s_addc_u32 s7, s7, 0
	v_add_co_ci_u32_e32 v42, vcc_lo, 0, v42, vcc_lo
	v_cmp_ge_i64_e64 s0, s[6:7], s[14:15]
	v_cmp_lt_u64_e64 s1, 0xffff, s[6:7]
	v_add_co_u32 v43, vcc_lo, v43, s9
	v_add_co_ci_u32_e32 v44, vcc_lo, 0, v44, vcc_lo
	v_add_co_u32 v45, vcc_lo, v45, s9
	v_add_co_ci_u32_e32 v46, vcc_lo, 0, v46, vcc_lo
	s_or_b32 s0, s0, s1
	s_delay_alu instid0(SALU_CYCLE_1)
	s_and_b32 vcc_lo, exec_lo, s0
	s_cbranch_vccnz .LBB110_25
.LBB110_9:                              ; =>This Inner Loop Header: Depth=1
	s_waitcnt vmcnt(1)
	v_add_co_u32 v3, s0, v0, s6
	s_delay_alu instid0(VALU_DEP_1) | instskip(SKIP_2) | instid1(VALU_DEP_3)
	v_add_co_ci_u32_e64 v4, null, 0, s7, s0
	v_mov_b32_e32 v1, 0
	v_mov_b32_e32 v2, 0
	v_cmp_gt_u64_e32 vcc_lo, s[4:5], v[3:4]
	s_delay_alu instid0(VALU_DEP_2)
	v_dual_mov_b32 v6, v2 :: v_dual_mov_b32 v5, v1
	s_waitcnt vmcnt(0)
	v_dual_mov_b32 v8, v2 :: v_dual_mov_b32 v7, v1
	s_and_saveexec_b32 s1, vcc_lo
	s_cbranch_execz .LBB110_11
; %bb.10:                               ;   in Loop: Header=BB110_9 Depth=1
	v_add_co_u32 v3, s0, v17, s12
	s_delay_alu instid0(VALU_DEP_1) | instskip(SKIP_1) | instid1(VALU_DEP_1)
	v_add_co_ci_u32_e64 v4, s0, s13, v18, s0
	v_add_co_u32 v7, s0, v19, s12
	v_add_co_ci_u32_e64 v8, s0, s13, v20, s0
	global_load_b64 v[5:6], v[3:4], off
	global_load_b64 v[7:8], v[7:8], off
.LBB110_11:                             ;   in Loop: Header=BB110_9 Depth=1
	s_or_b32 exec_lo, exec_lo, s1
	v_add_co_u32 v3, s0, v35, s6
	s_delay_alu instid0(VALU_DEP_1) | instskip(SKIP_1) | instid1(VALU_DEP_2)
	v_add_co_ci_u32_e64 v4, s0, s7, v38, s0
	v_dual_mov_b32 v10, v2 :: v_dual_mov_b32 v9, v1
	v_cmp_gt_u64_e64 s0, s[4:5], v[3:4]
	s_delay_alu instid0(VALU_DEP_1)
	s_and_saveexec_b32 s2, s0
	s_cbranch_execz .LBB110_13
; %bb.12:                               ;   in Loop: Header=BB110_9 Depth=1
	v_add_co_u32 v1, s1, v41, s12
	s_delay_alu instid0(VALU_DEP_1) | instskip(SKIP_1) | instid1(VALU_DEP_1)
	v_add_co_ci_u32_e64 v2, s1, s13, v42, s1
	v_add_co_u32 v3, s1, v43, s12
	v_add_co_ci_u32_e64 v4, s1, s13, v44, s1
	global_load_b64 v[1:2], v[1:2], off
	global_load_b64 v[9:10], v[3:4], off
.LBB110_13:                             ;   in Loop: Header=BB110_9 Depth=1
	s_or_b32 exec_lo, exec_lo, s2
	v_add_co_u32 v11, s1, v39, s6
	s_delay_alu instid0(VALU_DEP_1) | instskip(SKIP_2) | instid1(VALU_DEP_3)
	v_add_co_ci_u32_e64 v12, s1, s7, v40, s1
	v_mov_b32_e32 v3, 0
	v_mov_b32_e32 v4, 0
	v_cmp_gt_u64_e64 s1, s[4:5], v[11:12]
	s_delay_alu instid0(VALU_DEP_2) | instskip(SKIP_1) | instid1(VALU_DEP_3)
	v_dual_mov_b32 v12, v4 :: v_dual_mov_b32 v11, v3
	v_dual_mov_b32 v14, v4 :: v_dual_mov_b32 v13, v3
	s_and_saveexec_b32 s3, s1
	s_cbranch_execz .LBB110_15
; %bb.14:                               ;   in Loop: Header=BB110_9 Depth=1
	v_add_co_u32 v11, s2, v31, s12
	s_delay_alu instid0(VALU_DEP_1) | instskip(SKIP_1) | instid1(VALU_DEP_1)
	v_add_co_ci_u32_e64 v12, s2, s13, v32, s2
	v_add_co_u32 v13, s2, v33, s12
	v_add_co_ci_u32_e64 v14, s2, s13, v34, s2
	global_load_b64 v[11:12], v[11:12], off
	global_load_b64 v[13:14], v[13:14], off
.LBB110_15:                             ;   in Loop: Header=BB110_9 Depth=1
	s_or_b32 exec_lo, exec_lo, s3
	v_add_co_u32 v15, s2, v29, s6
	s_delay_alu instid0(VALU_DEP_1) | instskip(NEXT) | instid1(VALU_DEP_1)
	v_add_co_ci_u32_e64 v16, s2, s7, v30, s2
	v_cmp_gt_u64_e64 s2, s[4:5], v[15:16]
	v_dual_mov_b32 v16, v4 :: v_dual_mov_b32 v15, v3
	s_delay_alu instid0(VALU_DEP_2)
	s_and_saveexec_b32 s10, s2
	s_cbranch_execnz .LBB110_20
; %bb.16:                               ;   in Loop: Header=BB110_9 Depth=1
	s_or_b32 exec_lo, exec_lo, s10
	s_and_saveexec_b32 s10, vcc_lo
	s_cbranch_execnz .LBB110_21
.LBB110_17:                             ;   in Loop: Header=BB110_9 Depth=1
	s_or_b32 exec_lo, exec_lo, s10
	s_and_saveexec_b32 s3, s0
	s_cbranch_execnz .LBB110_22
.LBB110_18:                             ;   in Loop: Header=BB110_9 Depth=1
	s_or_b32 exec_lo, exec_lo, s3
	s_and_saveexec_b32 s3, s1
	s_cbranch_execnz .LBB110_23
.LBB110_19:                             ;   in Loop: Header=BB110_9 Depth=1
	s_or_b32 exec_lo, exec_lo, s3
	s_and_saveexec_b32 s1, s2
	s_cbranch_execz .LBB110_8
	s_branch .LBB110_24
.LBB110_20:                             ;   in Loop: Header=BB110_9 Depth=1
	v_add_co_u32 v3, s3, v23, s12
	s_delay_alu instid0(VALU_DEP_1) | instskip(SKIP_1) | instid1(VALU_DEP_1)
	v_add_co_ci_u32_e64 v4, s3, s13, v24, s3
	v_add_co_u32 v15, s3, v25, s12
	v_add_co_ci_u32_e64 v16, s3, s13, v26, s3
	global_load_b64 v[3:4], v[3:4], off
	global_load_b64 v[15:16], v[15:16], off
	s_or_b32 exec_lo, exec_lo, s10
	s_and_saveexec_b32 s10, vcc_lo
	s_cbranch_execz .LBB110_17
.LBB110_21:                             ;   in Loop: Header=BB110_9 Depth=1
	s_waitcnt vmcnt(0)
	v_mul_f64 v[7:8], v[7:8], s[16:17]
	v_cmp_u_f64_e32 vcc_lo, v[5:6], v[5:6]
	s_delay_alu instid0(VALU_DEP_2) | instskip(NEXT) | instid1(VALU_DEP_1)
	v_cmp_lt_f64_e64 s3, v[5:6], v[7:8]
	s_or_b32 vcc_lo, vcc_lo, s3
	v_dual_cndmask_b32 v6, v8, v6 :: v_dual_cndmask_b32 v5, v7, v5
	v_add_co_u32 v7, vcc_lo, v21, s12
	v_add_co_ci_u32_e32 v8, vcc_lo, s13, v22, vcc_lo
	global_store_b64 v[7:8], v[5:6], off
	s_or_b32 exec_lo, exec_lo, s10
	s_and_saveexec_b32 s3, s0
	s_cbranch_execz .LBB110_18
.LBB110_22:                             ;   in Loop: Header=BB110_9 Depth=1
	s_waitcnt vmcnt(0)
	v_mul_f64 v[5:6], v[9:10], s[16:17]
	v_cmp_u_f64_e32 vcc_lo, v[1:2], v[1:2]
	s_delay_alu instid0(VALU_DEP_2) | instskip(NEXT) | instid1(VALU_DEP_1)
	v_cmp_lt_f64_e64 s0, v[1:2], v[5:6]
	s_or_b32 vcc_lo, vcc_lo, s0
	v_dual_cndmask_b32 v2, v6, v2 :: v_dual_cndmask_b32 v1, v5, v1
	v_add_co_u32 v5, vcc_lo, v45, s12
	v_add_co_ci_u32_e32 v6, vcc_lo, s13, v46, vcc_lo
	global_store_b64 v[5:6], v[1:2], off
	s_or_b32 exec_lo, exec_lo, s3
	s_and_saveexec_b32 s3, s1
	s_cbranch_execz .LBB110_19
.LBB110_23:                             ;   in Loop: Header=BB110_9 Depth=1
	s_waitcnt vmcnt(0)
	v_mul_f64 v[1:2], v[13:14], s[16:17]
	v_cmp_u_f64_e32 vcc_lo, v[11:12], v[11:12]
	s_delay_alu instid0(VALU_DEP_2) | instskip(NEXT) | instid1(VALU_DEP_1)
	v_cmp_lt_f64_e64 s0, v[11:12], v[1:2]
	s_or_b32 vcc_lo, vcc_lo, s0
	v_dual_cndmask_b32 v2, v2, v12 :: v_dual_cndmask_b32 v1, v1, v11
	v_add_co_u32 v5, vcc_lo, v36, s12
	v_add_co_ci_u32_e32 v6, vcc_lo, s13, v37, vcc_lo
	global_store_b64 v[5:6], v[1:2], off
	s_or_b32 exec_lo, exec_lo, s3
	s_and_saveexec_b32 s1, s2
	s_cbranch_execz .LBB110_8
.LBB110_24:                             ;   in Loop: Header=BB110_9 Depth=1
	s_waitcnt vmcnt(0)
	v_mul_f64 v[1:2], v[15:16], s[16:17]
	v_cmp_u_f64_e32 vcc_lo, v[3:4], v[3:4]
	s_delay_alu instid0(VALU_DEP_2) | instskip(NEXT) | instid1(VALU_DEP_1)
	v_cmp_lt_f64_e64 s0, v[3:4], v[1:2]
	s_or_b32 vcc_lo, vcc_lo, s0
	v_dual_cndmask_b32 v2, v2, v4 :: v_dual_cndmask_b32 v1, v1, v3
	v_add_co_u32 v3, vcc_lo, v27, s12
	v_add_co_ci_u32_e32 v4, vcc_lo, s13, v28, vcc_lo
	global_store_b64 v[3:4], v[1:2], off
	s_branch .LBB110_8
.LBB110_25:
	s_nop 0
	s_sendmsg sendmsg(MSG_DEALLOC_VGPRS)
	s_endpgm
	.section	.rodata,"a",@progbits
	.p2align	6, 0x0
	.amdhsa_kernel _ZN2at6native12_GLOBAL__N_125multi_tensor_apply_kernelINS1_18TensorListMetadataILi3EEENS1_24BinaryOpListAlphaFunctorIdLi3ELi2ELi2EEEJNS0_7minimumIdEEdEEEvT_T0_DpT1_
		.amdhsa_group_segment_fixed_size 0
		.amdhsa_private_segment_fixed_size 0
		.amdhsa_kernarg_size 3416
		.amdhsa_user_sgpr_count 15
		.amdhsa_user_sgpr_dispatch_ptr 0
		.amdhsa_user_sgpr_queue_ptr 0
		.amdhsa_user_sgpr_kernarg_segment_ptr 1
		.amdhsa_user_sgpr_dispatch_id 0
		.amdhsa_user_sgpr_private_segment_size 0
		.amdhsa_wavefront_size32 1
		.amdhsa_uses_dynamic_stack 0
		.amdhsa_enable_private_segment 0
		.amdhsa_system_sgpr_workgroup_id_x 1
		.amdhsa_system_sgpr_workgroup_id_y 0
		.amdhsa_system_sgpr_workgroup_id_z 0
		.amdhsa_system_sgpr_workgroup_info 0
		.amdhsa_system_vgpr_workitem_id 0
		.amdhsa_next_free_vgpr 47
		.amdhsa_next_free_sgpr 35
		.amdhsa_reserve_vcc 1
		.amdhsa_float_round_mode_32 0
		.amdhsa_float_round_mode_16_64 0
		.amdhsa_float_denorm_mode_32 3
		.amdhsa_float_denorm_mode_16_64 3
		.amdhsa_dx10_clamp 1
		.amdhsa_ieee_mode 1
		.amdhsa_fp16_overflow 0
		.amdhsa_workgroup_processor_mode 1
		.amdhsa_memory_ordered 1
		.amdhsa_forward_progress 0
		.amdhsa_shared_vgpr_count 0
		.amdhsa_exception_fp_ieee_invalid_op 0
		.amdhsa_exception_fp_denorm_src 0
		.amdhsa_exception_fp_ieee_div_zero 0
		.amdhsa_exception_fp_ieee_overflow 0
		.amdhsa_exception_fp_ieee_underflow 0
		.amdhsa_exception_fp_ieee_inexact 0
		.amdhsa_exception_int_div_zero 0
	.end_amdhsa_kernel
	.section	.text._ZN2at6native12_GLOBAL__N_125multi_tensor_apply_kernelINS1_18TensorListMetadataILi3EEENS1_24BinaryOpListAlphaFunctorIdLi3ELi2ELi2EEEJNS0_7minimumIdEEdEEEvT_T0_DpT1_,"axG",@progbits,_ZN2at6native12_GLOBAL__N_125multi_tensor_apply_kernelINS1_18TensorListMetadataILi3EEENS1_24BinaryOpListAlphaFunctorIdLi3ELi2ELi2EEEJNS0_7minimumIdEEdEEEvT_T0_DpT1_,comdat
.Lfunc_end110:
	.size	_ZN2at6native12_GLOBAL__N_125multi_tensor_apply_kernelINS1_18TensorListMetadataILi3EEENS1_24BinaryOpListAlphaFunctorIdLi3ELi2ELi2EEEJNS0_7minimumIdEEdEEEvT_T0_DpT1_, .Lfunc_end110-_ZN2at6native12_GLOBAL__N_125multi_tensor_apply_kernelINS1_18TensorListMetadataILi3EEENS1_24BinaryOpListAlphaFunctorIdLi3ELi2ELi2EEEJNS0_7minimumIdEEdEEEvT_T0_DpT1_
                                        ; -- End function
	.section	.AMDGPU.csdata,"",@progbits
; Kernel info:
; codeLenInByte = 2076
; NumSgprs: 37
; NumVgprs: 47
; ScratchSize: 0
; MemoryBound: 0
; FloatMode: 240
; IeeeMode: 1
; LDSByteSize: 0 bytes/workgroup (compile time only)
; SGPRBlocks: 4
; VGPRBlocks: 5
; NumSGPRsForWavesPerEU: 37
; NumVGPRsForWavesPerEU: 47
; Occupancy: 16
; WaveLimiterHint : 0
; COMPUTE_PGM_RSRC2:SCRATCH_EN: 0
; COMPUTE_PGM_RSRC2:USER_SGPR: 15
; COMPUTE_PGM_RSRC2:TRAP_HANDLER: 0
; COMPUTE_PGM_RSRC2:TGID_X_EN: 1
; COMPUTE_PGM_RSRC2:TGID_Y_EN: 0
; COMPUTE_PGM_RSRC2:TGID_Z_EN: 0
; COMPUTE_PGM_RSRC2:TIDIG_COMP_CNT: 0
	.section	.text._ZN2at6native12_GLOBAL__N_125multi_tensor_apply_kernelINS1_18TensorListMetadataILi3EEENS1_24BinaryOpListAlphaFunctorIfLi3ELi2ELi2EEEJNS0_7minimumIfEEfEEEvT_T0_DpT1_,"axG",@progbits,_ZN2at6native12_GLOBAL__N_125multi_tensor_apply_kernelINS1_18TensorListMetadataILi3EEENS1_24BinaryOpListAlphaFunctorIfLi3ELi2ELi2EEEJNS0_7minimumIfEEfEEEvT_T0_DpT1_,comdat
	.globl	_ZN2at6native12_GLOBAL__N_125multi_tensor_apply_kernelINS1_18TensorListMetadataILi3EEENS1_24BinaryOpListAlphaFunctorIfLi3ELi2ELi2EEEJNS0_7minimumIfEEfEEEvT_T0_DpT1_ ; -- Begin function _ZN2at6native12_GLOBAL__N_125multi_tensor_apply_kernelINS1_18TensorListMetadataILi3EEENS1_24BinaryOpListAlphaFunctorIfLi3ELi2ELi2EEEJNS0_7minimumIfEEfEEEvT_T0_DpT1_
	.p2align	8
	.type	_ZN2at6native12_GLOBAL__N_125multi_tensor_apply_kernelINS1_18TensorListMetadataILi3EEENS1_24BinaryOpListAlphaFunctorIfLi3ELi2ELi2EEEJNS0_7minimumIfEEfEEEvT_T0_DpT1_,@function
_ZN2at6native12_GLOBAL__N_125multi_tensor_apply_kernelINS1_18TensorListMetadataILi3EEENS1_24BinaryOpListAlphaFunctorIfLi3ELi2ELi2EEEJNS0_7minimumIfEEfEEEvT_T0_DpT1_: ; @_ZN2at6native12_GLOBAL__N_125multi_tensor_apply_kernelINS1_18TensorListMetadataILi3EEENS1_24BinaryOpListAlphaFunctorIfLi3ELi2ELi2EEEJNS0_7minimumIfEEfEEEvT_T0_DpT1_
; %bb.0:
	v_mov_b32_e32 v1, s15
	s_add_u32 s2, s0, s15
	s_mul_hi_u32 s3, s15, 3
	s_mul_i32 s15, s15, 3
	s_addc_u32 s4, s1, 0
	global_load_u8 v1, v1, s[0:1] offset:1536
	s_load_b32 s20, s[0:1], 0xc4c
	s_add_u32 s2, s2, s15
	s_addc_u32 s3, s4, s3
	s_load_b32 s2, s[2:3], 0x740
	s_waitcnt vmcnt(0)
	v_readfirstlane_b32 s3, v1
	s_delay_alu instid0(VALU_DEP_1)
	s_lshl_b32 s3, s3, 3
	s_clause 0x3
	s_load_b64 s[14:15], s[0:1], s3 offset:0x0
	s_load_b64 s[16:17], s[0:1], s3 offset:0x180
	s_load_b64 s[18:19], s[0:1], s3 offset:0x300
	s_load_b64 s[4:5], s[0:1], s3 offset:0x480
	s_waitcnt lgkmcnt(0)
	s_ashr_i32 s3, s2, 31
	s_delay_alu instid0(SALU_CYCLE_1) | instskip(NEXT) | instid1(SALU_CYCLE_1)
	s_lshl_b64 s[10:11], s[2:3], 18
	s_add_u32 s9, s14, s10
	s_addc_u32 s21, s15, s11
	s_and_b32 s6, s9, 15
	s_add_u32 s22, s16, s10
	s_addc_u32 s23, s17, s11
	s_add_u32 s24, s18, s10
	s_addc_u32 s25, s19, s11
	s_or_b32 s7, s24, s22
	s_delay_alu instid0(SALU_CYCLE_1) | instskip(NEXT) | instid1(SALU_CYCLE_1)
	s_and_b32 s7, s7, 15
	s_cmp_lg_u32 s7, 0
	s_mov_b32 s7, 0
	s_cselect_b32 s8, -1, 0
	s_lshl_b64 s[2:3], s[2:3], 16
	s_mov_b32 s27, s7
	s_sub_u32 s12, s4, s2
	s_subb_u32 s13, s5, s3
	s_and_b32 s26, s4, 3
	s_delay_alu instid0(SALU_CYCLE_1) | instskip(NEXT) | instid1(SALU_CYCLE_1)
	s_or_b64 s[2:3], s[6:7], s[26:27]
	s_cmp_lg_u64 s[2:3], 0
	s_cselect_b32 s2, -1, 0
	s_delay_alu instid0(SALU_CYCLE_1) | instskip(NEXT) | instid1(SALU_CYCLE_1)
	s_or_b32 s2, s8, s2
	s_and_not1_b32 vcc_lo, exec_lo, s2
	s_mov_b32 s2, -1
	s_cbranch_vccz .LBB111_5
; %bb.1:
	v_dual_mov_b32 v2, 0 :: v_dual_lshlrev_b32 v1, 2, v0
	s_mov_b32 s26, exec_lo
	s_delay_alu instid0(VALU_DEP_1)
	v_cmpx_gt_i64_e64 s[12:13], v[1:2]
	s_cbranch_execz .LBB111_4
; %bb.2:
	s_load_b32 s2, s[0:1], 0xc5c
	v_lshlrev_b32_e32 v3, 4, v0
	s_mov_b32 s27, 0
	s_waitcnt lgkmcnt(0)
	s_and_b32 s2, s2, 0xffff
	s_delay_alu instid0(SALU_CYCLE_1)
	v_add_lshl_u32 v1, v0, s2, 2
	s_lshl_b32 s28, s2, 2
	s_lshl_b32 s29, s2, 4
.LBB111_3:                              ; =>This Inner Loop Header: Depth=1
	v_add_co_u32 v4, s2, s22, v3
	s_delay_alu instid0(VALU_DEP_1) | instskip(SKIP_1) | instid1(VALU_DEP_1)
	v_add_co_ci_u32_e64 v5, null, s23, 0, s2
	v_add_co_u32 v8, s2, s9, v3
	v_add_co_ci_u32_e64 v9, null, s21, 0, s2
	global_load_b128 v[4:7], v[4:5], off
	global_load_b128 v[8:11], v[8:9], off
	v_cmp_le_i64_e32 vcc_lo, s[12:13], v[1:2]
	v_cmp_lt_u64_e64 s2, 0xffff, v[1:2]
	v_add_co_u32 v12, s3, s24, v3
	s_delay_alu instid0(VALU_DEP_1) | instskip(SKIP_1) | instid1(VALU_DEP_4)
	v_add_co_ci_u32_e64 v13, null, s25, 0, s3
	v_add_co_u32 v1, s3, v1, s28
	s_or_b32 s30, vcc_lo, s2
	v_add_co_ci_u32_e64 v2, s3, 0, v2, s3
	s_waitcnt vmcnt(1)
	v_dual_mul_f32 v4, s20, v4 :: v_dual_mul_f32 v5, s20, v5
	v_dual_mul_f32 v6, s20, v6 :: v_dual_mul_f32 v7, s20, v7
	s_waitcnt vmcnt(0)
	v_cmp_u_f32_e32 vcc_lo, v8, v8
	s_delay_alu instid0(VALU_DEP_3)
	v_cmp_lt_f32_e64 s5, v8, v4
	v_cmp_u_f32_e64 s2, v9, v9
	v_cmp_lt_f32_e64 s6, v9, v5
	v_cmp_u_f32_e64 s3, v10, v10
	v_cmp_lt_f32_e64 s7, v10, v6
	s_or_b32 vcc_lo, vcc_lo, s5
	v_cmp_u_f32_e64 s4, v11, v11
	v_cmp_lt_f32_e64 s8, v11, v7
	v_cndmask_b32_e32 v4, v4, v8, vcc_lo
	s_or_b32 vcc_lo, s2, s6
	v_cndmask_b32_e32 v5, v5, v9, vcc_lo
	s_or_b32 vcc_lo, s3, s7
	;; [unrolled: 2-line block ×3, first 2 shown]
	s_add_u32 s9, s9, s29
	v_cndmask_b32_e32 v7, v7, v11, vcc_lo
	s_addc_u32 s21, s21, 0
	s_add_u32 s24, s24, s29
	s_addc_u32 s25, s25, 0
	s_add_u32 s22, s22, s29
	s_addc_u32 s23, s23, 0
	s_and_b32 s2, exec_lo, s30
	global_store_b128 v[12:13], v[4:7], off
	s_or_b32 s27, s2, s27
	s_delay_alu instid0(SALU_CYCLE_1)
	s_and_not1_b32 exec_lo, exec_lo, s27
	s_cbranch_execnz .LBB111_3
.LBB111_4:
	s_or_b32 exec_lo, exec_lo, s26
	s_mov_b32 s2, 0
.LBB111_5:
	s_delay_alu instid0(SALU_CYCLE_1)
	s_and_not1_b32 vcc_lo, exec_lo, s2
	s_cbranch_vccnz .LBB111_25
; %bb.6:
	v_cmp_lt_i64_e64 s2, s[12:13], 1
	s_delay_alu instid0(VALU_DEP_1)
	s_and_b32 vcc_lo, exec_lo, s2
	s_cbranch_vccnz .LBB111_25
; %bb.7:
	s_load_b32 s0, s[0:1], 0xc5c
	v_dual_mov_b32 v14, 0 :: v_dual_lshlrev_b32 v13, 2, v0
	v_cmp_gt_u64_e64 s1, 0x10000, s[12:13]
	s_mov_b64 s[8:9], 0
	s_delay_alu instid0(VALU_DEP_2) | instskip(NEXT) | instid1(VALU_DEP_1)
	v_add_co_u32 v1, s2, s14, v13
	v_add_co_ci_u32_e64 v2, null, s15, 0, s2
	v_add_co_u32 v3, s2, s16, v13
	s_delay_alu instid0(VALU_DEP_1) | instskip(SKIP_1) | instid1(VALU_DEP_1)
	v_add_co_ci_u32_e64 v4, null, s17, 0, s2
	v_add_co_u32 v5, s2, s18, v13
	v_add_co_ci_u32_e64 v6, null, s19, 0, s2
	s_waitcnt lgkmcnt(0)
	s_and_b32 s0, s0, 0xffff
	s_and_b32 s1, s1, exec_lo
	v_mad_u64_u32 v[11:12], null, s0, 12, v[13:14]
	s_cselect_b32 s7, s13, 0
	s_cselect_b32 s6, s12, 0x10000
	s_mul_i32 s2, s0, 3
	s_lshl_b32 s3, s0, 3
	s_lshl_b32 s1, s0, 1
	v_add_co_u32 v20, s3, s3, v13
	v_add_co_u32 v13, s2, s2, v0
	v_add_co_u32 v7, vcc_lo, s14, v11
	v_add_co_ci_u32_e64 v14, null, 0, 0, s2
	v_add_co_u32 v19, s2, v0, s0
	v_add_co_ci_u32_e32 v8, vcc_lo, s15, v12, vcc_lo
	v_add_co_u32 v9, vcc_lo, s16, v11
	v_add_co_ci_u32_e32 v10, vcc_lo, s17, v12, vcc_lo
	v_add_co_u32 v11, vcc_lo, s18, v11
	v_add_co_ci_u32_e64 v21, null, 0, 0, s3
	v_lshlrev_b32_e32 v29, 2, v19
	v_add_co_ci_u32_e32 v12, vcc_lo, s19, v12, vcc_lo
	v_add_co_u32 v15, vcc_lo, s14, v20
	v_add_co_u32 v23, s1, s1, v0
	v_add_co_ci_u32_e32 v16, vcc_lo, s15, v21, vcc_lo
	v_add_co_ci_u32_e64 v24, null, 0, 0, s1
	v_add_co_u32 v25, s1, s14, v29
	v_add_co_u32 v17, vcc_lo, s16, v20
	v_add_co_ci_u32_e64 v26, null, s15, 0, s1
	v_add_co_u32 v27, s1, s16, v29
	v_add_co_ci_u32_e32 v18, vcc_lo, s17, v21, vcc_lo
	v_add_co_u32 v20, vcc_lo, s18, v20
	v_add_co_ci_u32_e64 v28, null, s17, 0, s1
	v_add_co_u32 v29, s1, s18, v29
	v_add_co_ci_u32_e32 v21, vcc_lo, s19, v21, vcc_lo
	v_add_co_ci_u32_e64 v22, null, 0, 0, s2
	v_add_co_ci_u32_e64 v30, null, s19, 0, s1
	s_lshl_b32 s5, s0, 2
	s_lshl_b32 s14, s0, 4
	s_branch .LBB111_9
.LBB111_8:                              ;   in Loop: Header=BB111_9 Depth=1
	s_or_b32 exec_lo, exec_lo, s1
	v_add_co_u32 v1, vcc_lo, v1, s14
	v_add_co_ci_u32_e32 v2, vcc_lo, 0, v2, vcc_lo
	v_add_co_u32 v3, vcc_lo, v3, s14
	v_add_co_ci_u32_e32 v4, vcc_lo, 0, v4, vcc_lo
	;; [unrolled: 2-line block ×9, first 2 shown]
	s_add_u32 s8, s8, s5
	v_add_co_u32 v25, vcc_lo, v25, s14
	s_addc_u32 s9, s9, 0
	v_add_co_ci_u32_e32 v26, vcc_lo, 0, v26, vcc_lo
	v_cmp_ge_i64_e64 s0, s[8:9], s[12:13]
	v_cmp_lt_u64_e64 s1, 0xffff, s[8:9]
	v_add_co_u32 v27, vcc_lo, v27, s14
	v_add_co_ci_u32_e32 v28, vcc_lo, 0, v28, vcc_lo
	v_add_co_u32 v29, vcc_lo, v29, s14
	v_add_co_ci_u32_e32 v30, vcc_lo, 0, v30, vcc_lo
	s_or_b32 s0, s0, s1
	s_delay_alu instid0(SALU_CYCLE_1)
	s_and_b32 vcc_lo, exec_lo, s0
	s_cbranch_vccnz .LBB111_25
.LBB111_9:                              ; =>This Inner Loop Header: Depth=1
	s_waitcnt vmcnt(1)
	v_add_co_u32 v31, s0, v0, s8
	s_delay_alu instid0(VALU_DEP_1) | instskip(SKIP_2) | instid1(VALU_DEP_2)
	v_add_co_ci_u32_e64 v32, null, 0, s9, s0
	s_waitcnt vmcnt(0)
	v_mov_b32_e32 v33, 0
	v_cmp_gt_u64_e32 vcc_lo, s[6:7], v[31:32]
	v_mov_b32_e32 v32, 0
	s_and_saveexec_b32 s1, vcc_lo
	s_cbranch_execz .LBB111_11
; %bb.10:                               ;   in Loop: Header=BB111_9 Depth=1
	v_add_co_u32 v31, s0, v1, s10
	s_delay_alu instid0(VALU_DEP_1) | instskip(SKIP_1) | instid1(VALU_DEP_1)
	v_add_co_ci_u32_e64 v32, s0, s11, v2, s0
	v_add_co_u32 v33, s0, v3, s10
	v_add_co_ci_u32_e64 v34, s0, s11, v4, s0
	global_load_b32 v32, v[31:32], off
	global_load_b32 v33, v[33:34], off
.LBB111_11:                             ;   in Loop: Header=BB111_9 Depth=1
	s_or_b32 exec_lo, exec_lo, s1
	v_add_co_u32 v34, s0, v19, s8
	s_delay_alu instid0(VALU_DEP_1) | instskip(SKIP_1) | instid1(VALU_DEP_2)
	v_add_co_ci_u32_e64 v35, s0, s9, v22, s0
	v_mov_b32_e32 v31, 0
	v_cmp_gt_u64_e64 s0, s[6:7], v[34:35]
	v_dual_mov_b32 v34, 0 :: v_dual_mov_b32 v35, 0
	s_delay_alu instid0(VALU_DEP_2)
	s_and_saveexec_b32 s2, s0
	s_cbranch_execz .LBB111_13
; %bb.12:                               ;   in Loop: Header=BB111_9 Depth=1
	v_add_co_u32 v34, s1, v25, s10
	s_delay_alu instid0(VALU_DEP_1) | instskip(SKIP_1) | instid1(VALU_DEP_1)
	v_add_co_ci_u32_e64 v35, s1, s11, v26, s1
	v_add_co_u32 v36, s1, v27, s10
	v_add_co_ci_u32_e64 v37, s1, s11, v28, s1
	global_load_b32 v34, v[34:35], off
	global_load_b32 v35, v[36:37], off
.LBB111_13:                             ;   in Loop: Header=BB111_9 Depth=1
	s_or_b32 exec_lo, exec_lo, s2
	v_add_co_u32 v36, s1, v23, s8
	s_delay_alu instid0(VALU_DEP_1) | instskip(NEXT) | instid1(VALU_DEP_1)
	v_add_co_ci_u32_e64 v37, s1, s9, v24, s1
	v_cmp_gt_u64_e64 s1, s[6:7], v[36:37]
	v_mov_b32_e32 v36, 0
	s_delay_alu instid0(VALU_DEP_2)
	s_and_saveexec_b32 s3, s1
	s_cbranch_execz .LBB111_15
; %bb.14:                               ;   in Loop: Header=BB111_9 Depth=1
	v_add_co_u32 v36, s2, v15, s10
	s_delay_alu instid0(VALU_DEP_1) | instskip(SKIP_1) | instid1(VALU_DEP_1)
	v_add_co_ci_u32_e64 v37, s2, s11, v16, s2
	v_add_co_u32 v38, s2, v17, s10
	v_add_co_ci_u32_e64 v39, s2, s11, v18, s2
	global_load_b32 v31, v[36:37], off
	global_load_b32 v36, v[38:39], off
.LBB111_15:                             ;   in Loop: Header=BB111_9 Depth=1
	s_or_b32 exec_lo, exec_lo, s3
	v_add_co_u32 v37, s2, v13, s8
	s_delay_alu instid0(VALU_DEP_1) | instskip(NEXT) | instid1(VALU_DEP_1)
	v_add_co_ci_u32_e64 v38, s2, s9, v14, s2
	v_cmp_gt_u64_e64 s2, s[6:7], v[37:38]
	v_dual_mov_b32 v37, 0 :: v_dual_mov_b32 v38, 0
	s_delay_alu instid0(VALU_DEP_2)
	s_and_saveexec_b32 s4, s2
	s_cbranch_execnz .LBB111_20
; %bb.16:                               ;   in Loop: Header=BB111_9 Depth=1
	s_or_b32 exec_lo, exec_lo, s4
	s_and_saveexec_b32 s15, vcc_lo
	s_cbranch_execnz .LBB111_21
.LBB111_17:                             ;   in Loop: Header=BB111_9 Depth=1
	s_or_b32 exec_lo, exec_lo, s15
	s_and_saveexec_b32 s3, s0
	s_cbranch_execnz .LBB111_22
.LBB111_18:                             ;   in Loop: Header=BB111_9 Depth=1
	s_or_b32 exec_lo, exec_lo, s3
	s_and_saveexec_b32 s3, s1
	s_cbranch_execnz .LBB111_23
.LBB111_19:                             ;   in Loop: Header=BB111_9 Depth=1
	s_or_b32 exec_lo, exec_lo, s3
	s_and_saveexec_b32 s1, s2
	s_cbranch_execz .LBB111_8
	s_branch .LBB111_24
.LBB111_20:                             ;   in Loop: Header=BB111_9 Depth=1
	v_add_co_u32 v37, s3, v7, s10
	s_delay_alu instid0(VALU_DEP_1) | instskip(SKIP_1) | instid1(VALU_DEP_1)
	v_add_co_ci_u32_e64 v38, s3, s11, v8, s3
	v_add_co_u32 v39, s3, v9, s10
	v_add_co_ci_u32_e64 v40, s3, s11, v10, s3
	global_load_b32 v37, v[37:38], off
	global_load_b32 v38, v[39:40], off
	s_or_b32 exec_lo, exec_lo, s4
	s_and_saveexec_b32 s15, vcc_lo
	s_cbranch_execz .LBB111_17
.LBB111_21:                             ;   in Loop: Header=BB111_9 Depth=1
	s_waitcnt vmcnt(0)
	v_mul_f32_e32 v33, s20, v33
	v_cmp_u_f32_e32 vcc_lo, v32, v32
	v_add_co_u32 v39, s4, v5, s10
	s_delay_alu instid0(VALU_DEP_1) | instskip(NEXT) | instid1(VALU_DEP_4)
	v_add_co_ci_u32_e64 v40, s4, s11, v6, s4
	v_cmp_lt_f32_e64 s3, v32, v33
	s_delay_alu instid0(VALU_DEP_1)
	s_or_b32 vcc_lo, vcc_lo, s3
	v_cndmask_b32_e32 v32, v33, v32, vcc_lo
	global_store_b32 v[39:40], v32, off
	s_or_b32 exec_lo, exec_lo, s15
	s_and_saveexec_b32 s3, s0
	s_cbranch_execz .LBB111_18
.LBB111_22:                             ;   in Loop: Header=BB111_9 Depth=1
	s_waitcnt vmcnt(0)
	v_mul_f32_e32 v32, s20, v35
	v_cmp_u_f32_e32 vcc_lo, v34, v34
	s_delay_alu instid0(VALU_DEP_2) | instskip(NEXT) | instid1(VALU_DEP_1)
	v_cmp_lt_f32_e64 s0, v34, v32
	s_or_b32 vcc_lo, vcc_lo, s0
	v_cndmask_b32_e32 v34, v32, v34, vcc_lo
	v_add_co_u32 v32, vcc_lo, v29, s10
	v_add_co_ci_u32_e32 v33, vcc_lo, s11, v30, vcc_lo
	global_store_b32 v[32:33], v34, off
	s_or_b32 exec_lo, exec_lo, s3
	s_and_saveexec_b32 s3, s1
	s_cbranch_execz .LBB111_19
.LBB111_23:                             ;   in Loop: Header=BB111_9 Depth=1
	s_waitcnt vmcnt(0)
	v_mul_f32_e32 v32, s20, v36
	v_cmp_u_f32_e32 vcc_lo, v31, v31
	s_delay_alu instid0(VALU_DEP_2) | instskip(NEXT) | instid1(VALU_DEP_1)
	v_cmp_lt_f32_e64 s0, v31, v32
	s_or_b32 vcc_lo, vcc_lo, s0
	v_cndmask_b32_e32 v33, v32, v31, vcc_lo
	v_add_co_u32 v31, vcc_lo, v20, s10
	v_add_co_ci_u32_e32 v32, vcc_lo, s11, v21, vcc_lo
	global_store_b32 v[31:32], v33, off
	s_or_b32 exec_lo, exec_lo, s3
	s_and_saveexec_b32 s1, s2
	s_cbranch_execz .LBB111_8
.LBB111_24:                             ;   in Loop: Header=BB111_9 Depth=1
	s_waitcnt vmcnt(0)
	v_mul_f32_e32 v31, s20, v38
	v_cmp_u_f32_e32 vcc_lo, v37, v37
	s_delay_alu instid0(VALU_DEP_2) | instskip(NEXT) | instid1(VALU_DEP_1)
	v_cmp_lt_f32_e64 s0, v37, v31
	s_or_b32 vcc_lo, vcc_lo, s0
	v_cndmask_b32_e32 v33, v31, v37, vcc_lo
	v_add_co_u32 v31, vcc_lo, v11, s10
	v_add_co_ci_u32_e32 v32, vcc_lo, s11, v12, vcc_lo
	global_store_b32 v[31:32], v33, off
	s_branch .LBB111_8
.LBB111_25:
	s_nop 0
	s_sendmsg sendmsg(MSG_DEALLOC_VGPRS)
	s_endpgm
	.section	.rodata,"a",@progbits
	.p2align	6, 0x0
	.amdhsa_kernel _ZN2at6native12_GLOBAL__N_125multi_tensor_apply_kernelINS1_18TensorListMetadataILi3EEENS1_24BinaryOpListAlphaFunctorIfLi3ELi2ELi2EEEJNS0_7minimumIfEEfEEEvT_T0_DpT1_
		.amdhsa_group_segment_fixed_size 0
		.amdhsa_private_segment_fixed_size 0
		.amdhsa_kernarg_size 3408
		.amdhsa_user_sgpr_count 15
		.amdhsa_user_sgpr_dispatch_ptr 0
		.amdhsa_user_sgpr_queue_ptr 0
		.amdhsa_user_sgpr_kernarg_segment_ptr 1
		.amdhsa_user_sgpr_dispatch_id 0
		.amdhsa_user_sgpr_private_segment_size 0
		.amdhsa_wavefront_size32 1
		.amdhsa_uses_dynamic_stack 0
		.amdhsa_enable_private_segment 0
		.amdhsa_system_sgpr_workgroup_id_x 1
		.amdhsa_system_sgpr_workgroup_id_y 0
		.amdhsa_system_sgpr_workgroup_id_z 0
		.amdhsa_system_sgpr_workgroup_info 0
		.amdhsa_system_vgpr_workitem_id 0
		.amdhsa_next_free_vgpr 41
		.amdhsa_next_free_sgpr 31
		.amdhsa_reserve_vcc 1
		.amdhsa_float_round_mode_32 0
		.amdhsa_float_round_mode_16_64 0
		.amdhsa_float_denorm_mode_32 3
		.amdhsa_float_denorm_mode_16_64 3
		.amdhsa_dx10_clamp 1
		.amdhsa_ieee_mode 1
		.amdhsa_fp16_overflow 0
		.amdhsa_workgroup_processor_mode 1
		.amdhsa_memory_ordered 1
		.amdhsa_forward_progress 0
		.amdhsa_shared_vgpr_count 0
		.amdhsa_exception_fp_ieee_invalid_op 0
		.amdhsa_exception_fp_denorm_src 0
		.amdhsa_exception_fp_ieee_div_zero 0
		.amdhsa_exception_fp_ieee_overflow 0
		.amdhsa_exception_fp_ieee_underflow 0
		.amdhsa_exception_fp_ieee_inexact 0
		.amdhsa_exception_int_div_zero 0
	.end_amdhsa_kernel
	.section	.text._ZN2at6native12_GLOBAL__N_125multi_tensor_apply_kernelINS1_18TensorListMetadataILi3EEENS1_24BinaryOpListAlphaFunctorIfLi3ELi2ELi2EEEJNS0_7minimumIfEEfEEEvT_T0_DpT1_,"axG",@progbits,_ZN2at6native12_GLOBAL__N_125multi_tensor_apply_kernelINS1_18TensorListMetadataILi3EEENS1_24BinaryOpListAlphaFunctorIfLi3ELi2ELi2EEEJNS0_7minimumIfEEfEEEvT_T0_DpT1_,comdat
.Lfunc_end111:
	.size	_ZN2at6native12_GLOBAL__N_125multi_tensor_apply_kernelINS1_18TensorListMetadataILi3EEENS1_24BinaryOpListAlphaFunctorIfLi3ELi2ELi2EEEJNS0_7minimumIfEEfEEEvT_T0_DpT1_, .Lfunc_end111-_ZN2at6native12_GLOBAL__N_125multi_tensor_apply_kernelINS1_18TensorListMetadataILi3EEENS1_24BinaryOpListAlphaFunctorIfLi3ELi2ELi2EEEJNS0_7minimumIfEEfEEEvT_T0_DpT1_
                                        ; -- End function
	.section	.AMDGPU.csdata,"",@progbits
; Kernel info:
; codeLenInByte = 1896
; NumSgprs: 33
; NumVgprs: 41
; ScratchSize: 0
; MemoryBound: 0
; FloatMode: 240
; IeeeMode: 1
; LDSByteSize: 0 bytes/workgroup (compile time only)
; SGPRBlocks: 4
; VGPRBlocks: 5
; NumSGPRsForWavesPerEU: 33
; NumVGPRsForWavesPerEU: 41
; Occupancy: 16
; WaveLimiterHint : 0
; COMPUTE_PGM_RSRC2:SCRATCH_EN: 0
; COMPUTE_PGM_RSRC2:USER_SGPR: 15
; COMPUTE_PGM_RSRC2:TRAP_HANDLER: 0
; COMPUTE_PGM_RSRC2:TGID_X_EN: 1
; COMPUTE_PGM_RSRC2:TGID_Y_EN: 0
; COMPUTE_PGM_RSRC2:TGID_Z_EN: 0
; COMPUTE_PGM_RSRC2:TIDIG_COMP_CNT: 0
	.section	.text._ZN2at6native12_GLOBAL__N_125multi_tensor_apply_kernelINS1_18TensorListMetadataILi3EEENS1_24BinaryOpListAlphaFunctorIN3c108BFloat16ELi3ELi2ELi2EEEJNS0_7minimumIfEEfEEEvT_T0_DpT1_,"axG",@progbits,_ZN2at6native12_GLOBAL__N_125multi_tensor_apply_kernelINS1_18TensorListMetadataILi3EEENS1_24BinaryOpListAlphaFunctorIN3c108BFloat16ELi3ELi2ELi2EEEJNS0_7minimumIfEEfEEEvT_T0_DpT1_,comdat
	.globl	_ZN2at6native12_GLOBAL__N_125multi_tensor_apply_kernelINS1_18TensorListMetadataILi3EEENS1_24BinaryOpListAlphaFunctorIN3c108BFloat16ELi3ELi2ELi2EEEJNS0_7minimumIfEEfEEEvT_T0_DpT1_ ; -- Begin function _ZN2at6native12_GLOBAL__N_125multi_tensor_apply_kernelINS1_18TensorListMetadataILi3EEENS1_24BinaryOpListAlphaFunctorIN3c108BFloat16ELi3ELi2ELi2EEEJNS0_7minimumIfEEfEEEvT_T0_DpT1_
	.p2align	8
	.type	_ZN2at6native12_GLOBAL__N_125multi_tensor_apply_kernelINS1_18TensorListMetadataILi3EEENS1_24BinaryOpListAlphaFunctorIN3c108BFloat16ELi3ELi2ELi2EEEJNS0_7minimumIfEEfEEEvT_T0_DpT1_,@function
_ZN2at6native12_GLOBAL__N_125multi_tensor_apply_kernelINS1_18TensorListMetadataILi3EEENS1_24BinaryOpListAlphaFunctorIN3c108BFloat16ELi3ELi2ELi2EEEJNS0_7minimumIfEEfEEEvT_T0_DpT1_: ; @_ZN2at6native12_GLOBAL__N_125multi_tensor_apply_kernelINS1_18TensorListMetadataILi3EEENS1_24BinaryOpListAlphaFunctorIN3c108BFloat16ELi3ELi2ELi2EEEJNS0_7minimumIfEEfEEEvT_T0_DpT1_
; %bb.0:
	v_mov_b32_e32 v1, s15
	s_add_u32 s2, s0, s15
	s_mul_hi_u32 s3, s15, 3
	s_mul_i32 s15, s15, 3
	s_addc_u32 s4, s1, 0
	global_load_u8 v1, v1, s[0:1] offset:1536
	s_load_b32 s11, s[0:1], 0xc4c
	s_add_u32 s2, s2, s15
	s_addc_u32 s3, s4, s3
	s_load_b32 s2, s[2:3], 0x740
	s_waitcnt vmcnt(0)
	v_readfirstlane_b32 s3, v1
	s_delay_alu instid0(VALU_DEP_1)
	s_lshl_b32 s3, s3, 3
	s_clause 0x3
	s_load_b64 s[18:19], s[0:1], s3 offset:0x180
	s_load_b64 s[16:17], s[0:1], s3 offset:0x300
	;; [unrolled: 1-line block ×4, first 2 shown]
	s_waitcnt lgkmcnt(0)
	s_ashr_i32 s3, s2, 31
	s_delay_alu instid0(SALU_CYCLE_1) | instskip(NEXT) | instid1(SALU_CYCLE_1)
	s_lshl_b64 s[12:13], s[2:3], 17
	s_add_u32 s6, s18, s12
	s_delay_alu instid0(SALU_CYCLE_1) | instskip(NEXT) | instid1(SALU_CYCLE_1)
	s_or_b32 s6, s16, s6
	s_and_b32 s7, s6, 7
	s_and_b32 s6, s20, 7
	s_cmp_lg_u32 s7, 0
	s_mov_b32 s7, 0
	s_cselect_b32 s10, -1, 0
	s_lshl_b64 s[2:3], s[2:3], 16
	s_mov_b32 s9, s7
	s_sub_u32 s14, s4, s2
	s_subb_u32 s15, s5, s3
	s_and_b32 s8, s4, 3
	s_delay_alu instid0(SALU_CYCLE_1) | instskip(NEXT) | instid1(SALU_CYCLE_1)
	s_or_b64 s[2:3], s[6:7], s[8:9]
	s_cmp_lg_u64 s[2:3], 0
	s_cselect_b32 s2, -1, 0
	s_delay_alu instid0(SALU_CYCLE_1) | instskip(NEXT) | instid1(SALU_CYCLE_1)
	s_or_b32 s2, s10, s2
	s_and_not1_b32 vcc_lo, exec_lo, s2
	s_mov_b32 s2, -1
	s_cbranch_vccz .LBB112_5
; %bb.1:
	v_dual_mov_b32 v2, 0 :: v_dual_lshlrev_b32 v1, 2, v0
	s_mov_b32 s22, exec_lo
	s_delay_alu instid0(VALU_DEP_1)
	v_cmpx_gt_i64_e64 s[14:15], v[1:2]
	s_cbranch_execz .LBB112_4
; %bb.2:
	s_load_b32 s2, s[0:1], 0xc5c
	v_lshlrev_b32_e32 v1, 3, v0
	s_mov_b32 s23, 0
	s_delay_alu instid0(VALU_DEP_1) | instskip(NEXT) | instid1(VALU_DEP_1)
	v_add_co_u32 v3, s3, s12, v1
	v_add_co_ci_u32_e64 v4, null, s13, 0, s3
	s_waitcnt lgkmcnt(0)
	s_and_b32 s2, s2, 0xffff
	s_delay_alu instid0(SALU_CYCLE_1)
	v_add_lshl_u32 v1, v0, s2, 2
	s_lshl_b32 s24, s2, 3
	s_lshl_b32 s25, s2, 2
.LBB112_3:                              ; =>This Inner Loop Header: Depth=1
	v_add_co_u32 v5, vcc_lo, s18, v3
	v_add_co_ci_u32_e32 v6, vcc_lo, s19, v4, vcc_lo
	v_add_co_u32 v7, vcc_lo, s20, v3
	v_add_co_ci_u32_e32 v8, vcc_lo, s21, v4, vcc_lo
	v_add_co_u32 v9, vcc_lo, s16, v3
	global_load_b64 v[5:6], v[5:6], off
	global_load_b64 v[7:8], v[7:8], off
	v_add_co_ci_u32_e32 v10, vcc_lo, s17, v4, vcc_lo
	v_cmp_le_i64_e32 vcc_lo, s[14:15], v[1:2]
	v_cmp_lt_u64_e64 s2, 0xffff, v[1:2]
	v_add_co_u32 v3, s3, v3, s24
	s_delay_alu instid0(VALU_DEP_1) | instskip(SKIP_1) | instid1(VALU_DEP_4)
	v_add_co_ci_u32_e64 v4, s3, 0, v4, s3
	v_add_co_u32 v1, s3, v1, s25
	s_or_b32 s2, vcc_lo, s2
	v_add_co_ci_u32_e64 v2, s3, 0, v2, s3
	s_waitcnt vmcnt(1)
	v_lshlrev_b32_e32 v12, 16, v5
	v_and_b32_e32 v14, 0xffff0000, v5
	s_waitcnt vmcnt(0)
	v_lshlrev_b32_e32 v11, 16, v7
	v_and_b32_e32 v13, 0xffff0000, v7
	v_alignbit_b32 v7, v8, v7, 16
	v_mul_f32_e32 v12, s11, v12
	v_mul_f32_e32 v14, s11, v14
	v_alignbit_b32 v5, v6, v5, 16
	v_and_b32_e32 v6, 0xffff0000, v6
	v_cmp_u_f32_e64 s4, v11, v11
	v_cmp_gt_f32_e64 s7, v12, v11
	v_cmp_u_f32_e64 s5, v13, v13
	s_delay_alu instid0(VALU_DEP_4)
	v_dual_mul_f32 v6, s11, v6 :: v_dual_and_b32 v7, 0xffff0000, v7
	v_and_b32_e32 v5, 0xffff0000, v5
	v_and_b32_e32 v8, 0xffff0000, v8
	v_cmp_gt_f32_e64 s8, v14, v13
	s_or_b32 s4, s4, s7
	v_cmp_u_f32_e64 s9, v7, v7
	v_mul_f32_e32 v5, s11, v5
	v_cmp_u_f32_e64 s6, v8, v8
	v_cmp_gt_f32_e64 s10, v6, v8
	v_cndmask_b32_e64 v11, v12, v11, s4
	s_or_b32 s4, s5, s8
	s_delay_alu instid0(SALU_CYCLE_1) | instskip(SKIP_2) | instid1(SALU_CYCLE_1)
	v_cndmask_b32_e64 v12, v14, v13, s4
	v_cmp_gt_f32_e64 s4, v5, v7
	s_or_b32 s5, s6, s10
	v_cndmask_b32_e64 v6, v6, v8, s5
	s_delay_alu instid0(VALU_DEP_3) | instskip(NEXT) | instid1(VALU_DEP_3)
	v_bfe_u32 v13, v12, 16, 1
	s_or_b32 s4, s9, s4
	v_bfe_u32 v8, v11, 16, 1
	v_cndmask_b32_e64 v5, v5, v7, s4
	v_bfe_u32 v7, v6, 16, 1
	v_add3_u32 v13, v12, v13, 0x7fff
	v_cmp_o_f32_e64 s4, v12, v12
	v_add3_u32 v8, v11, v8, 0x7fff
	v_bfe_u32 v14, v5, 16, 1
	v_add3_u32 v7, v6, v7, 0x7fff
	v_and_b32_e32 v13, 0xffff0000, v13
	v_cmp_o_f32_e64 s5, v11, v11
	v_lshrrev_b32_e32 v8, 16, v8
	v_add3_u32 v14, v5, v14, 0x7fff
	v_and_b32_e32 v7, 0xffff0000, v7
	v_cndmask_b32_e64 v12, 0x7fc00000, v13, s4
	v_cmp_o_f32_e64 s4, v6, v6
	v_cndmask_b32_e64 v8, 0x7fc0, v8, s5
	v_lshrrev_b32_e32 v11, 16, v14
	s_and_b32 s2, exec_lo, s2
	s_delay_alu instid0(VALU_DEP_3) | instskip(SKIP_3) | instid1(VALU_DEP_2)
	v_cndmask_b32_e64 v6, 0x7fc00000, v7, s4
	v_cmp_o_f32_e64 s4, v5, v5
	v_or_b32_e32 v7, v8, v12
	s_or_b32 s23, s2, s23
	v_cndmask_b32_e64 v5, 0x7fc0, v11, s4
	s_delay_alu instid0(VALU_DEP_1) | instskip(NEXT) | instid1(VALU_DEP_3)
	v_or3_b32 v6, 0, v5, v6
	v_or3_b32 v5, v7, 0, 0
	global_store_b64 v[9:10], v[5:6], off
	s_and_not1_b32 exec_lo, exec_lo, s23
	s_cbranch_execnz .LBB112_3
.LBB112_4:
	s_or_b32 exec_lo, exec_lo, s22
	s_mov_b32 s2, 0
.LBB112_5:
	s_delay_alu instid0(SALU_CYCLE_1)
	s_and_not1_b32 vcc_lo, exec_lo, s2
	s_cbranch_vccnz .LBB112_25
; %bb.6:
	v_cmp_lt_i64_e64 s2, s[14:15], 1
	s_delay_alu instid0(VALU_DEP_1)
	s_and_b32 vcc_lo, exec_lo, s2
	s_cbranch_vccnz .LBB112_25
; %bb.7:
	s_load_b32 s0, s[0:1], 0xc5c
	v_dual_mov_b32 v2, 0 :: v_dual_lshlrev_b32 v1, 1, v0
	v_cmp_gt_u64_e64 s1, 0x10000, s[14:15]
	s_mov_b32 s9, 0
	s_mov_b64 s[6:7], 0
	s_delay_alu instid0(VALU_DEP_2) | instskip(NEXT) | instid1(VALU_DEP_1)
	v_add_co_u32 v3, s2, s20, v1
	v_add_co_ci_u32_e64 v4, null, s21, 0, s2
	v_add_co_u32 v5, s2, s18, v1
	s_delay_alu instid0(VALU_DEP_1) | instskip(SKIP_1) | instid1(VALU_DEP_1)
	v_add_co_ci_u32_e64 v6, null, s19, 0, s2
	v_add_co_u32 v7, s2, s16, v1
	v_add_co_ci_u32_e64 v8, null, s17, 0, s2
	s_waitcnt lgkmcnt(0)
	s_and_b32 s0, s0, 0xffff
	s_and_b32 s1, s1, exec_lo
	v_mad_u64_u32 v[13:14], null, s0, 6, v[1:2]
	s_cselect_b32 s5, s15, 0
	s_cselect_b32 s4, s14, 0x10000
	s_lshl_b32 s8, s0, 2
	s_mul_i32 s2, s0, 3
	v_add_co_u32 v1, s3, s8, v1
	s_delay_alu instid0(VALU_DEP_2) | instskip(NEXT) | instid1(VALU_DEP_3)
	v_add_co_u32 v9, vcc_lo, s20, v13
	v_add_co_ci_u32_e32 v10, vcc_lo, s21, v14, vcc_lo
	v_add_co_u32 v11, vcc_lo, s18, v13
	v_add_co_ci_u32_e32 v12, vcc_lo, s19, v14, vcc_lo
	v_add_co_u32 v13, vcc_lo, s16, v13
	v_add_co_ci_u32_e64 v2, null, 0, 0, s3
	v_add_co_ci_u32_e32 v14, vcc_lo, s17, v14, vcc_lo
	v_add_co_u32 v15, s2, s2, v0
	v_add_co_u32 v17, vcc_lo, s20, v1
	v_add_co_ci_u32_e64 v16, null, 0, 0, s2
	v_add_co_u32 v21, s2, v0, s0
	v_add_co_ci_u32_e32 v18, vcc_lo, s21, v2, vcc_lo
	v_add_co_u32 v19, vcc_lo, s18, v1
	v_add_co_ci_u32_e32 v20, vcc_lo, s19, v2, vcc_lo
	v_add_co_u32 v22, vcc_lo, s16, v1
	v_lshlrev_b32_e32 v1, 1, v21
	s_lshl_b32 s1, s0, 1
	v_add_co_ci_u32_e32 v23, vcc_lo, s17, v2, vcc_lo
	v_add_co_u32 v25, s1, s1, v0
	s_delay_alu instid0(VALU_DEP_1) | instskip(SKIP_1) | instid1(VALU_DEP_1)
	v_add_co_ci_u32_e64 v26, null, 0, 0, s1
	v_add_co_u32 v27, s1, s20, v1
	v_add_co_ci_u32_e64 v28, null, s21, 0, s1
	v_add_co_u32 v29, s1, s18, v1
	s_delay_alu instid0(VALU_DEP_1)
	v_add_co_ci_u32_e64 v30, null, s19, 0, s1
	v_add_co_u32 v31, s1, s16, v1
	v_add_co_ci_u32_e64 v24, null, 0, 0, s2
	v_add_co_ci_u32_e64 v32, null, s17, 0, s1
	s_lshl_b32 s10, s0, 3
	s_branch .LBB112_9
.LBB112_8:                              ;   in Loop: Header=BB112_9 Depth=1
	s_or_b32 exec_lo, exec_lo, s1
	v_add_co_u32 v3, vcc_lo, v3, s10
	v_add_co_ci_u32_e32 v4, vcc_lo, 0, v4, vcc_lo
	v_add_co_u32 v5, vcc_lo, v5, s10
	v_add_co_ci_u32_e32 v6, vcc_lo, 0, v6, vcc_lo
	;; [unrolled: 2-line block ×9, first 2 shown]
	s_add_u32 s6, s6, s8
	v_add_co_u32 v27, vcc_lo, v27, s10
	s_addc_u32 s7, s7, 0
	v_add_co_ci_u32_e32 v28, vcc_lo, 0, v28, vcc_lo
	v_cmp_ge_i64_e64 s0, s[6:7], s[14:15]
	v_cmp_lt_u64_e64 s1, 0xffff, s[6:7]
	v_add_co_u32 v29, vcc_lo, v29, s10
	v_add_co_ci_u32_e32 v30, vcc_lo, 0, v30, vcc_lo
	v_add_co_u32 v31, vcc_lo, v31, s10
	v_add_co_ci_u32_e32 v32, vcc_lo, 0, v32, vcc_lo
	s_or_b32 s0, s0, s1
	s_delay_alu instid0(SALU_CYCLE_1)
	s_and_b32 vcc_lo, exec_lo, s0
	s_cbranch_vccnz .LBB112_25
.LBB112_9:                              ; =>This Inner Loop Header: Depth=1
	v_add_co_u32 v1, s0, v0, s6
	s_delay_alu instid0(VALU_DEP_1) | instskip(SKIP_2) | instid1(VALU_DEP_2)
	v_add_co_ci_u32_e64 v2, null, 0, s7, s0
	s_waitcnt vmcnt(0)
	v_mov_b32_e32 v34, 0
	v_cmp_gt_u64_e32 vcc_lo, s[4:5], v[1:2]
	v_mov_b32_e32 v1, 0
	v_mov_b32_e32 v2, 0
	s_and_saveexec_b32 s1, vcc_lo
	s_cbranch_execz .LBB112_11
; %bb.10:                               ;   in Loop: Header=BB112_9 Depth=1
	v_add_co_u32 v1, s0, v3, s12
	s_delay_alu instid0(VALU_DEP_1) | instskip(SKIP_2) | instid1(VALU_DEP_1)
	v_add_co_ci_u32_e64 v2, s0, s13, v4, s0
	global_load_u16 v33, v[1:2], off
	v_add_co_u32 v1, s0, v5, s12
	v_add_co_ci_u32_e64 v2, s0, s13, v6, s0
	global_load_u16 v34, v[1:2], off
	s_waitcnt vmcnt(1)
	v_dual_mov_b32 v2, s9 :: v_dual_and_b32 v1, 0xffff, v33
.LBB112_11:                             ;   in Loop: Header=BB112_9 Depth=1
	s_or_b32 exec_lo, exec_lo, s1
	v_add_co_u32 v35, s0, v21, s6
	s_delay_alu instid0(VALU_DEP_1) | instskip(SKIP_1) | instid1(VALU_DEP_2)
	v_add_co_ci_u32_e64 v36, s0, s7, v24, s0
	v_mov_b32_e32 v33, 0
	v_cmp_gt_u64_e64 s0, s[4:5], v[35:36]
	v_mov_b32_e32 v35, 0
	s_delay_alu instid0(VALU_DEP_2)
	s_and_saveexec_b32 s2, s0
	s_cbranch_execz .LBB112_13
; %bb.12:                               ;   in Loop: Header=BB112_9 Depth=1
	v_add_co_u32 v35, s1, v27, s12
	s_delay_alu instid0(VALU_DEP_1) | instskip(SKIP_2) | instid1(VALU_DEP_1)
	v_add_co_ci_u32_e64 v36, s1, s13, v28, s1
	global_load_u16 v37, v[35:36], off
	v_add_co_u32 v35, s1, v29, s12
	v_add_co_ci_u32_e64 v36, s1, s13, v30, s1
	global_load_u16 v35, v[35:36], off
	s_waitcnt vmcnt(1)
	v_lshl_or_b32 v1, v37, 16, v1
.LBB112_13:                             ;   in Loop: Header=BB112_9 Depth=1
	s_or_b32 exec_lo, exec_lo, s2
	v_add_co_u32 v36, s1, v25, s6
	s_delay_alu instid0(VALU_DEP_1) | instskip(NEXT) | instid1(VALU_DEP_1)
	v_add_co_ci_u32_e64 v37, s1, s7, v26, s1
	v_cmp_gt_u64_e64 s1, s[4:5], v[36:37]
	s_delay_alu instid0(VALU_DEP_1)
	s_and_saveexec_b32 s3, s1
	s_cbranch_execz .LBB112_15
; %bb.14:                               ;   in Loop: Header=BB112_9 Depth=1
	v_add_co_u32 v36, s2, v17, s12
	s_delay_alu instid0(VALU_DEP_1) | instskip(SKIP_2) | instid1(VALU_DEP_1)
	v_add_co_ci_u32_e64 v37, s2, s13, v18, s2
	global_load_u16 v38, v[36:37], off
	v_add_co_u32 v36, s2, v19, s12
	v_add_co_ci_u32_e64 v37, s2, s13, v20, s2
	global_load_u16 v33, v[36:37], off
	s_waitcnt vmcnt(1)
	v_or_b32_e32 v2, v38, v2
.LBB112_15:                             ;   in Loop: Header=BB112_9 Depth=1
	s_or_b32 exec_lo, exec_lo, s3
	v_add_co_u32 v36, s2, v15, s6
	s_delay_alu instid0(VALU_DEP_1) | instskip(NEXT) | instid1(VALU_DEP_1)
	v_add_co_ci_u32_e64 v37, s2, s7, v16, s2
	v_cmp_gt_u64_e64 s2, s[4:5], v[36:37]
	v_mov_b32_e32 v36, 0
	s_delay_alu instid0(VALU_DEP_2)
	s_and_saveexec_b32 s16, s2
	s_cbranch_execnz .LBB112_20
; %bb.16:                               ;   in Loop: Header=BB112_9 Depth=1
	s_or_b32 exec_lo, exec_lo, s16
	s_and_saveexec_b32 s16, vcc_lo
	s_cbranch_execnz .LBB112_21
.LBB112_17:                             ;   in Loop: Header=BB112_9 Depth=1
	s_or_b32 exec_lo, exec_lo, s16
	s_and_saveexec_b32 s3, s0
	s_cbranch_execnz .LBB112_22
.LBB112_18:                             ;   in Loop: Header=BB112_9 Depth=1
	s_or_b32 exec_lo, exec_lo, s3
	s_and_saveexec_b32 s3, s1
	s_cbranch_execnz .LBB112_23
.LBB112_19:                             ;   in Loop: Header=BB112_9 Depth=1
	s_or_b32 exec_lo, exec_lo, s3
	s_and_saveexec_b32 s1, s2
	s_cbranch_execz .LBB112_8
	s_branch .LBB112_24
.LBB112_20:                             ;   in Loop: Header=BB112_9 Depth=1
	v_add_co_u32 v36, s3, v9, s12
	s_delay_alu instid0(VALU_DEP_1) | instskip(SKIP_3) | instid1(VALU_DEP_1)
	v_add_co_ci_u32_e64 v37, s3, s13, v10, s3
	v_mov_b32_e32 v38, 0
	global_load_d16_hi_b16 v38, v[36:37], off
	v_add_co_u32 v36, s3, v11, s12
	v_add_co_ci_u32_e64 v37, s3, s13, v12, s3
	global_load_u16 v36, v[36:37], off
	s_waitcnt vmcnt(1)
	v_or_b32_e32 v2, v38, v2
	s_or_b32 exec_lo, exec_lo, s16
	s_and_saveexec_b32 s16, vcc_lo
	s_cbranch_execz .LBB112_17
.LBB112_21:                             ;   in Loop: Header=BB112_9 Depth=1
	s_waitcnt vmcnt(0)
	v_lshlrev_b32_e32 v34, 16, v34
	s_delay_alu instid0(VALU_DEP_1) | instskip(NEXT) | instid1(VALU_DEP_1)
	v_dual_mul_f32 v34, s11, v34 :: v_dual_lshlrev_b32 v37, 16, v1
	v_cmp_u_f32_e32 vcc_lo, v37, v37
	s_delay_alu instid0(VALU_DEP_2) | instskip(NEXT) | instid1(VALU_DEP_1)
	v_cmp_gt_f32_e64 s3, v34, v37
	s_or_b32 vcc_lo, vcc_lo, s3
	v_cndmask_b32_e32 v34, v34, v37, vcc_lo
	s_delay_alu instid0(VALU_DEP_1) | instskip(NEXT) | instid1(VALU_DEP_1)
	v_bfe_u32 v37, v34, 16, 1
	v_add3_u32 v37, v34, v37, 0x7fff
	s_delay_alu instid0(VALU_DEP_1) | instskip(SKIP_3) | instid1(VALU_DEP_4)
	v_lshrrev_b32_e32 v39, 16, v37
	v_add_co_u32 v37, vcc_lo, v7, s12
	v_add_co_ci_u32_e32 v38, vcc_lo, s13, v8, vcc_lo
	v_cmp_o_f32_e32 vcc_lo, v34, v34
	v_cndmask_b32_e32 v34, 0x7fc0, v39, vcc_lo
	global_store_b16 v[37:38], v34, off
	s_or_b32 exec_lo, exec_lo, s16
	s_and_saveexec_b32 s3, s0
	s_cbranch_execz .LBB112_18
.LBB112_22:                             ;   in Loop: Header=BB112_9 Depth=1
	s_waitcnt vmcnt(0)
	v_lshlrev_b32_e32 v34, 16, v35
	s_delay_alu instid0(VALU_DEP_1) | instskip(NEXT) | instid1(VALU_DEP_1)
	v_dual_mul_f32 v34, s11, v34 :: v_dual_and_b32 v35, 0xffff0000, v1
	v_cmp_u_f32_e32 vcc_lo, v35, v35
	s_delay_alu instid0(VALU_DEP_2) | instskip(NEXT) | instid1(VALU_DEP_1)
	v_cmp_gt_f32_e64 s0, v34, v35
	s_or_b32 vcc_lo, vcc_lo, s0
	v_cndmask_b32_e32 v34, v34, v35, vcc_lo
	s_delay_alu instid0(VALU_DEP_1) | instskip(SKIP_1) | instid1(VALU_DEP_2)
	v_bfe_u32 v35, v34, 16, 1
	v_cmp_o_f32_e32 vcc_lo, v34, v34
	v_add3_u32 v35, v34, v35, 0x7fff
	s_delay_alu instid0(VALU_DEP_1) | instskip(NEXT) | instid1(VALU_DEP_1)
	v_lshrrev_b32_e32 v35, 16, v35
	v_cndmask_b32_e32 v37, 0x7fc0, v35, vcc_lo
	v_add_co_u32 v34, vcc_lo, v31, s12
	v_add_co_ci_u32_e32 v35, vcc_lo, s13, v32, vcc_lo
	global_store_b16 v[34:35], v37, off
	s_or_b32 exec_lo, exec_lo, s3
	s_and_saveexec_b32 s3, s1
	s_cbranch_execz .LBB112_19
.LBB112_23:                             ;   in Loop: Header=BB112_9 Depth=1
	v_alignbit_b32 v1, v2, v1, 16
	s_waitcnt vmcnt(0)
	v_lshlrev_b32_e32 v33, 16, v33
	s_delay_alu instid0(VALU_DEP_2) | instskip(NEXT) | instid1(VALU_DEP_2)
	v_and_b32_e32 v1, 0xffff0000, v1
	v_mul_f32_e32 v33, s11, v33
	s_delay_alu instid0(VALU_DEP_2) | instskip(NEXT) | instid1(VALU_DEP_2)
	v_cmp_u_f32_e32 vcc_lo, v1, v1
	v_cmp_gt_f32_e64 s0, v33, v1
	s_delay_alu instid0(VALU_DEP_1) | instskip(SKIP_1) | instid1(VALU_DEP_1)
	s_or_b32 vcc_lo, vcc_lo, s0
	v_cndmask_b32_e32 v1, v33, v1, vcc_lo
	v_bfe_u32 v33, v1, 16, 1
	v_cmp_o_f32_e32 vcc_lo, v1, v1
	s_delay_alu instid0(VALU_DEP_2) | instskip(NEXT) | instid1(VALU_DEP_1)
	v_add3_u32 v33, v1, v33, 0x7fff
	v_lshrrev_b32_e32 v33, 16, v33
	s_delay_alu instid0(VALU_DEP_1)
	v_cndmask_b32_e32 v1, 0x7fc0, v33, vcc_lo
	v_add_co_u32 v33, vcc_lo, v22, s12
	v_add_co_ci_u32_e32 v34, vcc_lo, s13, v23, vcc_lo
	global_store_b16 v[33:34], v1, off
	s_or_b32 exec_lo, exec_lo, s3
	s_and_saveexec_b32 s1, s2
	s_cbranch_execz .LBB112_8
.LBB112_24:                             ;   in Loop: Header=BB112_9 Depth=1
	s_waitcnt vmcnt(0)
	v_lshlrev_b32_e32 v1, 16, v36
	s_delay_alu instid0(VALU_DEP_1) | instskip(NEXT) | instid1(VALU_DEP_1)
	v_dual_mul_f32 v1, s11, v1 :: v_dual_and_b32 v2, 0xffff0000, v2
	v_cmp_u_f32_e32 vcc_lo, v2, v2
	s_delay_alu instid0(VALU_DEP_2) | instskip(NEXT) | instid1(VALU_DEP_1)
	v_cmp_gt_f32_e64 s0, v1, v2
	s_or_b32 vcc_lo, vcc_lo, s0
	v_cndmask_b32_e32 v1, v1, v2, vcc_lo
	s_delay_alu instid0(VALU_DEP_1) | instskip(SKIP_1) | instid1(VALU_DEP_2)
	v_bfe_u32 v2, v1, 16, 1
	v_cmp_o_f32_e32 vcc_lo, v1, v1
	v_add3_u32 v2, v1, v2, 0x7fff
	s_delay_alu instid0(VALU_DEP_1) | instskip(NEXT) | instid1(VALU_DEP_1)
	v_lshrrev_b32_e32 v2, 16, v2
	v_cndmask_b32_e32 v33, 0x7fc0, v2, vcc_lo
	v_add_co_u32 v1, vcc_lo, v13, s12
	v_add_co_ci_u32_e32 v2, vcc_lo, s13, v14, vcc_lo
	global_store_b16 v[1:2], v33, off
	s_branch .LBB112_8
.LBB112_25:
	s_nop 0
	s_sendmsg sendmsg(MSG_DEALLOC_VGPRS)
	s_endpgm
	.section	.rodata,"a",@progbits
	.p2align	6, 0x0
	.amdhsa_kernel _ZN2at6native12_GLOBAL__N_125multi_tensor_apply_kernelINS1_18TensorListMetadataILi3EEENS1_24BinaryOpListAlphaFunctorIN3c108BFloat16ELi3ELi2ELi2EEEJNS0_7minimumIfEEfEEEvT_T0_DpT1_
		.amdhsa_group_segment_fixed_size 0
		.amdhsa_private_segment_fixed_size 0
		.amdhsa_kernarg_size 3408
		.amdhsa_user_sgpr_count 15
		.amdhsa_user_sgpr_dispatch_ptr 0
		.amdhsa_user_sgpr_queue_ptr 0
		.amdhsa_user_sgpr_kernarg_segment_ptr 1
		.amdhsa_user_sgpr_dispatch_id 0
		.amdhsa_user_sgpr_private_segment_size 0
		.amdhsa_wavefront_size32 1
		.amdhsa_uses_dynamic_stack 0
		.amdhsa_enable_private_segment 0
		.amdhsa_system_sgpr_workgroup_id_x 1
		.amdhsa_system_sgpr_workgroup_id_y 0
		.amdhsa_system_sgpr_workgroup_id_z 0
		.amdhsa_system_sgpr_workgroup_info 0
		.amdhsa_system_vgpr_workitem_id 0
		.amdhsa_next_free_vgpr 40
		.amdhsa_next_free_sgpr 26
		.amdhsa_reserve_vcc 1
		.amdhsa_float_round_mode_32 0
		.amdhsa_float_round_mode_16_64 0
		.amdhsa_float_denorm_mode_32 3
		.amdhsa_float_denorm_mode_16_64 3
		.amdhsa_dx10_clamp 1
		.amdhsa_ieee_mode 1
		.amdhsa_fp16_overflow 0
		.amdhsa_workgroup_processor_mode 1
		.amdhsa_memory_ordered 1
		.amdhsa_forward_progress 0
		.amdhsa_shared_vgpr_count 0
		.amdhsa_exception_fp_ieee_invalid_op 0
		.amdhsa_exception_fp_denorm_src 0
		.amdhsa_exception_fp_ieee_div_zero 0
		.amdhsa_exception_fp_ieee_overflow 0
		.amdhsa_exception_fp_ieee_underflow 0
		.amdhsa_exception_fp_ieee_inexact 0
		.amdhsa_exception_int_div_zero 0
	.end_amdhsa_kernel
	.section	.text._ZN2at6native12_GLOBAL__N_125multi_tensor_apply_kernelINS1_18TensorListMetadataILi3EEENS1_24BinaryOpListAlphaFunctorIN3c108BFloat16ELi3ELi2ELi2EEEJNS0_7minimumIfEEfEEEvT_T0_DpT1_,"axG",@progbits,_ZN2at6native12_GLOBAL__N_125multi_tensor_apply_kernelINS1_18TensorListMetadataILi3EEENS1_24BinaryOpListAlphaFunctorIN3c108BFloat16ELi3ELi2ELi2EEEJNS0_7minimumIfEEfEEEvT_T0_DpT1_,comdat
.Lfunc_end112:
	.size	_ZN2at6native12_GLOBAL__N_125multi_tensor_apply_kernelINS1_18TensorListMetadataILi3EEENS1_24BinaryOpListAlphaFunctorIN3c108BFloat16ELi3ELi2ELi2EEEJNS0_7minimumIfEEfEEEvT_T0_DpT1_, .Lfunc_end112-_ZN2at6native12_GLOBAL__N_125multi_tensor_apply_kernelINS1_18TensorListMetadataILi3EEENS1_24BinaryOpListAlphaFunctorIN3c108BFloat16ELi3ELi2ELi2EEEJNS0_7minimumIfEEfEEEvT_T0_DpT1_
                                        ; -- End function
	.section	.AMDGPU.csdata,"",@progbits
; Kernel info:
; codeLenInByte = 2468
; NumSgprs: 28
; NumVgprs: 40
; ScratchSize: 0
; MemoryBound: 0
; FloatMode: 240
; IeeeMode: 1
; LDSByteSize: 0 bytes/workgroup (compile time only)
; SGPRBlocks: 3
; VGPRBlocks: 4
; NumSGPRsForWavesPerEU: 28
; NumVGPRsForWavesPerEU: 40
; Occupancy: 16
; WaveLimiterHint : 0
; COMPUTE_PGM_RSRC2:SCRATCH_EN: 0
; COMPUTE_PGM_RSRC2:USER_SGPR: 15
; COMPUTE_PGM_RSRC2:TRAP_HANDLER: 0
; COMPUTE_PGM_RSRC2:TGID_X_EN: 1
; COMPUTE_PGM_RSRC2:TGID_Y_EN: 0
; COMPUTE_PGM_RSRC2:TGID_Z_EN: 0
; COMPUTE_PGM_RSRC2:TIDIG_COMP_CNT: 0
	.section	.text._ZN2at6native12_GLOBAL__N_125multi_tensor_apply_kernelINS1_18TensorListMetadataILi3EEENS1_24BinaryOpListAlphaFunctorIN3c104HalfELi3ELi2ELi2EEEJNS0_7minimumIfEEfEEEvT_T0_DpT1_,"axG",@progbits,_ZN2at6native12_GLOBAL__N_125multi_tensor_apply_kernelINS1_18TensorListMetadataILi3EEENS1_24BinaryOpListAlphaFunctorIN3c104HalfELi3ELi2ELi2EEEJNS0_7minimumIfEEfEEEvT_T0_DpT1_,comdat
	.globl	_ZN2at6native12_GLOBAL__N_125multi_tensor_apply_kernelINS1_18TensorListMetadataILi3EEENS1_24BinaryOpListAlphaFunctorIN3c104HalfELi3ELi2ELi2EEEJNS0_7minimumIfEEfEEEvT_T0_DpT1_ ; -- Begin function _ZN2at6native12_GLOBAL__N_125multi_tensor_apply_kernelINS1_18TensorListMetadataILi3EEENS1_24BinaryOpListAlphaFunctorIN3c104HalfELi3ELi2ELi2EEEJNS0_7minimumIfEEfEEEvT_T0_DpT1_
	.p2align	8
	.type	_ZN2at6native12_GLOBAL__N_125multi_tensor_apply_kernelINS1_18TensorListMetadataILi3EEENS1_24BinaryOpListAlphaFunctorIN3c104HalfELi3ELi2ELi2EEEJNS0_7minimumIfEEfEEEvT_T0_DpT1_,@function
_ZN2at6native12_GLOBAL__N_125multi_tensor_apply_kernelINS1_18TensorListMetadataILi3EEENS1_24BinaryOpListAlphaFunctorIN3c104HalfELi3ELi2ELi2EEEJNS0_7minimumIfEEfEEEvT_T0_DpT1_: ; @_ZN2at6native12_GLOBAL__N_125multi_tensor_apply_kernelINS1_18TensorListMetadataILi3EEENS1_24BinaryOpListAlphaFunctorIN3c104HalfELi3ELi2ELi2EEEJNS0_7minimumIfEEfEEEvT_T0_DpT1_
; %bb.0:
	v_mov_b32_e32 v1, s15
	s_add_u32 s2, s0, s15
	s_mul_hi_u32 s3, s15, 3
	s_mul_i32 s15, s15, 3
	s_addc_u32 s4, s1, 0
	global_load_u8 v1, v1, s[0:1] offset:1536
	s_load_b32 s18, s[0:1], 0xc4c
	s_add_u32 s2, s2, s15
	s_addc_u32 s3, s4, s3
	s_mov_b32 s25, 0
	s_load_b32 s2, s[2:3], 0x740
	s_mov_b32 s27, s25
	s_waitcnt vmcnt(0)
	v_readfirstlane_b32 s3, v1
	s_delay_alu instid0(VALU_DEP_1)
	s_lshl_b32 s3, s3, 3
	s_clause 0x3
	s_load_b64 s[12:13], s[0:1], s3 offset:0x0
	s_load_b64 s[14:15], s[0:1], s3 offset:0x180
	;; [unrolled: 1-line block ×4, first 2 shown]
	s_waitcnt lgkmcnt(0)
	s_ashr_i32 s3, s2, 31
	s_delay_alu instid0(SALU_CYCLE_1) | instskip(NEXT) | instid1(SALU_CYCLE_1)
	s_lshl_b64 s[8:9], s[2:3], 17
	s_add_u32 s7, s12, s8
	s_addc_u32 s19, s13, s9
	s_and_b32 s24, s7, 7
	s_add_u32 s20, s14, s8
	s_addc_u32 s21, s15, s9
	s_add_u32 s22, s16, s8
	s_addc_u32 s23, s17, s9
	s_or_b32 s6, s22, s20
	s_delay_alu instid0(SALU_CYCLE_1) | instskip(NEXT) | instid1(SALU_CYCLE_1)
	s_and_b32 s6, s6, 7
	s_cmp_lg_u32 s6, 0
	s_cselect_b32 s6, -1, 0
	s_lshl_b64 s[2:3], s[2:3], 16
	s_delay_alu instid0(SALU_CYCLE_1) | instskip(SKIP_2) | instid1(SALU_CYCLE_1)
	s_sub_u32 s10, s4, s2
	s_subb_u32 s11, s5, s3
	s_and_b32 s26, s4, 3
	s_or_b64 s[2:3], s[24:25], s[26:27]
	s_delay_alu instid0(SALU_CYCLE_1) | instskip(SKIP_1) | instid1(SALU_CYCLE_1)
	s_cmp_lg_u64 s[2:3], 0
	s_cselect_b32 s2, -1, 0
	s_or_b32 s2, s6, s2
	s_delay_alu instid0(SALU_CYCLE_1)
	s_and_not1_b32 vcc_lo, exec_lo, s2
	s_mov_b32 s2, -1
	s_cbranch_vccz .LBB113_5
; %bb.1:
	v_dual_mov_b32 v2, 0 :: v_dual_lshlrev_b32 v1, 2, v0
	s_mov_b32 s24, exec_lo
	s_delay_alu instid0(VALU_DEP_1)
	v_cmpx_gt_i64_e64 s[10:11], v[1:2]
	s_cbranch_execz .LBB113_4
; %bb.2:
	s_load_b32 s2, s[0:1], 0xc5c
	v_lshlrev_b32_e32 v3, 3, v0
	s_waitcnt lgkmcnt(0)
	s_and_b32 s2, s2, 0xffff
	s_delay_alu instid0(SALU_CYCLE_1)
	v_add_lshl_u32 v1, v0, s2, 2
	s_lshl_b32 s26, s2, 2
	s_lshl_b32 s27, s2, 3
.LBB113_3:                              ; =>This Inner Loop Header: Depth=1
	v_add_co_u32 v4, s2, s20, v3
	s_delay_alu instid0(VALU_DEP_1) | instskip(SKIP_1) | instid1(VALU_DEP_1)
	v_add_co_ci_u32_e64 v5, null, s21, 0, s2
	v_add_co_u32 v6, s2, s7, v3
	v_add_co_ci_u32_e64 v7, null, s19, 0, s2
	global_load_b64 v[4:5], v[4:5], off
	global_load_b64 v[6:7], v[6:7], off
	v_cmp_le_i64_e32 vcc_lo, s[10:11], v[1:2]
	v_cmp_lt_u64_e64 s2, 0xffff, v[1:2]
	v_add_co_u32 v8, s3, s22, v3
	s_delay_alu instid0(VALU_DEP_1) | instskip(SKIP_1) | instid1(VALU_DEP_4)
	v_add_co_ci_u32_e64 v9, null, s23, 0, s3
	v_add_co_u32 v1, s3, v1, s26
	s_or_b32 s28, vcc_lo, s2
	v_add_co_ci_u32_e64 v2, s3, 0, v2, s3
	s_waitcnt vmcnt(1)
	v_lshrrev_b32_e32 v12, 16, v4
	v_cvt_f32_f16_e32 v4, v4
	v_lshrrev_b32_e32 v13, 16, v5
	s_waitcnt vmcnt(0)
	v_cvt_f32_f16_e32 v14, v6
	v_cvt_f32_f16_e32 v5, v5
	v_lshrrev_b32_e32 v10, 16, v6
	v_mul_f32_e32 v4, s18, v4
	v_cvt_f32_f16_e32 v12, v12
	v_lshrrev_b32_e32 v11, 16, v7
	v_mul_f32_e32 v5, s18, v5
	v_cvt_f32_f16_e32 v13, v13
	v_cmp_u_f16_e32 vcc_lo, v6, v6
	v_cmp_gt_f32_e64 s5, v4, v14
	v_cvt_f32_f16_e32 v16, v10
	v_cvt_f16_f32_e32 v4, v4
	v_dual_mul_f32 v12, s18, v12 :: v_dual_mul_f32 v13, s18, v13
	v_cvt_f32_f16_e32 v15, v7
	v_cvt_f32_f16_e32 v17, v11
	s_or_b32 vcc_lo, vcc_lo, s5
	v_cmp_u_f16_e64 s3, v10, v10
	v_cndmask_b32_e32 v4, v4, v6, vcc_lo
	v_cmp_gt_f32_e32 vcc_lo, v12, v16
	v_cmp_u_f16_e64 s2, v7, v7
	v_cmp_u_f16_e64 s4, v11, v11
	v_cmp_gt_f32_e64 s6, v5, v15
	v_cvt_f16_f32_e32 v6, v12
	v_cmp_gt_f32_e64 s5, v13, v17
	v_cvt_f16_f32_e32 v5, v5
	v_cvt_f16_f32_e32 v12, v13
	s_or_b32 vcc_lo, s3, vcc_lo
	s_or_b32 s2, s2, s6
	v_cndmask_b32_e32 v6, v6, v10, vcc_lo
	s_or_b32 vcc_lo, s4, s5
	v_cndmask_b32_e64 v5, v5, v7, s2
	v_cndmask_b32_e32 v7, v12, v11, vcc_lo
	s_add_u32 s7, s7, s27
	s_addc_u32 s19, s19, 0
	s_add_u32 s22, s22, s27
	s_addc_u32 s23, s23, 0
	s_add_u32 s20, s20, s27
	v_perm_b32 v5, v7, v5, 0x5040100
	v_perm_b32 v4, v6, v4, 0x5040100
	s_addc_u32 s21, s21, 0
	s_and_b32 s2, exec_lo, s28
	s_delay_alu instid0(SALU_CYCLE_1)
	s_or_b32 s25, s2, s25
	global_store_b64 v[8:9], v[4:5], off
	s_and_not1_b32 exec_lo, exec_lo, s25
	s_cbranch_execnz .LBB113_3
.LBB113_4:
	s_or_b32 exec_lo, exec_lo, s24
	s_mov_b32 s2, 0
.LBB113_5:
	s_delay_alu instid0(SALU_CYCLE_1)
	s_and_not1_b32 vcc_lo, exec_lo, s2
	s_cbranch_vccnz .LBB113_25
; %bb.6:
	v_cmp_lt_i64_e64 s2, s[10:11], 1
	s_delay_alu instid0(VALU_DEP_1)
	s_and_b32 vcc_lo, exec_lo, s2
	s_cbranch_vccnz .LBB113_25
; %bb.7:
	s_load_b32 s0, s[0:1], 0xc5c
	v_dual_mov_b32 v14, 0 :: v_dual_lshlrev_b32 v13, 1, v0
	v_cmp_gt_u64_e64 s1, 0x10000, s[10:11]
	s_mov_b64 s[6:7], 0
	s_delay_alu instid0(VALU_DEP_2) | instskip(NEXT) | instid1(VALU_DEP_1)
	v_add_co_u32 v1, s2, s12, v13
	v_add_co_ci_u32_e64 v2, null, s13, 0, s2
	v_add_co_u32 v3, s2, s14, v13
	s_delay_alu instid0(VALU_DEP_1) | instskip(SKIP_1) | instid1(VALU_DEP_1)
	v_add_co_ci_u32_e64 v4, null, s15, 0, s2
	v_add_co_u32 v5, s2, s16, v13
	v_add_co_ci_u32_e64 v6, null, s17, 0, s2
	s_waitcnt lgkmcnt(0)
	s_and_b32 s0, s0, 0xffff
	s_and_b32 s1, s1, exec_lo
	v_mad_u64_u32 v[11:12], null, s0, 6, v[13:14]
	s_cselect_b32 s5, s11, 0
	s_cselect_b32 s4, s10, 0x10000
	s_mul_i32 s2, s0, 3
	s_lshl_b32 s19, s0, 2
	s_lshl_b32 s1, s0, 1
	v_add_co_u32 v20, s3, s19, v13
	v_add_co_u32 v13, s2, s2, v0
	v_add_co_u32 v7, vcc_lo, s12, v11
	v_add_co_ci_u32_e64 v14, null, 0, 0, s2
	v_add_co_u32 v19, s2, v0, s0
	v_add_co_ci_u32_e32 v8, vcc_lo, s13, v12, vcc_lo
	v_add_co_u32 v9, vcc_lo, s14, v11
	v_add_co_ci_u32_e32 v10, vcc_lo, s15, v12, vcc_lo
	v_add_co_u32 v11, vcc_lo, s16, v11
	v_add_co_ci_u32_e64 v21, null, 0, 0, s3
	v_lshlrev_b32_e32 v29, 1, v19
	v_add_co_ci_u32_e32 v12, vcc_lo, s17, v12, vcc_lo
	v_add_co_u32 v15, vcc_lo, s12, v20
	v_add_co_u32 v23, s1, s1, v0
	v_add_co_ci_u32_e32 v16, vcc_lo, s13, v21, vcc_lo
	v_add_co_ci_u32_e64 v24, null, 0, 0, s1
	v_add_co_u32 v25, s1, s12, v29
	v_add_co_u32 v17, vcc_lo, s14, v20
	v_add_co_ci_u32_e64 v26, null, s13, 0, s1
	v_add_co_u32 v27, s1, s14, v29
	v_add_co_ci_u32_e32 v18, vcc_lo, s15, v21, vcc_lo
	v_add_co_u32 v20, vcc_lo, s16, v20
	v_add_co_ci_u32_e64 v28, null, s15, 0, s1
	v_add_co_u32 v29, s1, s16, v29
	v_add_co_ci_u32_e32 v21, vcc_lo, s17, v21, vcc_lo
	v_add_co_ci_u32_e64 v22, null, 0, 0, s2
	v_add_co_ci_u32_e64 v30, null, s17, 0, s1
	s_lshl_b32 s12, s0, 3
	s_branch .LBB113_9
.LBB113_8:                              ;   in Loop: Header=BB113_9 Depth=1
	s_or_b32 exec_lo, exec_lo, s1
	v_add_co_u32 v1, vcc_lo, v1, s12
	v_add_co_ci_u32_e32 v2, vcc_lo, 0, v2, vcc_lo
	v_add_co_u32 v3, vcc_lo, v3, s12
	v_add_co_ci_u32_e32 v4, vcc_lo, 0, v4, vcc_lo
	;; [unrolled: 2-line block ×9, first 2 shown]
	s_add_u32 s6, s6, s19
	v_add_co_u32 v25, vcc_lo, v25, s12
	s_addc_u32 s7, s7, 0
	v_add_co_ci_u32_e32 v26, vcc_lo, 0, v26, vcc_lo
	v_cmp_ge_i64_e64 s0, s[6:7], s[10:11]
	v_cmp_lt_u64_e64 s1, 0xffff, s[6:7]
	v_add_co_u32 v27, vcc_lo, v27, s12
	v_add_co_ci_u32_e32 v28, vcc_lo, 0, v28, vcc_lo
	v_add_co_u32 v29, vcc_lo, v29, s12
	v_add_co_ci_u32_e32 v30, vcc_lo, 0, v30, vcc_lo
	s_or_b32 s0, s0, s1
	s_delay_alu instid0(SALU_CYCLE_1)
	s_and_b32 vcc_lo, exec_lo, s0
	s_cbranch_vccnz .LBB113_25
.LBB113_9:                              ; =>This Inner Loop Header: Depth=1
	s_waitcnt vmcnt(1)
	v_add_co_u32 v31, s0, v0, s6
	s_delay_alu instid0(VALU_DEP_1) | instskip(SKIP_2) | instid1(VALU_DEP_2)
	v_add_co_ci_u32_e64 v32, null, 0, s7, s0
	s_waitcnt vmcnt(0)
	v_mov_b32_e32 v34, 0
	v_cmp_gt_u64_e32 vcc_lo, s[4:5], v[31:32]
	v_mov_b32_e32 v32, 0
	s_and_saveexec_b32 s1, vcc_lo
	s_cbranch_execz .LBB113_11
; %bb.10:                               ;   in Loop: Header=BB113_9 Depth=1
	v_add_co_u32 v31, s0, v1, s8
	s_delay_alu instid0(VALU_DEP_1) | instskip(SKIP_1) | instid1(VALU_DEP_1)
	v_add_co_ci_u32_e64 v32, s0, s9, v2, s0
	v_add_co_u32 v33, s0, v3, s8
	v_add_co_ci_u32_e64 v34, s0, s9, v4, s0
	global_load_u16 v32, v[31:32], off
	global_load_u16 v34, v[33:34], off
.LBB113_11:                             ;   in Loop: Header=BB113_9 Depth=1
	s_or_b32 exec_lo, exec_lo, s1
	v_add_co_u32 v35, s0, v19, s6
	s_delay_alu instid0(VALU_DEP_1) | instskip(SKIP_2) | instid1(VALU_DEP_3)
	v_add_co_ci_u32_e64 v36, s0, s7, v22, s0
	v_mov_b32_e32 v31, 0
	v_mov_b32_e32 v33, 0
	v_cmp_gt_u64_e64 s0, s[4:5], v[35:36]
	v_mov_b32_e32 v35, 0
	s_delay_alu instid0(VALU_DEP_2)
	s_and_saveexec_b32 s2, s0
	s_cbranch_execz .LBB113_13
; %bb.12:                               ;   in Loop: Header=BB113_9 Depth=1
	v_add_co_u32 v35, s1, v25, s8
	s_delay_alu instid0(VALU_DEP_1) | instskip(SKIP_1) | instid1(VALU_DEP_1)
	v_add_co_ci_u32_e64 v36, s1, s9, v26, s1
	v_add_co_u32 v37, s1, v27, s8
	v_add_co_ci_u32_e64 v38, s1, s9, v28, s1
	global_load_u16 v33, v[35:36], off
	global_load_u16 v35, v[37:38], off
.LBB113_13:                             ;   in Loop: Header=BB113_9 Depth=1
	s_or_b32 exec_lo, exec_lo, s2
	v_add_co_u32 v36, s1, v23, s6
	s_delay_alu instid0(VALU_DEP_1) | instskip(NEXT) | instid1(VALU_DEP_1)
	v_add_co_ci_u32_e64 v37, s1, s7, v24, s1
	v_cmp_gt_u64_e64 s1, s[4:5], v[36:37]
	v_mov_b32_e32 v37, 0
	s_delay_alu instid0(VALU_DEP_2)
	s_and_saveexec_b32 s3, s1
	s_cbranch_execz .LBB113_15
; %bb.14:                               ;   in Loop: Header=BB113_9 Depth=1
	v_add_co_u32 v36, s2, v15, s8
	s_delay_alu instid0(VALU_DEP_1) | instskip(SKIP_1) | instid1(VALU_DEP_1)
	v_add_co_ci_u32_e64 v37, s2, s9, v16, s2
	v_add_co_u32 v38, s2, v17, s8
	v_add_co_ci_u32_e64 v39, s2, s9, v18, s2
	global_load_u16 v31, v[36:37], off
	global_load_u16 v37, v[38:39], off
.LBB113_15:                             ;   in Loop: Header=BB113_9 Depth=1
	s_or_b32 exec_lo, exec_lo, s3
	v_add_co_u32 v38, s2, v13, s6
	s_delay_alu instid0(VALU_DEP_1) | instskip(SKIP_1) | instid1(VALU_DEP_2)
	v_add_co_ci_u32_e64 v39, s2, s7, v14, s2
	v_mov_b32_e32 v36, 0
	v_cmp_gt_u64_e64 s2, s[4:5], v[38:39]
	v_mov_b32_e32 v38, 0
	s_delay_alu instid0(VALU_DEP_2)
	s_and_saveexec_b32 s13, s2
	s_cbranch_execnz .LBB113_20
; %bb.16:                               ;   in Loop: Header=BB113_9 Depth=1
	s_or_b32 exec_lo, exec_lo, s13
	s_and_saveexec_b32 s13, vcc_lo
	s_cbranch_execnz .LBB113_21
.LBB113_17:                             ;   in Loop: Header=BB113_9 Depth=1
	s_or_b32 exec_lo, exec_lo, s13
	s_and_saveexec_b32 s3, s0
	s_cbranch_execnz .LBB113_22
.LBB113_18:                             ;   in Loop: Header=BB113_9 Depth=1
	s_or_b32 exec_lo, exec_lo, s3
	s_and_saveexec_b32 s3, s1
	s_cbranch_execnz .LBB113_23
.LBB113_19:                             ;   in Loop: Header=BB113_9 Depth=1
	s_or_b32 exec_lo, exec_lo, s3
	s_and_saveexec_b32 s1, s2
	s_cbranch_execz .LBB113_8
	s_branch .LBB113_24
.LBB113_20:                             ;   in Loop: Header=BB113_9 Depth=1
	v_add_co_u32 v38, s3, v7, s8
	s_delay_alu instid0(VALU_DEP_1) | instskip(SKIP_1) | instid1(VALU_DEP_1)
	v_add_co_ci_u32_e64 v39, s3, s9, v8, s3
	v_add_co_u32 v40, s3, v9, s8
	v_add_co_ci_u32_e64 v41, s3, s9, v10, s3
	global_load_u16 v36, v[38:39], off
	global_load_u16 v38, v[40:41], off
	s_or_b32 exec_lo, exec_lo, s13
	s_and_saveexec_b32 s13, vcc_lo
	s_cbranch_execz .LBB113_17
.LBB113_21:                             ;   in Loop: Header=BB113_9 Depth=1
	s_waitcnt vmcnt(0)
	v_cvt_f32_f16_e32 v34, v34
	v_cvt_f32_f16_e32 v39, v32
	v_cmp_u_f16_e32 vcc_lo, v32, v32
	s_delay_alu instid0(VALU_DEP_3) | instskip(NEXT) | instid1(VALU_DEP_1)
	v_mul_f32_e32 v34, s18, v34
	v_cmp_gt_f32_e64 s3, v34, v39
	v_cvt_f16_f32_e32 v34, v34
	s_delay_alu instid0(VALU_DEP_2) | instskip(NEXT) | instid1(VALU_DEP_1)
	s_or_b32 vcc_lo, vcc_lo, s3
	v_cndmask_b32_e32 v32, v34, v32, vcc_lo
	v_add_co_u32 v39, vcc_lo, v5, s8
	v_add_co_ci_u32_e32 v40, vcc_lo, s9, v6, vcc_lo
	global_store_b16 v[39:40], v32, off
	s_or_b32 exec_lo, exec_lo, s13
	s_and_saveexec_b32 s3, s0
	s_cbranch_execz .LBB113_18
.LBB113_22:                             ;   in Loop: Header=BB113_9 Depth=1
	s_waitcnt vmcnt(0)
	v_cvt_f32_f16_e32 v32, v35
	v_cvt_f32_f16_e32 v34, v33
	v_cmp_u_f16_e32 vcc_lo, v33, v33
	s_delay_alu instid0(VALU_DEP_3) | instskip(NEXT) | instid1(VALU_DEP_1)
	v_mul_f32_e32 v32, s18, v32
	v_cmp_gt_f32_e64 s0, v32, v34
	v_cvt_f16_f32_e32 v32, v32
	s_delay_alu instid0(VALU_DEP_2) | instskip(NEXT) | instid1(VALU_DEP_1)
	s_or_b32 vcc_lo, vcc_lo, s0
	v_cndmask_b32_e32 v34, v32, v33, vcc_lo
	v_add_co_u32 v32, vcc_lo, v29, s8
	v_add_co_ci_u32_e32 v33, vcc_lo, s9, v30, vcc_lo
	global_store_b16 v[32:33], v34, off
	s_or_b32 exec_lo, exec_lo, s3
	s_and_saveexec_b32 s3, s1
	s_cbranch_execz .LBB113_19
.LBB113_23:                             ;   in Loop: Header=BB113_9 Depth=1
	s_waitcnt vmcnt(0)
	v_cvt_f32_f16_e32 v32, v37
	v_cvt_f32_f16_e32 v33, v31
	v_cmp_u_f16_e32 vcc_lo, v31, v31
	s_delay_alu instid0(VALU_DEP_3) | instskip(NEXT) | instid1(VALU_DEP_1)
	v_mul_f32_e32 v32, s18, v32
	v_cmp_gt_f32_e64 s0, v32, v33
	v_cvt_f16_f32_e32 v32, v32
	s_delay_alu instid0(VALU_DEP_2) | instskip(NEXT) | instid1(VALU_DEP_1)
	s_or_b32 vcc_lo, vcc_lo, s0
	v_cndmask_b32_e32 v33, v32, v31, vcc_lo
	v_add_co_u32 v31, vcc_lo, v20, s8
	v_add_co_ci_u32_e32 v32, vcc_lo, s9, v21, vcc_lo
	global_store_b16 v[31:32], v33, off
	s_or_b32 exec_lo, exec_lo, s3
	s_and_saveexec_b32 s1, s2
	s_cbranch_execz .LBB113_8
.LBB113_24:                             ;   in Loop: Header=BB113_9 Depth=1
	s_waitcnt vmcnt(0)
	v_cvt_f32_f16_e32 v31, v38
	v_cvt_f32_f16_e32 v32, v36
	v_cmp_u_f16_e32 vcc_lo, v36, v36
	s_delay_alu instid0(VALU_DEP_3) | instskip(NEXT) | instid1(VALU_DEP_1)
	v_mul_f32_e32 v31, s18, v31
	v_cmp_gt_f32_e64 s0, v31, v32
	v_cvt_f16_f32_e32 v31, v31
	s_delay_alu instid0(VALU_DEP_2) | instskip(NEXT) | instid1(VALU_DEP_1)
	s_or_b32 vcc_lo, vcc_lo, s0
	v_cndmask_b32_e32 v33, v31, v36, vcc_lo
	v_add_co_u32 v31, vcc_lo, v11, s8
	v_add_co_ci_u32_e32 v32, vcc_lo, s9, v12, vcc_lo
	global_store_b16 v[31:32], v33, off
	s_branch .LBB113_8
.LBB113_25:
	s_nop 0
	s_sendmsg sendmsg(MSG_DEALLOC_VGPRS)
	s_endpgm
	.section	.rodata,"a",@progbits
	.p2align	6, 0x0
	.amdhsa_kernel _ZN2at6native12_GLOBAL__N_125multi_tensor_apply_kernelINS1_18TensorListMetadataILi3EEENS1_24BinaryOpListAlphaFunctorIN3c104HalfELi3ELi2ELi2EEEJNS0_7minimumIfEEfEEEvT_T0_DpT1_
		.amdhsa_group_segment_fixed_size 0
		.amdhsa_private_segment_fixed_size 0
		.amdhsa_kernarg_size 3408
		.amdhsa_user_sgpr_count 15
		.amdhsa_user_sgpr_dispatch_ptr 0
		.amdhsa_user_sgpr_queue_ptr 0
		.amdhsa_user_sgpr_kernarg_segment_ptr 1
		.amdhsa_user_sgpr_dispatch_id 0
		.amdhsa_user_sgpr_private_segment_size 0
		.amdhsa_wavefront_size32 1
		.amdhsa_uses_dynamic_stack 0
		.amdhsa_enable_private_segment 0
		.amdhsa_system_sgpr_workgroup_id_x 1
		.amdhsa_system_sgpr_workgroup_id_y 0
		.amdhsa_system_sgpr_workgroup_id_z 0
		.amdhsa_system_sgpr_workgroup_info 0
		.amdhsa_system_vgpr_workitem_id 0
		.amdhsa_next_free_vgpr 42
		.amdhsa_next_free_sgpr 29
		.amdhsa_reserve_vcc 1
		.amdhsa_float_round_mode_32 0
		.amdhsa_float_round_mode_16_64 0
		.amdhsa_float_denorm_mode_32 3
		.amdhsa_float_denorm_mode_16_64 3
		.amdhsa_dx10_clamp 1
		.amdhsa_ieee_mode 1
		.amdhsa_fp16_overflow 0
		.amdhsa_workgroup_processor_mode 1
		.amdhsa_memory_ordered 1
		.amdhsa_forward_progress 0
		.amdhsa_shared_vgpr_count 0
		.amdhsa_exception_fp_ieee_invalid_op 0
		.amdhsa_exception_fp_denorm_src 0
		.amdhsa_exception_fp_ieee_div_zero 0
		.amdhsa_exception_fp_ieee_overflow 0
		.amdhsa_exception_fp_ieee_underflow 0
		.amdhsa_exception_fp_ieee_inexact 0
		.amdhsa_exception_int_div_zero 0
	.end_amdhsa_kernel
	.section	.text._ZN2at6native12_GLOBAL__N_125multi_tensor_apply_kernelINS1_18TensorListMetadataILi3EEENS1_24BinaryOpListAlphaFunctorIN3c104HalfELi3ELi2ELi2EEEJNS0_7minimumIfEEfEEEvT_T0_DpT1_,"axG",@progbits,_ZN2at6native12_GLOBAL__N_125multi_tensor_apply_kernelINS1_18TensorListMetadataILi3EEENS1_24BinaryOpListAlphaFunctorIN3c104HalfELi3ELi2ELi2EEEJNS0_7minimumIfEEfEEEvT_T0_DpT1_,comdat
.Lfunc_end113:
	.size	_ZN2at6native12_GLOBAL__N_125multi_tensor_apply_kernelINS1_18TensorListMetadataILi3EEENS1_24BinaryOpListAlphaFunctorIN3c104HalfELi3ELi2ELi2EEEJNS0_7minimumIfEEfEEEvT_T0_DpT1_, .Lfunc_end113-_ZN2at6native12_GLOBAL__N_125multi_tensor_apply_kernelINS1_18TensorListMetadataILi3EEENS1_24BinaryOpListAlphaFunctorIN3c104HalfELi3ELi2ELi2EEEJNS0_7minimumIfEEfEEEvT_T0_DpT1_
                                        ; -- End function
	.section	.AMDGPU.csdata,"",@progbits
; Kernel info:
; codeLenInByte = 2032
; NumSgprs: 31
; NumVgprs: 42
; ScratchSize: 0
; MemoryBound: 0
; FloatMode: 240
; IeeeMode: 1
; LDSByteSize: 0 bytes/workgroup (compile time only)
; SGPRBlocks: 3
; VGPRBlocks: 5
; NumSGPRsForWavesPerEU: 31
; NumVGPRsForWavesPerEU: 42
; Occupancy: 16
; WaveLimiterHint : 0
; COMPUTE_PGM_RSRC2:SCRATCH_EN: 0
; COMPUTE_PGM_RSRC2:USER_SGPR: 15
; COMPUTE_PGM_RSRC2:TRAP_HANDLER: 0
; COMPUTE_PGM_RSRC2:TGID_X_EN: 1
; COMPUTE_PGM_RSRC2:TGID_Y_EN: 0
; COMPUTE_PGM_RSRC2:TGID_Z_EN: 0
; COMPUTE_PGM_RSRC2:TIDIG_COMP_CNT: 0
	.section	.text._ZN2at6native12_GLOBAL__N_125multi_tensor_apply_kernelINS1_18TensorListMetadataILi2EEENS1_24BinaryOpListAlphaFunctorIhLi2ELi2ELi0EEEJNS0_7maximumIhEEhEEEvT_T0_DpT1_,"axG",@progbits,_ZN2at6native12_GLOBAL__N_125multi_tensor_apply_kernelINS1_18TensorListMetadataILi2EEENS1_24BinaryOpListAlphaFunctorIhLi2ELi2ELi0EEEJNS0_7maximumIhEEhEEEvT_T0_DpT1_,comdat
	.globl	_ZN2at6native12_GLOBAL__N_125multi_tensor_apply_kernelINS1_18TensorListMetadataILi2EEENS1_24BinaryOpListAlphaFunctorIhLi2ELi2ELi0EEEJNS0_7maximumIhEEhEEEvT_T0_DpT1_ ; -- Begin function _ZN2at6native12_GLOBAL__N_125multi_tensor_apply_kernelINS1_18TensorListMetadataILi2EEENS1_24BinaryOpListAlphaFunctorIhLi2ELi2ELi0EEEJNS0_7maximumIhEEhEEEvT_T0_DpT1_
	.p2align	8
	.type	_ZN2at6native12_GLOBAL__N_125multi_tensor_apply_kernelINS1_18TensorListMetadataILi2EEENS1_24BinaryOpListAlphaFunctorIhLi2ELi2ELi0EEEJNS0_7maximumIhEEhEEEvT_T0_DpT1_,@function
_ZN2at6native12_GLOBAL__N_125multi_tensor_apply_kernelINS1_18TensorListMetadataILi2EEENS1_24BinaryOpListAlphaFunctorIhLi2ELi2ELi0EEEJNS0_7maximumIhEEhEEEvT_T0_DpT1_: ; @_ZN2at6native12_GLOBAL__N_125multi_tensor_apply_kernelINS1_18TensorListMetadataILi2EEENS1_24BinaryOpListAlphaFunctorIhLi2ELi2ELi0EEEJNS0_7maximumIhEEhEEEvT_T0_DpT1_
; %bb.0:
	v_mov_b32_e32 v1, s15
	s_add_u32 s2, s0, s15
	s_mul_hi_u32 s3, s15, 3
	s_mul_i32 s15, s15, 3
	s_addc_u32 s4, s1, 0
	global_load_u8 v1, v1, s[0:1] offset:1536
	s_add_u32 s2, s2, s15
	s_addc_u32 s3, s4, s3
	s_load_b32 s4, s[2:3], 0x740
	s_waitcnt lgkmcnt(0)
	s_ashr_i32 s5, s4, 31
	s_delay_alu instid0(SALU_CYCLE_1) | instskip(SKIP_2) | instid1(VALU_DEP_1)
	s_lshl_b64 s[12:13], s[4:5], 16
	s_waitcnt vmcnt(0)
	v_readfirstlane_b32 s2, v1
	s_lshl_b32 s2, s2, 3
	s_clause 0x3
	s_load_b64 s[8:9], s[0:1], s2 offset:0x0
	s_load_b64 s[10:11], s[0:1], s2 offset:0x200
	;; [unrolled: 1-line block ×3, first 2 shown]
	s_load_b32 s3, s[0:1], 0xc48
	s_waitcnt lgkmcnt(0)
	s_add_u32 s6, s8, s12
	s_addc_u32 s7, s9, s13
	s_add_u32 s14, s10, s12
	s_addc_u32 s15, s11, s13
	s_or_b64 s[4:5], s[16:17], s[6:7]
	s_delay_alu instid0(SALU_CYCLE_1) | instskip(NEXT) | instid1(SALU_CYCLE_1)
	s_or_b32 s2, s14, s4
	s_and_b32 s2, s2, 3
	s_sub_u32 s4, s16, s12
	s_subb_u32 s5, s17, s13
	s_cmp_eq_u32 s2, 0
	s_mov_b32 s2, -1
	s_cbranch_scc0 .LBB114_5
; %bb.1:
	v_dual_mov_b32 v2, 0 :: v_dual_lshlrev_b32 v1, 2, v0
	s_mov_b32 s16, exec_lo
	s_delay_alu instid0(VALU_DEP_1)
	v_cmpx_gt_i64_e64 s[4:5], v[1:2]
	s_cbranch_execz .LBB114_4
; %bb.2:
	s_load_b32 s2, s[0:1], 0xc5c
	s_mov_b32 s17, 0
	s_lshr_b32 s19, s3, 16
	s_waitcnt lgkmcnt(0)
	s_and_b32 s2, s2, 0xffff
	s_delay_alu instid0(SALU_CYCLE_1)
	s_lshl_b32 s18, s2, 2
.LBB114_3:                              ; =>This Inner Loop Header: Depth=1
	v_add_co_u32 v3, vcc_lo, s14, v1
	v_add_co_ci_u32_e32 v4, vcc_lo, s15, v2, vcc_lo
	v_add_co_u32 v5, vcc_lo, s6, v1
	v_add_co_ci_u32_e32 v6, vcc_lo, s7, v2, vcc_lo
	v_add_co_u32 v1, vcc_lo, s18, v1
	global_load_b32 v3, v[3:4], off
	global_load_b32 v4, v[5:6], off
	v_add_co_ci_u32_e32 v2, vcc_lo, 0, v2, vcc_lo
	s_delay_alu instid0(VALU_DEP_1) | instskip(SKIP_1) | instid1(VALU_DEP_1)
	v_cmp_le_i64_e32 vcc_lo, s[4:5], v[1:2]
	v_cmp_lt_u64_e64 s2, 0xffff, v[1:2]
	s_or_b32 s2, vcc_lo, s2
	s_delay_alu instid0(SALU_CYCLE_1) | instskip(NEXT) | instid1(SALU_CYCLE_1)
	s_and_b32 s2, exec_lo, s2
	s_or_b32 s17, s2, s17
	s_waitcnt vmcnt(1)
	v_lshrrev_b32_e32 v10, 8, v3
	v_mul_lo_u16 v8, v3, s19
	s_waitcnt vmcnt(0)
	v_lshrrev_b32_e32 v9, 8, v4
	v_lshrrev_b32_e32 v12, 16, v3
	;; [unrolled: 1-line block ×3, first 2 shown]
	v_mul_lo_u16 v10, v10, s19
	v_and_b32_e32 v7, 0xff, v4
	v_lshrrev_b32_e32 v11, 16, v4
	v_and_b32_e32 v8, 0xff, v8
	v_and_b32_e32 v9, 0xff, v9
	v_mul_lo_u16 v12, v12, s19
	v_mul_lo_u16 v3, v3, s19
	v_and_b32_e32 v10, 0xff, v10
	v_lshrrev_b32_e32 v4, 24, v4
	v_and_b32_e32 v11, 0xff, v11
	v_max_u16 v7, v7, v8
	v_and_b32_e32 v8, 0xff, v12
	v_and_b32_e32 v3, 0xff, v3
	v_max_u16 v9, v9, v10
	s_delay_alu instid0(VALU_DEP_4) | instskip(NEXT) | instid1(VALU_DEP_4)
	v_and_b32_e32 v7, 0xffff, v7
	v_max_u16 v8, v11, v8
	s_delay_alu instid0(VALU_DEP_4) | instskip(NEXT) | instid1(VALU_DEP_4)
	v_max_u16 v3, v4, v3
	v_and_b32_e32 v4, 0xffff, v9
	s_delay_alu instid0(VALU_DEP_3) | instskip(NEXT) | instid1(VALU_DEP_3)
	v_lshlrev_b32_e32 v8, 16, v8
	v_lshlrev_b32_e32 v3, 24, v3
	s_delay_alu instid0(VALU_DEP_3) | instskip(NEXT) | instid1(VALU_DEP_1)
	v_lshl_or_b32 v4, v4, 8, v7
	v_or3_b32 v3, v4, v8, v3
	global_store_b32 v[5:6], v3, off
	s_and_not1_b32 exec_lo, exec_lo, s17
	s_cbranch_execnz .LBB114_3
.LBB114_4:
	s_or_b32 exec_lo, exec_lo, s16
	s_mov_b32 s2, 0
.LBB114_5:
	s_delay_alu instid0(SALU_CYCLE_1)
	s_and_not1_b32 vcc_lo, exec_lo, s2
	s_cbranch_vccnz .LBB114_25
; %bb.6:
	v_cmp_lt_i64_e64 s2, s[4:5], 1
	s_delay_alu instid0(VALU_DEP_1)
	s_and_b32 vcc_lo, exec_lo, s2
	s_cbranch_vccnz .LBB114_25
; %bb.7:
	s_load_b32 s0, s[0:1], 0xc5c
	v_add_co_u32 v15, s1, s12, v0
	s_delay_alu instid0(VALU_DEP_1) | instskip(SKIP_1) | instid1(VALU_DEP_3)
	v_add_co_ci_u32_e64 v16, null, s13, 0, s1
	v_cmp_gt_u64_e64 s1, 0x10000, s[4:5]
	v_add_co_u32 v1, vcc_lo, s8, v15
	s_delay_alu instid0(VALU_DEP_3)
	v_add_co_ci_u32_e32 v2, vcc_lo, s9, v16, vcc_lo
	v_add_co_u32 v3, vcc_lo, s10, v15
	v_add_co_ci_u32_e32 v4, vcc_lo, s11, v16, vcc_lo
	s_waitcnt lgkmcnt(0)
	s_and_b32 s0, s0, 0xffff
	s_and_b32 s1, s1, exec_lo
	s_mul_i32 s2, s0, 3
	s_cselect_b32 s7, s5, 0
	s_cselect_b32 s6, s4, 0x10000
	s_lshl_b32 s1, s0, 1
	s_lshl_b32 s14, s0, 2
	s_add_u32 s15, s12, s2
	s_addc_u32 s16, s13, 0
	v_add_co_u32 v7, s15, s15, v0
	s_delay_alu instid0(VALU_DEP_1) | instskip(SKIP_1) | instid1(VALU_DEP_2)
	v_add_co_ci_u32_e64 v8, null, s16, 0, s15
	s_add_u32 s12, s12, s1
	v_add_co_u32 v5, vcc_lo, s8, v7
	s_addc_u32 s13, s13, 0
	v_add_co_u32 v13, s12, s12, v0
	v_add_co_ci_u32_e32 v6, vcc_lo, s9, v8, vcc_lo
	v_add_co_u32 v7, vcc_lo, s10, v7
	v_add_co_ci_u32_e64 v14, null, s13, 0, s12
	v_add_co_ci_u32_e32 v8, vcc_lo, s11, v8, vcc_lo
	v_add_co_u32 v11, vcc_lo, s8, v13
	s_delay_alu instid0(VALU_DEP_3)
	v_add_co_ci_u32_e32 v12, vcc_lo, s9, v14, vcc_lo
	v_add_co_u32 v13, vcc_lo, s10, v13
	v_add_co_ci_u32_e32 v14, vcc_lo, s11, v14, vcc_lo
	v_add_co_u32 v19, vcc_lo, v15, s0
	v_add_co_ci_u32_e32 v20, vcc_lo, 0, v16, vcc_lo
	v_add_co_u32 v9, s2, s2, v0
	s_delay_alu instid0(VALU_DEP_3) | instskip(NEXT) | instid1(VALU_DEP_3)
	v_add_co_u32 v17, vcc_lo, s8, v19
	v_add_co_ci_u32_e32 v18, vcc_lo, s9, v20, vcc_lo
	v_add_co_u32 v15, s1, s1, v0
	v_add_co_u32 v19, vcc_lo, s10, v19
	v_add_co_u32 v21, s0, v0, s0
	v_add_co_ci_u32_e64 v10, null, 0, 0, s2
	v_add_co_ci_u32_e64 v16, null, 0, 0, s1
	v_add_co_ci_u32_e32 v20, vcc_lo, s11, v20, vcc_lo
	v_add_co_ci_u32_e64 v22, null, 0, 0, s0
	s_mov_b64 s[8:9], 0
	s_lshr_b32 s10, s3, 16
	s_branch .LBB114_9
.LBB114_8:                              ;   in Loop: Header=BB114_9 Depth=1
	s_or_b32 exec_lo, exec_lo, s0
	s_add_u32 s8, s8, s14
	s_addc_u32 s9, s9, 0
	s_delay_alu instid0(SALU_CYCLE_1) | instskip(SKIP_1) | instid1(VALU_DEP_1)
	v_cmp_ge_i64_e64 s0, s[8:9], s[4:5]
	v_cmp_lt_u64_e64 s1, 0xffff, s[8:9]
	s_or_b32 s0, s0, s1
	s_delay_alu instid0(SALU_CYCLE_1)
	s_and_b32 vcc_lo, exec_lo, s0
	s_cbranch_vccnz .LBB114_25
.LBB114_9:                              ; =>This Inner Loop Header: Depth=1
	s_waitcnt vmcnt(0)
	v_add_co_u32 v25, s0, v0, s8
	s_delay_alu instid0(VALU_DEP_1) | instskip(SKIP_1) | instid1(VALU_DEP_2)
	v_add_co_ci_u32_e64 v26, null, 0, s9, s0
	v_dual_mov_b32 v24, 0 :: v_dual_mov_b32 v23, 0
	v_cmp_gt_u64_e32 vcc_lo, s[6:7], v[25:26]
	v_mov_b32_e32 v25, 0
	s_and_saveexec_b32 s1, vcc_lo
	s_cbranch_execz .LBB114_11
; %bb.10:                               ;   in Loop: Header=BB114_9 Depth=1
	v_add_co_u32 v25, s0, v1, s8
	s_delay_alu instid0(VALU_DEP_1) | instskip(SKIP_1) | instid1(VALU_DEP_1)
	v_add_co_ci_u32_e64 v26, s0, s9, v2, s0
	v_add_co_u32 v27, s0, v3, s8
	v_add_co_ci_u32_e64 v28, s0, s9, v4, s0
	global_load_u8 v23, v[25:26], off
	global_load_u8 v25, v[27:28], off
.LBB114_11:                             ;   in Loop: Header=BB114_9 Depth=1
	s_or_b32 exec_lo, exec_lo, s1
	v_add_co_u32 v26, s0, v21, s8
	s_delay_alu instid0(VALU_DEP_1) | instskip(NEXT) | instid1(VALU_DEP_1)
	v_add_co_ci_u32_e64 v27, s0, s9, v22, s0
	v_cmp_gt_u64_e64 s0, s[6:7], v[26:27]
	s_delay_alu instid0(VALU_DEP_1)
	s_and_saveexec_b32 s2, s0
	s_cbranch_execz .LBB114_13
; %bb.12:                               ;   in Loop: Header=BB114_9 Depth=1
	v_add_co_u32 v26, s1, v17, s8
	s_delay_alu instid0(VALU_DEP_1) | instskip(SKIP_2) | instid1(VALU_DEP_1)
	v_add_co_ci_u32_e64 v27, s1, s9, v18, s1
	global_load_u8 v28, v[26:27], off
	v_add_co_u32 v26, s1, v19, s8
	v_add_co_ci_u32_e64 v27, s1, s9, v20, s1
	global_load_u8 v24, v[26:27], off
	s_waitcnt vmcnt(1)
	v_lshl_or_b32 v23, v28, 8, v23
.LBB114_13:                             ;   in Loop: Header=BB114_9 Depth=1
	s_or_b32 exec_lo, exec_lo, s2
	v_add_co_u32 v26, s1, v15, s8
	s_delay_alu instid0(VALU_DEP_1) | instskip(NEXT) | instid1(VALU_DEP_1)
	v_add_co_ci_u32_e64 v27, s1, s9, v16, s1
	v_cmp_gt_u64_e64 s1, s[6:7], v[26:27]
	v_dual_mov_b32 v26, 0 :: v_dual_mov_b32 v27, 0
	s_delay_alu instid0(VALU_DEP_2)
	s_and_saveexec_b32 s3, s1
	s_cbranch_execz .LBB114_15
; %bb.14:                               ;   in Loop: Header=BB114_9 Depth=1
	v_add_co_u32 v27, s2, v11, s8
	s_delay_alu instid0(VALU_DEP_1) | instskip(SKIP_2) | instid1(VALU_DEP_1)
	v_add_co_ci_u32_e64 v28, s2, s9, v12, s2
	global_load_u8 v29, v[27:28], off
	v_add_co_u32 v27, s2, v13, s8
	v_add_co_ci_u32_e64 v28, s2, s9, v14, s2
	global_load_u8 v27, v[27:28], off
	s_waitcnt vmcnt(1)
	v_lshl_or_b32 v23, v29, 16, v23
.LBB114_15:                             ;   in Loop: Header=BB114_9 Depth=1
	s_or_b32 exec_lo, exec_lo, s3
	v_add_co_u32 v28, s2, v9, s8
	s_delay_alu instid0(VALU_DEP_1) | instskip(NEXT) | instid1(VALU_DEP_1)
	v_add_co_ci_u32_e64 v29, s2, s9, v10, s2
	v_cmp_gt_u64_e64 s2, s[6:7], v[28:29]
	s_delay_alu instid0(VALU_DEP_1)
	s_and_saveexec_b32 s11, s2
	s_cbranch_execnz .LBB114_20
; %bb.16:                               ;   in Loop: Header=BB114_9 Depth=1
	s_or_b32 exec_lo, exec_lo, s11
	s_and_saveexec_b32 s3, vcc_lo
	s_cbranch_execnz .LBB114_21
.LBB114_17:                             ;   in Loop: Header=BB114_9 Depth=1
	s_or_b32 exec_lo, exec_lo, s3
	s_and_saveexec_b32 s3, s0
	s_cbranch_execnz .LBB114_22
.LBB114_18:                             ;   in Loop: Header=BB114_9 Depth=1
	s_or_b32 exec_lo, exec_lo, s3
	s_and_saveexec_b32 s0, s1
	s_cbranch_execnz .LBB114_23
.LBB114_19:                             ;   in Loop: Header=BB114_9 Depth=1
	s_or_b32 exec_lo, exec_lo, s0
	s_and_saveexec_b32 s0, s2
	s_cbranch_execz .LBB114_8
	s_branch .LBB114_24
.LBB114_20:                             ;   in Loop: Header=BB114_9 Depth=1
	v_add_co_u32 v28, s3, v5, s8
	s_delay_alu instid0(VALU_DEP_1) | instskip(SKIP_2) | instid1(VALU_DEP_1)
	v_add_co_ci_u32_e64 v29, s3, s9, v6, s3
	global_load_u8 v30, v[28:29], off
	v_add_co_u32 v28, s3, v7, s8
	v_add_co_ci_u32_e64 v29, s3, s9, v8, s3
	global_load_u8 v26, v[28:29], off
	s_waitcnt vmcnt(1)
	v_lshl_or_b32 v23, v30, 24, v23
	s_or_b32 exec_lo, exec_lo, s11
	s_and_saveexec_b32 s3, vcc_lo
	s_cbranch_execz .LBB114_17
.LBB114_21:                             ;   in Loop: Header=BB114_9 Depth=1
	s_waitcnt vmcnt(0)
	v_mul_lo_u16 v25, v25, s10
	v_and_b32_e32 v28, 0xff, v23
	s_delay_alu instid0(VALU_DEP_2) | instskip(NEXT) | instid1(VALU_DEP_1)
	v_and_b32_e32 v25, 0xff, v25
	v_max_u16 v25, v28, v25
	v_add_co_u32 v28, vcc_lo, v1, s8
	v_add_co_ci_u32_e32 v29, vcc_lo, s9, v2, vcc_lo
	global_store_b8 v[28:29], v25, off
	s_or_b32 exec_lo, exec_lo, s3
	s_and_saveexec_b32 s3, s0
	s_cbranch_execz .LBB114_18
.LBB114_22:                             ;   in Loop: Header=BB114_9 Depth=1
	s_waitcnt vmcnt(0)
	v_lshrrev_b32_e32 v25, 8, v23
	v_mul_lo_u16 v24, v24, s10
	s_delay_alu instid0(VALU_DEP_2) | instskip(NEXT) | instid1(VALU_DEP_2)
	v_and_b32_e32 v25, 0xff, v25
	v_and_b32_e32 v24, 0xff, v24
	s_delay_alu instid0(VALU_DEP_1)
	v_max_u16 v28, v25, v24
	v_add_co_u32 v24, vcc_lo, v17, s8
	v_add_co_ci_u32_e32 v25, vcc_lo, s9, v18, vcc_lo
	global_store_b8 v[24:25], v28, off
	s_or_b32 exec_lo, exec_lo, s3
	s_and_saveexec_b32 s0, s1
	s_cbranch_execz .LBB114_19
.LBB114_23:                             ;   in Loop: Header=BB114_9 Depth=1
	s_waitcnt vmcnt(0)
	v_lshrrev_b32_e32 v24, 16, v23
	v_mul_lo_u16 v25, v27, s10
	s_delay_alu instid0(VALU_DEP_2) | instskip(NEXT) | instid1(VALU_DEP_2)
	v_and_b32_e32 v24, 0xff, v24
	v_and_b32_e32 v25, 0xff, v25
	s_delay_alu instid0(VALU_DEP_1)
	v_max_u16 v27, v24, v25
	v_add_co_u32 v24, vcc_lo, v11, s8
	v_add_co_ci_u32_e32 v25, vcc_lo, s9, v12, vcc_lo
	global_store_b8 v[24:25], v27, off
	s_or_b32 exec_lo, exec_lo, s0
	s_and_saveexec_b32 s0, s2
	s_cbranch_execz .LBB114_8
.LBB114_24:                             ;   in Loop: Header=BB114_9 Depth=1
	s_waitcnt vmcnt(0)
	v_mul_lo_u16 v24, v26, s10
	v_lshrrev_b32_e32 v23, 24, v23
	s_delay_alu instid0(VALU_DEP_2) | instskip(NEXT) | instid1(VALU_DEP_1)
	v_and_b32_e32 v24, 0xff, v24
	v_max_u16 v25, v23, v24
	v_add_co_u32 v23, vcc_lo, v5, s8
	v_add_co_ci_u32_e32 v24, vcc_lo, s9, v6, vcc_lo
	global_store_b8 v[23:24], v25, off
	s_branch .LBB114_8
.LBB114_25:
	s_nop 0
	s_sendmsg sendmsg(MSG_DEALLOC_VGPRS)
	s_endpgm
	.section	.rodata,"a",@progbits
	.p2align	6, 0x0
	.amdhsa_kernel _ZN2at6native12_GLOBAL__N_125multi_tensor_apply_kernelINS1_18TensorListMetadataILi2EEENS1_24BinaryOpListAlphaFunctorIhLi2ELi2ELi0EEEJNS0_7maximumIhEEhEEEvT_T0_DpT1_
		.amdhsa_group_segment_fixed_size 0
		.amdhsa_private_segment_fixed_size 0
		.amdhsa_kernarg_size 3408
		.amdhsa_user_sgpr_count 15
		.amdhsa_user_sgpr_dispatch_ptr 0
		.amdhsa_user_sgpr_queue_ptr 0
		.amdhsa_user_sgpr_kernarg_segment_ptr 1
		.amdhsa_user_sgpr_dispatch_id 0
		.amdhsa_user_sgpr_private_segment_size 0
		.amdhsa_wavefront_size32 1
		.amdhsa_uses_dynamic_stack 0
		.amdhsa_enable_private_segment 0
		.amdhsa_system_sgpr_workgroup_id_x 1
		.amdhsa_system_sgpr_workgroup_id_y 0
		.amdhsa_system_sgpr_workgroup_id_z 0
		.amdhsa_system_sgpr_workgroup_info 0
		.amdhsa_system_vgpr_workitem_id 0
		.amdhsa_next_free_vgpr 31
		.amdhsa_next_free_sgpr 20
		.amdhsa_reserve_vcc 1
		.amdhsa_float_round_mode_32 0
		.amdhsa_float_round_mode_16_64 0
		.amdhsa_float_denorm_mode_32 3
		.amdhsa_float_denorm_mode_16_64 3
		.amdhsa_dx10_clamp 1
		.amdhsa_ieee_mode 1
		.amdhsa_fp16_overflow 0
		.amdhsa_workgroup_processor_mode 1
		.amdhsa_memory_ordered 1
		.amdhsa_forward_progress 0
		.amdhsa_shared_vgpr_count 0
		.amdhsa_exception_fp_ieee_invalid_op 0
		.amdhsa_exception_fp_denorm_src 0
		.amdhsa_exception_fp_ieee_div_zero 0
		.amdhsa_exception_fp_ieee_overflow 0
		.amdhsa_exception_fp_ieee_underflow 0
		.amdhsa_exception_fp_ieee_inexact 0
		.amdhsa_exception_int_div_zero 0
	.end_amdhsa_kernel
	.section	.text._ZN2at6native12_GLOBAL__N_125multi_tensor_apply_kernelINS1_18TensorListMetadataILi2EEENS1_24BinaryOpListAlphaFunctorIhLi2ELi2ELi0EEEJNS0_7maximumIhEEhEEEvT_T0_DpT1_,"axG",@progbits,_ZN2at6native12_GLOBAL__N_125multi_tensor_apply_kernelINS1_18TensorListMetadataILi2EEENS1_24BinaryOpListAlphaFunctorIhLi2ELi2ELi0EEEJNS0_7maximumIhEEhEEEvT_T0_DpT1_,comdat
.Lfunc_end114:
	.size	_ZN2at6native12_GLOBAL__N_125multi_tensor_apply_kernelINS1_18TensorListMetadataILi2EEENS1_24BinaryOpListAlphaFunctorIhLi2ELi2ELi0EEEJNS0_7maximumIhEEhEEEvT_T0_DpT1_, .Lfunc_end114-_ZN2at6native12_GLOBAL__N_125multi_tensor_apply_kernelINS1_18TensorListMetadataILi2EEENS1_24BinaryOpListAlphaFunctorIhLi2ELi2ELi0EEEJNS0_7maximumIhEEhEEEvT_T0_DpT1_
                                        ; -- End function
	.section	.AMDGPU.csdata,"",@progbits
; Kernel info:
; codeLenInByte = 1744
; NumSgprs: 22
; NumVgprs: 31
; ScratchSize: 0
; MemoryBound: 0
; FloatMode: 240
; IeeeMode: 1
; LDSByteSize: 0 bytes/workgroup (compile time only)
; SGPRBlocks: 2
; VGPRBlocks: 3
; NumSGPRsForWavesPerEU: 22
; NumVGPRsForWavesPerEU: 31
; Occupancy: 16
; WaveLimiterHint : 0
; COMPUTE_PGM_RSRC2:SCRATCH_EN: 0
; COMPUTE_PGM_RSRC2:USER_SGPR: 15
; COMPUTE_PGM_RSRC2:TRAP_HANDLER: 0
; COMPUTE_PGM_RSRC2:TGID_X_EN: 1
; COMPUTE_PGM_RSRC2:TGID_Y_EN: 0
; COMPUTE_PGM_RSRC2:TGID_Z_EN: 0
; COMPUTE_PGM_RSRC2:TIDIG_COMP_CNT: 0
	.section	.text._ZN2at6native12_GLOBAL__N_125multi_tensor_apply_kernelINS1_18TensorListMetadataILi2EEENS1_24BinaryOpListAlphaFunctorIaLi2ELi2ELi0EEEJNS0_7maximumIaEEaEEEvT_T0_DpT1_,"axG",@progbits,_ZN2at6native12_GLOBAL__N_125multi_tensor_apply_kernelINS1_18TensorListMetadataILi2EEENS1_24BinaryOpListAlphaFunctorIaLi2ELi2ELi0EEEJNS0_7maximumIaEEaEEEvT_T0_DpT1_,comdat
	.globl	_ZN2at6native12_GLOBAL__N_125multi_tensor_apply_kernelINS1_18TensorListMetadataILi2EEENS1_24BinaryOpListAlphaFunctorIaLi2ELi2ELi0EEEJNS0_7maximumIaEEaEEEvT_T0_DpT1_ ; -- Begin function _ZN2at6native12_GLOBAL__N_125multi_tensor_apply_kernelINS1_18TensorListMetadataILi2EEENS1_24BinaryOpListAlphaFunctorIaLi2ELi2ELi0EEEJNS0_7maximumIaEEaEEEvT_T0_DpT1_
	.p2align	8
	.type	_ZN2at6native12_GLOBAL__N_125multi_tensor_apply_kernelINS1_18TensorListMetadataILi2EEENS1_24BinaryOpListAlphaFunctorIaLi2ELi2ELi0EEEJNS0_7maximumIaEEaEEEvT_T0_DpT1_,@function
_ZN2at6native12_GLOBAL__N_125multi_tensor_apply_kernelINS1_18TensorListMetadataILi2EEENS1_24BinaryOpListAlphaFunctorIaLi2ELi2ELi0EEEJNS0_7maximumIaEEaEEEvT_T0_DpT1_: ; @_ZN2at6native12_GLOBAL__N_125multi_tensor_apply_kernelINS1_18TensorListMetadataILi2EEENS1_24BinaryOpListAlphaFunctorIaLi2ELi2ELi0EEEJNS0_7maximumIaEEaEEEvT_T0_DpT1_
; %bb.0:
	v_mov_b32_e32 v1, s15
	s_add_u32 s2, s0, s15
	s_mul_hi_u32 s3, s15, 3
	s_mul_i32 s15, s15, 3
	s_addc_u32 s4, s1, 0
	global_load_u8 v1, v1, s[0:1] offset:1536
	s_add_u32 s2, s2, s15
	s_addc_u32 s3, s4, s3
	s_load_b32 s4, s[2:3], 0x740
	s_waitcnt lgkmcnt(0)
	s_ashr_i32 s5, s4, 31
	s_delay_alu instid0(SALU_CYCLE_1) | instskip(SKIP_2) | instid1(VALU_DEP_1)
	s_lshl_b64 s[12:13], s[4:5], 16
	s_waitcnt vmcnt(0)
	v_readfirstlane_b32 s2, v1
	s_lshl_b32 s2, s2, 3
	s_clause 0x3
	s_load_b64 s[8:9], s[0:1], s2 offset:0x0
	s_load_b64 s[10:11], s[0:1], s2 offset:0x200
	;; [unrolled: 1-line block ×3, first 2 shown]
	s_load_b32 s3, s[0:1], 0xc48
	s_waitcnt lgkmcnt(0)
	s_add_u32 s6, s8, s12
	s_addc_u32 s7, s9, s13
	s_add_u32 s14, s10, s12
	s_addc_u32 s15, s11, s13
	s_or_b64 s[4:5], s[16:17], s[6:7]
	s_delay_alu instid0(SALU_CYCLE_1) | instskip(NEXT) | instid1(SALU_CYCLE_1)
	s_or_b32 s2, s14, s4
	s_and_b32 s2, s2, 3
	s_sub_u32 s4, s16, s12
	s_subb_u32 s5, s17, s13
	s_cmp_eq_u32 s2, 0
	s_mov_b32 s2, -1
	s_cbranch_scc0 .LBB115_5
; %bb.1:
	v_dual_mov_b32 v2, 0 :: v_dual_lshlrev_b32 v1, 2, v0
	s_mov_b32 s16, exec_lo
	s_delay_alu instid0(VALU_DEP_1)
	v_cmpx_gt_i64_e64 s[4:5], v[1:2]
	s_cbranch_execz .LBB115_4
; %bb.2:
	s_load_b32 s2, s[0:1], 0xc5c
	s_mov_b32 s17, 0
	s_lshr_b32 s19, s3, 16
	s_waitcnt lgkmcnt(0)
	s_and_b32 s2, s2, 0xffff
	s_delay_alu instid0(SALU_CYCLE_1)
	s_lshl_b32 s18, s2, 2
.LBB115_3:                              ; =>This Inner Loop Header: Depth=1
	v_add_co_u32 v3, vcc_lo, s14, v1
	v_add_co_ci_u32_e32 v4, vcc_lo, s15, v2, vcc_lo
	v_add_co_u32 v5, vcc_lo, s6, v1
	v_add_co_ci_u32_e32 v6, vcc_lo, s7, v2, vcc_lo
	v_add_co_u32 v1, vcc_lo, s18, v1
	global_load_b32 v3, v[3:4], off
	global_load_b32 v4, v[5:6], off
	v_add_co_ci_u32_e32 v2, vcc_lo, 0, v2, vcc_lo
	s_delay_alu instid0(VALU_DEP_1) | instskip(SKIP_1) | instid1(VALU_DEP_1)
	v_cmp_le_i64_e32 vcc_lo, s[4:5], v[1:2]
	v_cmp_lt_u64_e64 s2, 0xffff, v[1:2]
	s_or_b32 s2, vcc_lo, s2
	s_delay_alu instid0(SALU_CYCLE_1) | instskip(NEXT) | instid1(SALU_CYCLE_1)
	s_and_b32 s2, exec_lo, s2
	s_or_b32 s17, s2, s17
	s_waitcnt vmcnt(1)
	v_lshrrev_b32_e32 v10, 8, v3
	v_lshrrev_b32_e32 v12, 16, v3
	v_mul_lo_u16 v8, v3, s19
	s_waitcnt vmcnt(0)
	v_lshrrev_b32_e32 v9, 8, v4
	v_lshrrev_b32_e32 v11, 16, v4
	;; [unrolled: 1-line block ×3, first 2 shown]
	v_mul_lo_u16 v10, v10, s19
	v_mul_lo_u16 v12, v12, s19
	v_bfe_i32 v7, v4, 0, 8
	v_lshrrev_b32_e32 v4, 24, v4
	v_bfe_i32 v9, v9, 0, 8
	v_bfe_i32 v11, v11, 0, 8
	v_mul_lo_u16 v3, v3, s19
	v_bfe_i32 v10, v10, 0, 8
	v_bfe_i32 v12, v12, 0, 8
	;; [unrolled: 1-line block ×5, first 2 shown]
	v_max_i16 v9, v9, v10
	v_max_i16 v10, v11, v12
	;; [unrolled: 1-line block ×3, first 2 shown]
	s_delay_alu instid0(VALU_DEP_4) | instskip(NEXT) | instid1(VALU_DEP_4)
	v_max_i16 v3, v4, v3
	v_and_b32_e32 v4, 0xff, v9
	s_delay_alu instid0(VALU_DEP_4) | instskip(NEXT) | instid1(VALU_DEP_3)
	v_and_b32_e32 v8, 0xff, v10
	v_lshlrev_b32_e32 v3, 24, v3
	s_delay_alu instid0(VALU_DEP_3) | instskip(NEXT) | instid1(VALU_DEP_3)
	v_perm_b32 v4, v4, v7, 0x6050400
	v_lshlrev_b32_e32 v7, 16, v8
	s_delay_alu instid0(VALU_DEP_1)
	v_or3_b32 v3, v4, v7, v3
	global_store_b32 v[5:6], v3, off
	s_and_not1_b32 exec_lo, exec_lo, s17
	s_cbranch_execnz .LBB115_3
.LBB115_4:
	s_or_b32 exec_lo, exec_lo, s16
	s_mov_b32 s2, 0
.LBB115_5:
	s_delay_alu instid0(SALU_CYCLE_1)
	s_and_not1_b32 vcc_lo, exec_lo, s2
	s_cbranch_vccnz .LBB115_25
; %bb.6:
	v_cmp_lt_i64_e64 s2, s[4:5], 1
	s_delay_alu instid0(VALU_DEP_1)
	s_and_b32 vcc_lo, exec_lo, s2
	s_cbranch_vccnz .LBB115_25
; %bb.7:
	s_load_b32 s0, s[0:1], 0xc5c
	v_add_co_u32 v15, s1, s12, v0
	s_delay_alu instid0(VALU_DEP_1) | instskip(SKIP_1) | instid1(VALU_DEP_3)
	v_add_co_ci_u32_e64 v16, null, s13, 0, s1
	v_cmp_gt_u64_e64 s1, 0x10000, s[4:5]
	v_add_co_u32 v1, vcc_lo, s8, v15
	s_delay_alu instid0(VALU_DEP_3)
	v_add_co_ci_u32_e32 v2, vcc_lo, s9, v16, vcc_lo
	v_add_co_u32 v3, vcc_lo, s10, v15
	v_add_co_ci_u32_e32 v4, vcc_lo, s11, v16, vcc_lo
	s_waitcnt lgkmcnt(0)
	s_and_b32 s0, s0, 0xffff
	s_and_b32 s1, s1, exec_lo
	s_mul_i32 s2, s0, 3
	s_cselect_b32 s7, s5, 0
	s_cselect_b32 s6, s4, 0x10000
	s_lshl_b32 s1, s0, 1
	s_lshl_b32 s14, s0, 2
	s_add_u32 s15, s12, s2
	s_addc_u32 s16, s13, 0
	v_add_co_u32 v7, s15, s15, v0
	s_delay_alu instid0(VALU_DEP_1) | instskip(SKIP_1) | instid1(VALU_DEP_2)
	v_add_co_ci_u32_e64 v8, null, s16, 0, s15
	s_add_u32 s12, s12, s1
	v_add_co_u32 v5, vcc_lo, s8, v7
	s_addc_u32 s13, s13, 0
	v_add_co_u32 v13, s12, s12, v0
	v_add_co_ci_u32_e32 v6, vcc_lo, s9, v8, vcc_lo
	v_add_co_u32 v7, vcc_lo, s10, v7
	v_add_co_ci_u32_e64 v14, null, s13, 0, s12
	v_add_co_ci_u32_e32 v8, vcc_lo, s11, v8, vcc_lo
	v_add_co_u32 v11, vcc_lo, s8, v13
	s_delay_alu instid0(VALU_DEP_3)
	v_add_co_ci_u32_e32 v12, vcc_lo, s9, v14, vcc_lo
	v_add_co_u32 v13, vcc_lo, s10, v13
	v_add_co_ci_u32_e32 v14, vcc_lo, s11, v14, vcc_lo
	v_add_co_u32 v19, vcc_lo, v15, s0
	v_add_co_ci_u32_e32 v20, vcc_lo, 0, v16, vcc_lo
	v_add_co_u32 v9, s2, s2, v0
	s_delay_alu instid0(VALU_DEP_3) | instskip(NEXT) | instid1(VALU_DEP_3)
	v_add_co_u32 v17, vcc_lo, s8, v19
	v_add_co_ci_u32_e32 v18, vcc_lo, s9, v20, vcc_lo
	v_add_co_u32 v15, s1, s1, v0
	v_add_co_u32 v19, vcc_lo, s10, v19
	v_add_co_u32 v21, s0, v0, s0
	v_add_co_ci_u32_e64 v10, null, 0, 0, s2
	v_add_co_ci_u32_e64 v16, null, 0, 0, s1
	v_add_co_ci_u32_e32 v20, vcc_lo, s11, v20, vcc_lo
	v_add_co_ci_u32_e64 v22, null, 0, 0, s0
	s_mov_b64 s[8:9], 0
	s_lshr_b32 s10, s3, 16
	s_branch .LBB115_9
.LBB115_8:                              ;   in Loop: Header=BB115_9 Depth=1
	s_or_b32 exec_lo, exec_lo, s0
	s_add_u32 s8, s8, s14
	s_addc_u32 s9, s9, 0
	s_delay_alu instid0(SALU_CYCLE_1) | instskip(SKIP_1) | instid1(VALU_DEP_1)
	v_cmp_ge_i64_e64 s0, s[8:9], s[4:5]
	v_cmp_lt_u64_e64 s1, 0xffff, s[8:9]
	s_or_b32 s0, s0, s1
	s_delay_alu instid0(SALU_CYCLE_1)
	s_and_b32 vcc_lo, exec_lo, s0
	s_cbranch_vccnz .LBB115_25
.LBB115_9:                              ; =>This Inner Loop Header: Depth=1
	s_waitcnt vmcnt(0)
	v_add_co_u32 v25, s0, v0, s8
	s_delay_alu instid0(VALU_DEP_1) | instskip(SKIP_1) | instid1(VALU_DEP_2)
	v_add_co_ci_u32_e64 v26, null, 0, s9, s0
	v_dual_mov_b32 v24, 0 :: v_dual_mov_b32 v23, 0
	v_cmp_gt_u64_e32 vcc_lo, s[6:7], v[25:26]
	v_mov_b32_e32 v25, 0
	s_and_saveexec_b32 s1, vcc_lo
	s_cbranch_execz .LBB115_11
; %bb.10:                               ;   in Loop: Header=BB115_9 Depth=1
	v_add_co_u32 v25, s0, v1, s8
	s_delay_alu instid0(VALU_DEP_1) | instskip(SKIP_1) | instid1(VALU_DEP_1)
	v_add_co_ci_u32_e64 v26, s0, s9, v2, s0
	v_add_co_u32 v27, s0, v3, s8
	v_add_co_ci_u32_e64 v28, s0, s9, v4, s0
	global_load_u8 v23, v[25:26], off
	global_load_u8 v25, v[27:28], off
.LBB115_11:                             ;   in Loop: Header=BB115_9 Depth=1
	s_or_b32 exec_lo, exec_lo, s1
	v_add_co_u32 v26, s0, v21, s8
	s_delay_alu instid0(VALU_DEP_1) | instskip(NEXT) | instid1(VALU_DEP_1)
	v_add_co_ci_u32_e64 v27, s0, s9, v22, s0
	v_cmp_gt_u64_e64 s0, s[6:7], v[26:27]
	s_delay_alu instid0(VALU_DEP_1)
	s_and_saveexec_b32 s2, s0
	s_cbranch_execz .LBB115_13
; %bb.12:                               ;   in Loop: Header=BB115_9 Depth=1
	v_add_co_u32 v26, s1, v17, s8
	s_delay_alu instid0(VALU_DEP_1) | instskip(SKIP_2) | instid1(VALU_DEP_1)
	v_add_co_ci_u32_e64 v27, s1, s9, v18, s1
	global_load_u8 v28, v[26:27], off
	v_add_co_u32 v26, s1, v19, s8
	v_add_co_ci_u32_e64 v27, s1, s9, v20, s1
	global_load_u8 v24, v[26:27], off
	s_waitcnt vmcnt(1)
	v_lshl_or_b32 v23, v28, 8, v23
.LBB115_13:                             ;   in Loop: Header=BB115_9 Depth=1
	s_or_b32 exec_lo, exec_lo, s2
	v_add_co_u32 v26, s1, v15, s8
	s_delay_alu instid0(VALU_DEP_1) | instskip(NEXT) | instid1(VALU_DEP_1)
	v_add_co_ci_u32_e64 v27, s1, s9, v16, s1
	v_cmp_gt_u64_e64 s1, s[6:7], v[26:27]
	v_dual_mov_b32 v26, 0 :: v_dual_mov_b32 v27, 0
	s_delay_alu instid0(VALU_DEP_2)
	s_and_saveexec_b32 s3, s1
	s_cbranch_execz .LBB115_15
; %bb.14:                               ;   in Loop: Header=BB115_9 Depth=1
	v_add_co_u32 v27, s2, v11, s8
	s_delay_alu instid0(VALU_DEP_1) | instskip(SKIP_2) | instid1(VALU_DEP_1)
	v_add_co_ci_u32_e64 v28, s2, s9, v12, s2
	global_load_u8 v29, v[27:28], off
	v_add_co_u32 v27, s2, v13, s8
	v_add_co_ci_u32_e64 v28, s2, s9, v14, s2
	global_load_u8 v27, v[27:28], off
	s_waitcnt vmcnt(1)
	v_lshl_or_b32 v23, v29, 16, v23
.LBB115_15:                             ;   in Loop: Header=BB115_9 Depth=1
	s_or_b32 exec_lo, exec_lo, s3
	v_add_co_u32 v28, s2, v9, s8
	s_delay_alu instid0(VALU_DEP_1) | instskip(NEXT) | instid1(VALU_DEP_1)
	v_add_co_ci_u32_e64 v29, s2, s9, v10, s2
	v_cmp_gt_u64_e64 s2, s[6:7], v[28:29]
	s_delay_alu instid0(VALU_DEP_1)
	s_and_saveexec_b32 s11, s2
	s_cbranch_execnz .LBB115_20
; %bb.16:                               ;   in Loop: Header=BB115_9 Depth=1
	s_or_b32 exec_lo, exec_lo, s11
	s_and_saveexec_b32 s3, vcc_lo
	s_cbranch_execnz .LBB115_21
.LBB115_17:                             ;   in Loop: Header=BB115_9 Depth=1
	s_or_b32 exec_lo, exec_lo, s3
	s_and_saveexec_b32 s3, s0
	s_cbranch_execnz .LBB115_22
.LBB115_18:                             ;   in Loop: Header=BB115_9 Depth=1
	s_or_b32 exec_lo, exec_lo, s3
	s_and_saveexec_b32 s0, s1
	s_cbranch_execnz .LBB115_23
.LBB115_19:                             ;   in Loop: Header=BB115_9 Depth=1
	s_or_b32 exec_lo, exec_lo, s0
	s_and_saveexec_b32 s0, s2
	s_cbranch_execz .LBB115_8
	s_branch .LBB115_24
.LBB115_20:                             ;   in Loop: Header=BB115_9 Depth=1
	v_add_co_u32 v28, s3, v5, s8
	s_delay_alu instid0(VALU_DEP_1) | instskip(SKIP_2) | instid1(VALU_DEP_1)
	v_add_co_ci_u32_e64 v29, s3, s9, v6, s3
	global_load_u8 v30, v[28:29], off
	v_add_co_u32 v28, s3, v7, s8
	v_add_co_ci_u32_e64 v29, s3, s9, v8, s3
	global_load_u8 v26, v[28:29], off
	s_waitcnt vmcnt(1)
	v_lshl_or_b32 v23, v30, 24, v23
	s_or_b32 exec_lo, exec_lo, s11
	s_and_saveexec_b32 s3, vcc_lo
	s_cbranch_execz .LBB115_17
.LBB115_21:                             ;   in Loop: Header=BB115_9 Depth=1
	s_waitcnt vmcnt(0)
	v_mul_lo_u16 v25, v25, s10
	v_bfe_i32 v28, v23, 0, 8
	s_delay_alu instid0(VALU_DEP_2) | instskip(NEXT) | instid1(VALU_DEP_1)
	v_bfe_i32 v25, v25, 0, 8
	v_max_i16 v25, v28, v25
	v_add_co_u32 v28, vcc_lo, v1, s8
	v_add_co_ci_u32_e32 v29, vcc_lo, s9, v2, vcc_lo
	global_store_b8 v[28:29], v25, off
	s_or_b32 exec_lo, exec_lo, s3
	s_and_saveexec_b32 s3, s0
	s_cbranch_execz .LBB115_18
.LBB115_22:                             ;   in Loop: Header=BB115_9 Depth=1
	s_waitcnt vmcnt(0)
	v_lshrrev_b32_e32 v25, 8, v23
	v_mul_lo_u16 v24, v24, s10
	s_delay_alu instid0(VALU_DEP_2) | instskip(NEXT) | instid1(VALU_DEP_2)
	v_bfe_i32 v25, v25, 0, 8
	v_bfe_i32 v24, v24, 0, 8
	s_delay_alu instid0(VALU_DEP_1)
	v_max_i16 v28, v25, v24
	v_add_co_u32 v24, vcc_lo, v17, s8
	v_add_co_ci_u32_e32 v25, vcc_lo, s9, v18, vcc_lo
	global_store_b8 v[24:25], v28, off
	s_or_b32 exec_lo, exec_lo, s3
	s_and_saveexec_b32 s0, s1
	s_cbranch_execz .LBB115_19
.LBB115_23:                             ;   in Loop: Header=BB115_9 Depth=1
	s_waitcnt vmcnt(0)
	v_lshrrev_b32_e32 v24, 16, v23
	v_mul_lo_u16 v25, v27, s10
	s_delay_alu instid0(VALU_DEP_2) | instskip(NEXT) | instid1(VALU_DEP_2)
	v_bfe_i32 v24, v24, 0, 8
	v_bfe_i32 v25, v25, 0, 8
	s_delay_alu instid0(VALU_DEP_1)
	v_max_i16 v27, v24, v25
	v_add_co_u32 v24, vcc_lo, v11, s8
	v_add_co_ci_u32_e32 v25, vcc_lo, s9, v12, vcc_lo
	global_store_b8 v[24:25], v27, off
	s_or_b32 exec_lo, exec_lo, s0
	s_and_saveexec_b32 s0, s2
	s_cbranch_execz .LBB115_8
.LBB115_24:                             ;   in Loop: Header=BB115_9 Depth=1
	s_waitcnt vmcnt(1)
	v_lshrrev_b32_e32 v23, 24, v23
	s_waitcnt vmcnt(0)
	v_mul_lo_u16 v24, v26, s10
	s_delay_alu instid0(VALU_DEP_2) | instskip(NEXT) | instid1(VALU_DEP_2)
	v_bfe_i32 v23, v23, 0, 8
	v_bfe_i32 v24, v24, 0, 8
	s_delay_alu instid0(VALU_DEP_1)
	v_max_i16 v25, v23, v24
	v_add_co_u32 v23, vcc_lo, v5, s8
	v_add_co_ci_u32_e32 v24, vcc_lo, s9, v6, vcc_lo
	global_store_b8 v[23:24], v25, off
	s_branch .LBB115_8
.LBB115_25:
	s_nop 0
	s_sendmsg sendmsg(MSG_DEALLOC_VGPRS)
	s_endpgm
	.section	.rodata,"a",@progbits
	.p2align	6, 0x0
	.amdhsa_kernel _ZN2at6native12_GLOBAL__N_125multi_tensor_apply_kernelINS1_18TensorListMetadataILi2EEENS1_24BinaryOpListAlphaFunctorIaLi2ELi2ELi0EEEJNS0_7maximumIaEEaEEEvT_T0_DpT1_
		.amdhsa_group_segment_fixed_size 0
		.amdhsa_private_segment_fixed_size 0
		.amdhsa_kernarg_size 3408
		.amdhsa_user_sgpr_count 15
		.amdhsa_user_sgpr_dispatch_ptr 0
		.amdhsa_user_sgpr_queue_ptr 0
		.amdhsa_user_sgpr_kernarg_segment_ptr 1
		.amdhsa_user_sgpr_dispatch_id 0
		.amdhsa_user_sgpr_private_segment_size 0
		.amdhsa_wavefront_size32 1
		.amdhsa_uses_dynamic_stack 0
		.amdhsa_enable_private_segment 0
		.amdhsa_system_sgpr_workgroup_id_x 1
		.amdhsa_system_sgpr_workgroup_id_y 0
		.amdhsa_system_sgpr_workgroup_id_z 0
		.amdhsa_system_sgpr_workgroup_info 0
		.amdhsa_system_vgpr_workitem_id 0
		.amdhsa_next_free_vgpr 31
		.amdhsa_next_free_sgpr 20
		.amdhsa_reserve_vcc 1
		.amdhsa_float_round_mode_32 0
		.amdhsa_float_round_mode_16_64 0
		.amdhsa_float_denorm_mode_32 3
		.amdhsa_float_denorm_mode_16_64 3
		.amdhsa_dx10_clamp 1
		.amdhsa_ieee_mode 1
		.amdhsa_fp16_overflow 0
		.amdhsa_workgroup_processor_mode 1
		.amdhsa_memory_ordered 1
		.amdhsa_forward_progress 0
		.amdhsa_shared_vgpr_count 0
		.amdhsa_exception_fp_ieee_invalid_op 0
		.amdhsa_exception_fp_denorm_src 0
		.amdhsa_exception_fp_ieee_div_zero 0
		.amdhsa_exception_fp_ieee_overflow 0
		.amdhsa_exception_fp_ieee_underflow 0
		.amdhsa_exception_fp_ieee_inexact 0
		.amdhsa_exception_int_div_zero 0
	.end_amdhsa_kernel
	.section	.text._ZN2at6native12_GLOBAL__N_125multi_tensor_apply_kernelINS1_18TensorListMetadataILi2EEENS1_24BinaryOpListAlphaFunctorIaLi2ELi2ELi0EEEJNS0_7maximumIaEEaEEEvT_T0_DpT1_,"axG",@progbits,_ZN2at6native12_GLOBAL__N_125multi_tensor_apply_kernelINS1_18TensorListMetadataILi2EEENS1_24BinaryOpListAlphaFunctorIaLi2ELi2ELi0EEEJNS0_7maximumIaEEaEEEvT_T0_DpT1_,comdat
.Lfunc_end115:
	.size	_ZN2at6native12_GLOBAL__N_125multi_tensor_apply_kernelINS1_18TensorListMetadataILi2EEENS1_24BinaryOpListAlphaFunctorIaLi2ELi2ELi0EEEJNS0_7maximumIaEEaEEEvT_T0_DpT1_, .Lfunc_end115-_ZN2at6native12_GLOBAL__N_125multi_tensor_apply_kernelINS1_18TensorListMetadataILi2EEENS1_24BinaryOpListAlphaFunctorIaLi2ELi2ELi0EEEJNS0_7maximumIaEEaEEEvT_T0_DpT1_
                                        ; -- End function
	.section	.AMDGPU.csdata,"",@progbits
; Kernel info:
; codeLenInByte = 1772
; NumSgprs: 22
; NumVgprs: 31
; ScratchSize: 0
; MemoryBound: 0
; FloatMode: 240
; IeeeMode: 1
; LDSByteSize: 0 bytes/workgroup (compile time only)
; SGPRBlocks: 2
; VGPRBlocks: 3
; NumSGPRsForWavesPerEU: 22
; NumVGPRsForWavesPerEU: 31
; Occupancy: 16
; WaveLimiterHint : 0
; COMPUTE_PGM_RSRC2:SCRATCH_EN: 0
; COMPUTE_PGM_RSRC2:USER_SGPR: 15
; COMPUTE_PGM_RSRC2:TRAP_HANDLER: 0
; COMPUTE_PGM_RSRC2:TGID_X_EN: 1
; COMPUTE_PGM_RSRC2:TGID_Y_EN: 0
; COMPUTE_PGM_RSRC2:TGID_Z_EN: 0
; COMPUTE_PGM_RSRC2:TIDIG_COMP_CNT: 0
	.section	.text._ZN2at6native12_GLOBAL__N_125multi_tensor_apply_kernelINS1_18TensorListMetadataILi2EEENS1_24BinaryOpListAlphaFunctorIiLi2ELi2ELi0EEEJNS0_7maximumIiEEiEEEvT_T0_DpT1_,"axG",@progbits,_ZN2at6native12_GLOBAL__N_125multi_tensor_apply_kernelINS1_18TensorListMetadataILi2EEENS1_24BinaryOpListAlphaFunctorIiLi2ELi2ELi0EEEJNS0_7maximumIiEEiEEEvT_T0_DpT1_,comdat
	.globl	_ZN2at6native12_GLOBAL__N_125multi_tensor_apply_kernelINS1_18TensorListMetadataILi2EEENS1_24BinaryOpListAlphaFunctorIiLi2ELi2ELi0EEEJNS0_7maximumIiEEiEEEvT_T0_DpT1_ ; -- Begin function _ZN2at6native12_GLOBAL__N_125multi_tensor_apply_kernelINS1_18TensorListMetadataILi2EEENS1_24BinaryOpListAlphaFunctorIiLi2ELi2ELi0EEEJNS0_7maximumIiEEiEEEvT_T0_DpT1_
	.p2align	8
	.type	_ZN2at6native12_GLOBAL__N_125multi_tensor_apply_kernelINS1_18TensorListMetadataILi2EEENS1_24BinaryOpListAlphaFunctorIiLi2ELi2ELi0EEEJNS0_7maximumIiEEiEEEvT_T0_DpT1_,@function
_ZN2at6native12_GLOBAL__N_125multi_tensor_apply_kernelINS1_18TensorListMetadataILi2EEENS1_24BinaryOpListAlphaFunctorIiLi2ELi2ELi0EEEJNS0_7maximumIiEEiEEEvT_T0_DpT1_: ; @_ZN2at6native12_GLOBAL__N_125multi_tensor_apply_kernelINS1_18TensorListMetadataILi2EEENS1_24BinaryOpListAlphaFunctorIiLi2ELi2ELi0EEEJNS0_7maximumIiEEiEEEvT_T0_DpT1_
; %bb.0:
	v_mov_b32_e32 v1, s15
	s_add_u32 s2, s0, s15
	s_mul_hi_u32 s3, s15, 3
	s_mul_i32 s15, s15, 3
	s_addc_u32 s4, s1, 0
	global_load_u8 v1, v1, s[0:1] offset:1536
	s_add_u32 s2, s2, s15
	s_addc_u32 s3, s4, s3
	s_mov_b32 s19, 0
	s_load_b32 s2, s[2:3], 0x740
	s_mov_b32 s21, s19
	s_mov_b32 s23, s19
	s_waitcnt vmcnt(0)
	v_readfirstlane_b32 s3, v1
	s_delay_alu instid0(VALU_DEP_1)
	s_lshl_b32 s3, s3, 3
	s_clause 0x3
	s_load_b64 s[10:11], s[0:1], s3 offset:0x0
	s_load_b64 s[12:13], s[0:1], s3 offset:0x200
	;; [unrolled: 1-line block ×3, first 2 shown]
	s_load_b32 s14, s[0:1], 0xc4c
	s_waitcnt lgkmcnt(0)
	s_ashr_i32 s3, s2, 31
	s_delay_alu instid0(SALU_CYCLE_1) | instskip(NEXT) | instid1(SALU_CYCLE_1)
	s_lshl_b64 s[4:5], s[2:3], 18
	s_add_u32 s8, s10, s4
	s_addc_u32 s9, s11, s5
	s_and_b32 s18, s8, 15
	s_add_u32 s15, s12, s4
	s_addc_u32 s16, s13, s5
	s_and_b32 s20, s6, 3
	s_and_b32 s22, s15, 15
	s_or_b64 s[18:19], s[18:19], s[20:21]
	s_lshl_b64 s[2:3], s[2:3], 16
	s_or_b64 s[18:19], s[22:23], s[18:19]
	s_sub_u32 s6, s6, s2
	s_subb_u32 s7, s7, s3
	s_cmp_eq_u64 s[18:19], 0
	s_mov_b32 s2, -1
	s_cbranch_scc0 .LBB116_5
; %bb.1:
	v_dual_mov_b32 v2, 0 :: v_dual_lshlrev_b32 v1, 2, v0
	s_mov_b32 s17, exec_lo
	s_delay_alu instid0(VALU_DEP_1)
	v_cmpx_gt_i64_e64 s[6:7], v[1:2]
	s_cbranch_execz .LBB116_4
; %bb.2:
	s_load_b32 s2, s[0:1], 0xc5c
	v_lshlrev_b32_e32 v3, 4, v0
	s_mov_b32 s18, 0
	s_waitcnt lgkmcnt(0)
	s_and_b32 s2, s2, 0xffff
	s_delay_alu instid0(SALU_CYCLE_1)
	v_add_lshl_u32 v1, v0, s2, 2
	s_lshl_b32 s19, s2, 2
	s_lshl_b32 s20, s2, 4
	s_set_inst_prefetch_distance 0x1
	.p2align	6
.LBB116_3:                              ; =>This Inner Loop Header: Depth=1
	v_add_co_u32 v4, s2, s15, v3
	s_delay_alu instid0(VALU_DEP_1) | instskip(SKIP_1) | instid1(VALU_DEP_1)
	v_add_co_ci_u32_e64 v5, null, s16, 0, s2
	v_add_co_u32 v12, s2, s8, v3
	v_add_co_ci_u32_e64 v13, null, s9, 0, s2
	global_load_b128 v[4:7], v[4:5], off
	v_cmp_le_i64_e32 vcc_lo, s[6:7], v[1:2]
	v_cmp_lt_u64_e64 s2, 0xffff, v[1:2]
	global_load_b128 v[8:11], v[12:13], off
	v_add_co_u32 v1, s3, v1, s19
	s_delay_alu instid0(VALU_DEP_1)
	v_add_co_ci_u32_e64 v2, s3, 0, v2, s3
	s_or_b32 s2, vcc_lo, s2
	s_add_u32 s8, s8, s20
	s_addc_u32 s9, s9, 0
	s_add_u32 s15, s15, s20
	s_addc_u32 s16, s16, 0
	s_and_b32 s2, exec_lo, s2
	s_delay_alu instid0(SALU_CYCLE_1)
	s_or_b32 s18, s2, s18
	s_waitcnt vmcnt(1)
	v_mul_lo_u32 v4, v4, s14
	v_mul_lo_u32 v5, v5, s14
	;; [unrolled: 1-line block ×4, first 2 shown]
	s_waitcnt vmcnt(0)
	s_delay_alu instid0(VALU_DEP_4) | instskip(NEXT) | instid1(VALU_DEP_4)
	v_max_i32_e32 v4, v8, v4
	v_max_i32_e32 v5, v9, v5
	s_delay_alu instid0(VALU_DEP_4) | instskip(NEXT) | instid1(VALU_DEP_4)
	v_max_i32_e32 v6, v10, v6
	v_max_i32_e32 v7, v11, v7
	global_store_b128 v[12:13], v[4:7], off
	s_and_not1_b32 exec_lo, exec_lo, s18
	s_cbranch_execnz .LBB116_3
.LBB116_4:
	s_set_inst_prefetch_distance 0x2
	s_or_b32 exec_lo, exec_lo, s17
	s_mov_b32 s2, 0
.LBB116_5:
	s_delay_alu instid0(SALU_CYCLE_1)
	s_and_not1_b32 vcc_lo, exec_lo, s2
	s_cbranch_vccnz .LBB116_25
; %bb.6:
	v_cmp_lt_i64_e64 s2, s[6:7], 1
	s_delay_alu instid0(VALU_DEP_1)
	s_and_b32 vcc_lo, exec_lo, s2
	s_cbranch_vccnz .LBB116_25
; %bb.7:
	s_load_b32 s0, s[0:1], 0xc5c
	v_dual_mov_b32 v10, 0 :: v_dual_lshlrev_b32 v9, 2, v0
	v_cmp_gt_u64_e64 s1, 0x10000, s[6:7]
	s_delay_alu instid0(VALU_DEP_2) | instskip(NEXT) | instid1(VALU_DEP_1)
	v_add_co_u32 v1, s2, s10, v9
	v_add_co_ci_u32_e64 v2, null, s11, 0, s2
	v_add_co_u32 v3, s2, s12, v9
	s_delay_alu instid0(VALU_DEP_1)
	v_add_co_ci_u32_e64 v4, null, s13, 0, s2
	s_waitcnt lgkmcnt(0)
	s_and_b32 s0, s0, 0xffff
	s_and_b32 s1, s1, exec_lo
	v_mad_u64_u32 v[7:8], null, s0, 12, v[9:10]
	s_cselect_b32 s9, s7, 0
	s_cselect_b32 s8, s6, 0x10000
	s_mul_i32 s2, s0, 3
	s_lshl_b32 s3, s0, 3
	s_lshl_b32 s1, s0, 1
	v_add_co_u32 v14, s3, s3, v9
	v_add_co_u32 v9, s2, s2, v0
	s_delay_alu instid0(VALU_DEP_1) | instskip(SKIP_3) | instid1(VALU_DEP_3)
	v_add_co_ci_u32_e64 v10, null, 0, 0, s2
	v_add_co_u32 v13, s2, v0, s0
	v_add_co_u32 v5, vcc_lo, s10, v7
	v_add_co_ci_u32_e32 v6, vcc_lo, s11, v8, vcc_lo
	v_lshlrev_b32_e32 v21, 2, v13
	v_add_co_u32 v7, vcc_lo, s12, v7
	v_add_co_ci_u32_e64 v15, null, 0, 0, s3
	v_add_co_ci_u32_e32 v8, vcc_lo, s13, v8, vcc_lo
	v_add_co_u32 v17, s1, s1, v0
	v_add_co_u32 v11, vcc_lo, s10, v14
	v_add_co_ci_u32_e64 v18, null, 0, 0, s1
	v_add_co_u32 v19, s1, s10, v21
	v_add_co_ci_u32_e32 v12, vcc_lo, s11, v15, vcc_lo
	v_add_co_u32 v14, vcc_lo, s12, v14
	v_add_co_ci_u32_e64 v20, null, s11, 0, s1
	v_add_co_u32 v21, s1, s12, v21
	v_add_co_ci_u32_e32 v15, vcc_lo, s13, v15, vcc_lo
	v_add_co_ci_u32_e64 v16, null, 0, 0, s2
	v_add_co_ci_u32_e64 v22, null, s13, 0, s1
	s_lshl_b32 s12, s0, 2
	s_lshl_b32 s13, s0, 4
	s_mov_b64 s[10:11], 0
	s_branch .LBB116_9
.LBB116_8:                              ;   in Loop: Header=BB116_9 Depth=1
	s_or_b32 exec_lo, exec_lo, s0
	v_add_co_u32 v1, vcc_lo, v1, s13
	v_add_co_ci_u32_e32 v2, vcc_lo, 0, v2, vcc_lo
	v_add_co_u32 v3, vcc_lo, v3, s13
	v_add_co_ci_u32_e32 v4, vcc_lo, 0, v4, vcc_lo
	;; [unrolled: 2-line block ×5, first 2 shown]
	s_add_u32 s10, s10, s12
	v_add_co_u32 v14, vcc_lo, v14, s13
	s_addc_u32 s11, s11, 0
	v_add_co_ci_u32_e32 v15, vcc_lo, 0, v15, vcc_lo
	v_cmp_ge_i64_e64 s0, s[10:11], s[6:7]
	v_cmp_lt_u64_e64 s1, 0xffff, s[10:11]
	v_add_co_u32 v19, vcc_lo, v19, s13
	v_add_co_ci_u32_e32 v20, vcc_lo, 0, v20, vcc_lo
	v_add_co_u32 v21, vcc_lo, v21, s13
	v_add_co_ci_u32_e32 v22, vcc_lo, 0, v22, vcc_lo
	s_or_b32 s0, s0, s1
	s_delay_alu instid0(SALU_CYCLE_1)
	s_and_b32 vcc_lo, exec_lo, s0
	s_cbranch_vccnz .LBB116_25
.LBB116_9:                              ; =>This Inner Loop Header: Depth=1
	s_waitcnt vmcnt(1)
	v_add_co_u32 v23, s0, v0, s10
	s_waitcnt vmcnt(0)
	v_add_co_ci_u32_e64 v24, null, 0, s11, s0
	s_delay_alu instid0(VALU_DEP_1)
	v_cmp_gt_u64_e32 vcc_lo, s[8:9], v[23:24]
	v_dual_mov_b32 v23, 0 :: v_dual_mov_b32 v24, 0
	s_and_saveexec_b32 s1, vcc_lo
	s_cbranch_execz .LBB116_11
; %bb.10:                               ;   in Loop: Header=BB116_9 Depth=1
	v_add_co_u32 v23, s0, v1, s4
	s_delay_alu instid0(VALU_DEP_1) | instskip(SKIP_1) | instid1(VALU_DEP_1)
	v_add_co_ci_u32_e64 v24, s0, s5, v2, s0
	v_add_co_u32 v25, s0, v3, s4
	v_add_co_ci_u32_e64 v26, s0, s5, v4, s0
	global_load_b32 v23, v[23:24], off
	global_load_b32 v24, v[25:26], off
.LBB116_11:                             ;   in Loop: Header=BB116_9 Depth=1
	s_or_b32 exec_lo, exec_lo, s1
	v_add_co_u32 v26, s0, v13, s10
	s_delay_alu instid0(VALU_DEP_1) | instskip(SKIP_1) | instid1(VALU_DEP_2)
	v_add_co_ci_u32_e64 v27, s0, s11, v16, s0
	v_mov_b32_e32 v25, 0
	v_cmp_gt_u64_e64 s0, s[8:9], v[26:27]
	v_dual_mov_b32 v26, 0 :: v_dual_mov_b32 v27, 0
	s_delay_alu instid0(VALU_DEP_2)
	s_and_saveexec_b32 s2, s0
	s_cbranch_execz .LBB116_13
; %bb.12:                               ;   in Loop: Header=BB116_9 Depth=1
	v_add_co_u32 v26, s1, v19, s4
	s_delay_alu instid0(VALU_DEP_1) | instskip(SKIP_1) | instid1(VALU_DEP_1)
	v_add_co_ci_u32_e64 v27, s1, s5, v20, s1
	v_add_co_u32 v28, s1, v21, s4
	v_add_co_ci_u32_e64 v29, s1, s5, v22, s1
	global_load_b32 v26, v[26:27], off
	global_load_b32 v27, v[28:29], off
.LBB116_13:                             ;   in Loop: Header=BB116_9 Depth=1
	s_or_b32 exec_lo, exec_lo, s2
	v_add_co_u32 v28, s1, v17, s10
	s_delay_alu instid0(VALU_DEP_1) | instskip(NEXT) | instid1(VALU_DEP_1)
	v_add_co_ci_u32_e64 v29, s1, s11, v18, s1
	v_cmp_gt_u64_e64 s1, s[8:9], v[28:29]
	v_mov_b32_e32 v28, 0
	s_delay_alu instid0(VALU_DEP_2)
	s_and_saveexec_b32 s3, s1
	s_cbranch_execz .LBB116_15
; %bb.14:                               ;   in Loop: Header=BB116_9 Depth=1
	v_add_co_u32 v28, s2, v11, s4
	s_delay_alu instid0(VALU_DEP_1) | instskip(SKIP_1) | instid1(VALU_DEP_1)
	v_add_co_ci_u32_e64 v29, s2, s5, v12, s2
	v_add_co_u32 v30, s2, v14, s4
	v_add_co_ci_u32_e64 v31, s2, s5, v15, s2
	global_load_b32 v25, v[28:29], off
	global_load_b32 v28, v[30:31], off
.LBB116_15:                             ;   in Loop: Header=BB116_9 Depth=1
	s_or_b32 exec_lo, exec_lo, s3
	v_add_co_u32 v29, s2, v9, s10
	s_delay_alu instid0(VALU_DEP_1) | instskip(NEXT) | instid1(VALU_DEP_1)
	v_add_co_ci_u32_e64 v30, s2, s11, v10, s2
	v_cmp_gt_u64_e64 s2, s[8:9], v[29:30]
	v_dual_mov_b32 v29, 0 :: v_dual_mov_b32 v30, 0
	s_delay_alu instid0(VALU_DEP_2)
	s_and_saveexec_b32 s15, s2
	s_cbranch_execnz .LBB116_20
; %bb.16:                               ;   in Loop: Header=BB116_9 Depth=1
	s_or_b32 exec_lo, exec_lo, s15
	s_and_saveexec_b32 s3, vcc_lo
	s_cbranch_execnz .LBB116_21
.LBB116_17:                             ;   in Loop: Header=BB116_9 Depth=1
	s_or_b32 exec_lo, exec_lo, s3
	s_and_saveexec_b32 s3, s0
	s_cbranch_execnz .LBB116_22
.LBB116_18:                             ;   in Loop: Header=BB116_9 Depth=1
	s_or_b32 exec_lo, exec_lo, s3
	s_and_saveexec_b32 s0, s1
	s_cbranch_execnz .LBB116_23
.LBB116_19:                             ;   in Loop: Header=BB116_9 Depth=1
	s_or_b32 exec_lo, exec_lo, s0
	s_and_saveexec_b32 s0, s2
	s_cbranch_execz .LBB116_8
	s_branch .LBB116_24
.LBB116_20:                             ;   in Loop: Header=BB116_9 Depth=1
	v_add_co_u32 v29, s3, v5, s4
	s_delay_alu instid0(VALU_DEP_1) | instskip(SKIP_1) | instid1(VALU_DEP_1)
	v_add_co_ci_u32_e64 v30, s3, s5, v6, s3
	v_add_co_u32 v31, s3, v7, s4
	v_add_co_ci_u32_e64 v32, s3, s5, v8, s3
	global_load_b32 v29, v[29:30], off
	global_load_b32 v30, v[31:32], off
	s_or_b32 exec_lo, exec_lo, s15
	s_and_saveexec_b32 s3, vcc_lo
	s_cbranch_execz .LBB116_17
.LBB116_21:                             ;   in Loop: Header=BB116_9 Depth=1
	s_waitcnt vmcnt(0)
	v_mul_lo_u32 v24, v24, s14
	v_add_co_u32 v31, vcc_lo, v1, s4
	v_add_co_ci_u32_e32 v32, vcc_lo, s5, v2, vcc_lo
	s_delay_alu instid0(VALU_DEP_3)
	v_max_i32_e32 v23, v23, v24
	global_store_b32 v[31:32], v23, off
	s_or_b32 exec_lo, exec_lo, s3
	s_and_saveexec_b32 s3, s0
	s_cbranch_execz .LBB116_18
.LBB116_22:                             ;   in Loop: Header=BB116_9 Depth=1
	s_waitcnt vmcnt(0)
	v_mul_lo_u32 v23, v27, s14
	s_delay_alu instid0(VALU_DEP_1)
	v_max_i32_e32 v26, v26, v23
	v_add_co_u32 v23, vcc_lo, v19, s4
	v_add_co_ci_u32_e32 v24, vcc_lo, s5, v20, vcc_lo
	global_store_b32 v[23:24], v26, off
	s_or_b32 exec_lo, exec_lo, s3
	s_and_saveexec_b32 s0, s1
	s_cbranch_execz .LBB116_19
.LBB116_23:                             ;   in Loop: Header=BB116_9 Depth=1
	s_waitcnt vmcnt(0)
	v_mul_lo_u32 v23, v28, s14
	s_delay_alu instid0(VALU_DEP_1)
	v_max_i32_e32 v25, v25, v23
	v_add_co_u32 v23, vcc_lo, v11, s4
	v_add_co_ci_u32_e32 v24, vcc_lo, s5, v12, vcc_lo
	global_store_b32 v[23:24], v25, off
	s_or_b32 exec_lo, exec_lo, s0
	s_and_saveexec_b32 s0, s2
	s_cbranch_execz .LBB116_8
.LBB116_24:                             ;   in Loop: Header=BB116_9 Depth=1
	s_waitcnt vmcnt(0)
	v_mul_lo_u32 v23, v30, s14
	s_delay_alu instid0(VALU_DEP_1)
	v_max_i32_e32 v25, v29, v23
	v_add_co_u32 v23, vcc_lo, v5, s4
	v_add_co_ci_u32_e32 v24, vcc_lo, s5, v6, vcc_lo
	global_store_b32 v[23:24], v25, off
	s_branch .LBB116_8
.LBB116_25:
	s_nop 0
	s_sendmsg sendmsg(MSG_DEALLOC_VGPRS)
	s_endpgm
	.section	.rodata,"a",@progbits
	.p2align	6, 0x0
	.amdhsa_kernel _ZN2at6native12_GLOBAL__N_125multi_tensor_apply_kernelINS1_18TensorListMetadataILi2EEENS1_24BinaryOpListAlphaFunctorIiLi2ELi2ELi0EEEJNS0_7maximumIiEEiEEEvT_T0_DpT1_
		.amdhsa_group_segment_fixed_size 0
		.amdhsa_private_segment_fixed_size 0
		.amdhsa_kernarg_size 3408
		.amdhsa_user_sgpr_count 15
		.amdhsa_user_sgpr_dispatch_ptr 0
		.amdhsa_user_sgpr_queue_ptr 0
		.amdhsa_user_sgpr_kernarg_segment_ptr 1
		.amdhsa_user_sgpr_dispatch_id 0
		.amdhsa_user_sgpr_private_segment_size 0
		.amdhsa_wavefront_size32 1
		.amdhsa_uses_dynamic_stack 0
		.amdhsa_enable_private_segment 0
		.amdhsa_system_sgpr_workgroup_id_x 1
		.amdhsa_system_sgpr_workgroup_id_y 0
		.amdhsa_system_sgpr_workgroup_id_z 0
		.amdhsa_system_sgpr_workgroup_info 0
		.amdhsa_system_vgpr_workitem_id 0
		.amdhsa_next_free_vgpr 33
		.amdhsa_next_free_sgpr 24
		.amdhsa_reserve_vcc 1
		.amdhsa_float_round_mode_32 0
		.amdhsa_float_round_mode_16_64 0
		.amdhsa_float_denorm_mode_32 3
		.amdhsa_float_denorm_mode_16_64 3
		.amdhsa_dx10_clamp 1
		.amdhsa_ieee_mode 1
		.amdhsa_fp16_overflow 0
		.amdhsa_workgroup_processor_mode 1
		.amdhsa_memory_ordered 1
		.amdhsa_forward_progress 0
		.amdhsa_shared_vgpr_count 0
		.amdhsa_exception_fp_ieee_invalid_op 0
		.amdhsa_exception_fp_denorm_src 0
		.amdhsa_exception_fp_ieee_div_zero 0
		.amdhsa_exception_fp_ieee_overflow 0
		.amdhsa_exception_fp_ieee_underflow 0
		.amdhsa_exception_fp_ieee_inexact 0
		.amdhsa_exception_int_div_zero 0
	.end_amdhsa_kernel
	.section	.text._ZN2at6native12_GLOBAL__N_125multi_tensor_apply_kernelINS1_18TensorListMetadataILi2EEENS1_24BinaryOpListAlphaFunctorIiLi2ELi2ELi0EEEJNS0_7maximumIiEEiEEEvT_T0_DpT1_,"axG",@progbits,_ZN2at6native12_GLOBAL__N_125multi_tensor_apply_kernelINS1_18TensorListMetadataILi2EEENS1_24BinaryOpListAlphaFunctorIiLi2ELi2ELi0EEEJNS0_7maximumIiEEiEEEvT_T0_DpT1_,comdat
.Lfunc_end116:
	.size	_ZN2at6native12_GLOBAL__N_125multi_tensor_apply_kernelINS1_18TensorListMetadataILi2EEENS1_24BinaryOpListAlphaFunctorIiLi2ELi2ELi0EEEJNS0_7maximumIiEEiEEEvT_T0_DpT1_, .Lfunc_end116-_ZN2at6native12_GLOBAL__N_125multi_tensor_apply_kernelINS1_18TensorListMetadataILi2EEENS1_24BinaryOpListAlphaFunctorIiLi2ELi2ELi0EEEJNS0_7maximumIiEEiEEEvT_T0_DpT1_
                                        ; -- End function
	.section	.AMDGPU.csdata,"",@progbits
; Kernel info:
; codeLenInByte = 1624
; NumSgprs: 26
; NumVgprs: 33
; ScratchSize: 0
; MemoryBound: 0
; FloatMode: 240
; IeeeMode: 1
; LDSByteSize: 0 bytes/workgroup (compile time only)
; SGPRBlocks: 3
; VGPRBlocks: 4
; NumSGPRsForWavesPerEU: 26
; NumVGPRsForWavesPerEU: 33
; Occupancy: 16
; WaveLimiterHint : 0
; COMPUTE_PGM_RSRC2:SCRATCH_EN: 0
; COMPUTE_PGM_RSRC2:USER_SGPR: 15
; COMPUTE_PGM_RSRC2:TRAP_HANDLER: 0
; COMPUTE_PGM_RSRC2:TGID_X_EN: 1
; COMPUTE_PGM_RSRC2:TGID_Y_EN: 0
; COMPUTE_PGM_RSRC2:TGID_Z_EN: 0
; COMPUTE_PGM_RSRC2:TIDIG_COMP_CNT: 0
	.section	.text._ZN2at6native12_GLOBAL__N_125multi_tensor_apply_kernelINS1_18TensorListMetadataILi2EEENS1_24BinaryOpListAlphaFunctorIlLi2ELi2ELi0EEEJNS0_7maximumIlEElEEEvT_T0_DpT1_,"axG",@progbits,_ZN2at6native12_GLOBAL__N_125multi_tensor_apply_kernelINS1_18TensorListMetadataILi2EEENS1_24BinaryOpListAlphaFunctorIlLi2ELi2ELi0EEEJNS0_7maximumIlEElEEEvT_T0_DpT1_,comdat
	.globl	_ZN2at6native12_GLOBAL__N_125multi_tensor_apply_kernelINS1_18TensorListMetadataILi2EEENS1_24BinaryOpListAlphaFunctorIlLi2ELi2ELi0EEEJNS0_7maximumIlEElEEEvT_T0_DpT1_ ; -- Begin function _ZN2at6native12_GLOBAL__N_125multi_tensor_apply_kernelINS1_18TensorListMetadataILi2EEENS1_24BinaryOpListAlphaFunctorIlLi2ELi2ELi0EEEJNS0_7maximumIlEElEEEvT_T0_DpT1_
	.p2align	8
	.type	_ZN2at6native12_GLOBAL__N_125multi_tensor_apply_kernelINS1_18TensorListMetadataILi2EEENS1_24BinaryOpListAlphaFunctorIlLi2ELi2ELi0EEEJNS0_7maximumIlEElEEEvT_T0_DpT1_,@function
_ZN2at6native12_GLOBAL__N_125multi_tensor_apply_kernelINS1_18TensorListMetadataILi2EEENS1_24BinaryOpListAlphaFunctorIlLi2ELi2ELi0EEEJNS0_7maximumIlEElEEEvT_T0_DpT1_: ; @_ZN2at6native12_GLOBAL__N_125multi_tensor_apply_kernelINS1_18TensorListMetadataILi2EEENS1_24BinaryOpListAlphaFunctorIlLi2ELi2ELi0EEEJNS0_7maximumIlEElEEEvT_T0_DpT1_
; %bb.0:
	v_mov_b32_e32 v1, s15
	s_add_u32 s2, s0, s15
	s_mul_hi_u32 s3, s15, 3
	s_mul_i32 s15, s15, 3
	s_addc_u32 s4, s1, 0
	global_load_u8 v1, v1, s[0:1] offset:1536
	s_add_u32 s2, s2, s15
	s_addc_u32 s3, s4, s3
	s_mov_b32 s21, 0
	s_load_b32 s2, s[2:3], 0x740
	s_mov_b32 s23, s21
	s_mov_b32 s25, s21
	s_waitcnt vmcnt(0)
	v_readfirstlane_b32 s3, v1
	s_delay_alu instid0(VALU_DEP_1)
	s_lshl_b32 s3, s3, 3
	s_clause 0x3
	s_load_b64 s[12:13], s[0:1], s3 offset:0x0
	s_load_b64 s[14:15], s[0:1], s3 offset:0x200
	;; [unrolled: 1-line block ×3, first 2 shown]
	s_load_b64 s[6:7], s[0:1], 0xc50
	s_waitcnt lgkmcnt(0)
	s_ashr_i32 s3, s2, 31
	s_delay_alu instid0(SALU_CYCLE_1) | instskip(NEXT) | instid1(SALU_CYCLE_1)
	s_lshl_b64 s[8:9], s[2:3], 19
	s_add_u32 s5, s12, s8
	s_addc_u32 s16, s13, s9
	s_and_b32 s20, s5, 31
	s_add_u32 s17, s14, s8
	s_addc_u32 s18, s15, s9
	s_and_b32 s22, s10, 3
	s_and_b32 s24, s17, 31
	s_or_b64 s[20:21], s[20:21], s[22:23]
	s_lshl_b64 s[2:3], s[2:3], 16
	s_or_b64 s[20:21], s[24:25], s[20:21]
	s_sub_u32 s10, s10, s2
	s_subb_u32 s11, s11, s3
	s_cmp_eq_u64 s[20:21], 0
	s_mov_b32 s2, -1
	s_cbranch_scc0 .LBB117_5
; %bb.1:
	v_dual_mov_b32 v2, 0 :: v_dual_lshlrev_b32 v1, 2, v0
	s_mov_b32 s19, exec_lo
	s_delay_alu instid0(VALU_DEP_1)
	v_cmpx_gt_i64_e64 s[10:11], v[1:2]
	s_cbranch_execz .LBB117_4
; %bb.2:
	s_load_b32 s2, s[0:1], 0xc64
	v_lshlrev_b32_e32 v3, 5, v0
	s_mov_b32 s20, 0
	s_waitcnt lgkmcnt(0)
	s_and_b32 s2, s2, 0xffff
	s_delay_alu instid0(SALU_CYCLE_1)
	v_add_lshl_u32 v1, v0, s2, 2
	s_lshl_b32 s21, s2, 2
	s_lshl_b32 s22, s2, 5
.LBB117_3:                              ; =>This Inner Loop Header: Depth=1
	v_add_co_u32 v8, s2, s17, v3
	s_delay_alu instid0(VALU_DEP_1) | instskip(SKIP_1) | instid1(VALU_DEP_1)
	v_add_co_ci_u32_e64 v9, null, s18, 0, s2
	v_add_co_u32 v20, s2, s5, v3
	v_add_co_ci_u32_e64 v21, null, s16, 0, s2
	s_clause 0x1
	global_load_b128 v[4:7], v[8:9], off
	global_load_b128 v[8:11], v[8:9], off offset:16
	s_clause 0x1
	global_load_b128 v[12:15], v[20:21], off
	global_load_b128 v[16:19], v[20:21], off offset:16
	v_cmp_le_i64_e32 vcc_lo, s[10:11], v[1:2]
	v_cmp_lt_u64_e64 s2, 0xffff, v[1:2]
	v_add_co_u32 v1, s3, v1, s21
	s_delay_alu instid0(VALU_DEP_1) | instskip(NEXT) | instid1(VALU_DEP_3)
	v_add_co_ci_u32_e64 v2, s3, 0, v2, s3
	s_or_b32 s23, vcc_lo, s2
	s_add_u32 s5, s5, s22
	s_addc_u32 s16, s16, 0
	s_add_u32 s17, s17, s22
	s_addc_u32 s18, s18, 0
	s_waitcnt vmcnt(3)
	v_mul_lo_u32 v5, v5, s6
	v_mul_lo_u32 v30, v4, s7
	v_mad_u64_u32 v[22:23], null, v4, s6, 0
	v_mul_lo_u32 v4, v7, s6
	v_mul_lo_u32 v7, v6, s7
	v_mad_u64_u32 v[24:25], null, v6, s6, 0
	s_waitcnt vmcnt(2)
	v_mul_lo_u32 v6, v9, s6
	v_mul_lo_u32 v9, v8, s7
	v_mad_u64_u32 v[26:27], null, v8, s6, 0
	v_mul_lo_u32 v8, v11, s6
	v_mul_lo_u32 v11, v10, s7
	v_mad_u64_u32 v[28:29], null, v10, s6, 0
	v_add3_u32 v23, v23, v30, v5
	v_add3_u32 v25, v25, v7, v4
	v_add3_u32 v27, v27, v9, v6
	s_waitcnt vmcnt(1)
	s_delay_alu instid0(VALU_DEP_3) | instskip(SKIP_4) | instid1(VALU_DEP_3)
	v_cmp_gt_i64_e32 vcc_lo, v[12:13], v[22:23]
	v_add3_u32 v29, v29, v11, v8
	v_cmp_gt_i64_e64 s2, v[14:15], v[24:25]
	s_waitcnt vmcnt(0)
	v_cmp_gt_i64_e64 s3, v[16:17], v[26:27]
	v_cmp_gt_i64_e64 s4, v[18:19], v[28:29]
	v_dual_cndmask_b32 v5, v23, v13 :: v_dual_cndmask_b32 v4, v22, v12
	s_delay_alu instid0(VALU_DEP_4)
	v_cndmask_b32_e64 v7, v25, v15, s2
	v_cndmask_b32_e64 v6, v24, v14, s2
	;; [unrolled: 1-line block ×6, first 2 shown]
	s_and_b32 s2, exec_lo, s23
	s_clause 0x1
	global_store_b128 v[20:21], v[4:7], off
	global_store_b128 v[20:21], v[8:11], off offset:16
	s_or_b32 s20, s2, s20
	s_delay_alu instid0(SALU_CYCLE_1)
	s_and_not1_b32 exec_lo, exec_lo, s20
	s_cbranch_execnz .LBB117_3
.LBB117_4:
	s_or_b32 exec_lo, exec_lo, s19
	s_mov_b32 s2, 0
.LBB117_5:
	s_delay_alu instid0(SALU_CYCLE_1)
	s_and_not1_b32 vcc_lo, exec_lo, s2
	s_cbranch_vccnz .LBB117_25
; %bb.6:
	v_cmp_lt_i64_e64 s2, s[10:11], 1
	s_delay_alu instid0(VALU_DEP_1)
	s_and_b32 vcc_lo, exec_lo, s2
	s_cbranch_vccnz .LBB117_25
; %bb.7:
	s_load_b32 s0, s[0:1], 0xc64
	v_dual_mov_b32 v2, 0 :: v_dual_lshlrev_b32 v1, 3, v0
	v_cmp_gt_u64_e64 s1, 0x10000, s[10:11]
	s_delay_alu instid0(VALU_DEP_2) | instskip(NEXT) | instid1(VALU_DEP_1)
	v_add_co_u32 v17, s2, s12, v1
	v_add_co_ci_u32_e64 v18, null, s13, 0, s2
	v_add_co_u32 v19, s2, s14, v1
	s_delay_alu instid0(VALU_DEP_1)
	v_add_co_ci_u32_e64 v20, null, s15, 0, s2
	s_waitcnt lgkmcnt(0)
	s_and_b32 s0, s0, 0xffff
	s_and_b32 s1, s1, exec_lo
	v_mad_u64_u32 v[3:4], null, s0, 24, v[1:2]
	s_cselect_b32 s5, s11, 0
	s_cselect_b32 s4, s10, 0x10000
	s_lshl_b32 s3, s0, 4
	s_mul_i32 s2, s0, 3
	v_add_co_u32 v1, s3, s3, v1
	s_delay_alu instid0(VALU_DEP_2) | instskip(NEXT) | instid1(VALU_DEP_3)
	v_add_co_u32 v21, vcc_lo, s12, v3
	v_add_co_ci_u32_e32 v22, vcc_lo, s13, v4, vcc_lo
	v_add_co_u32 v25, s2, s2, v0
	v_add_co_u32 v23, vcc_lo, s14, v3
	v_add_co_ci_u32_e64 v2, null, 0, 0, s3
	v_add_co_ci_u32_e64 v26, null, 0, 0, s2
	v_add_co_u32 v29, s2, v0, s0
	v_add_co_ci_u32_e32 v24, vcc_lo, s15, v4, vcc_lo
	v_add_co_u32 v27, vcc_lo, s12, v1
	v_add_co_ci_u32_e32 v28, vcc_lo, s13, v2, vcc_lo
	v_add_co_u32 v30, vcc_lo, s14, v1
	v_lshlrev_b32_e32 v1, 3, v29
	s_lshl_b32 s1, s0, 1
	v_add_co_ci_u32_e32 v31, vcc_lo, s15, v2, vcc_lo
	v_add_co_u32 v33, s1, s1, v0
	s_delay_alu instid0(VALU_DEP_1) | instskip(SKIP_1) | instid1(VALU_DEP_1)
	v_add_co_ci_u32_e64 v34, null, 0, 0, s1
	v_add_co_u32 v35, s1, s12, v1
	v_add_co_ci_u32_e64 v36, null, s13, 0, s1
	v_add_co_u32 v37, s1, s14, v1
	v_add_co_ci_u32_e64 v32, null, 0, 0, s2
	v_add_co_ci_u32_e64 v38, null, s15, 0, s1
	s_lshl_b32 s14, s0, 2
	s_lshl_b32 s15, s0, 5
	s_mov_b64 s[12:13], 0
	s_branch .LBB117_9
.LBB117_8:                              ;   in Loop: Header=BB117_9 Depth=1
	s_or_b32 exec_lo, exec_lo, s0
	v_add_co_u32 v17, vcc_lo, v17, s15
	v_add_co_ci_u32_e32 v18, vcc_lo, 0, v18, vcc_lo
	v_add_co_u32 v19, vcc_lo, v19, s15
	v_add_co_ci_u32_e32 v20, vcc_lo, 0, v20, vcc_lo
	;; [unrolled: 2-line block ×5, first 2 shown]
	s_add_u32 s12, s12, s14
	v_add_co_u32 v30, vcc_lo, v30, s15
	s_addc_u32 s13, s13, 0
	v_add_co_ci_u32_e32 v31, vcc_lo, 0, v31, vcc_lo
	v_cmp_ge_i64_e64 s0, s[12:13], s[10:11]
	v_cmp_lt_u64_e64 s1, 0xffff, s[12:13]
	v_add_co_u32 v35, vcc_lo, v35, s15
	v_add_co_ci_u32_e32 v36, vcc_lo, 0, v36, vcc_lo
	v_add_co_u32 v37, vcc_lo, v37, s15
	v_add_co_ci_u32_e32 v38, vcc_lo, 0, v38, vcc_lo
	s_or_b32 s0, s0, s1
	s_delay_alu instid0(SALU_CYCLE_1)
	s_and_b32 vcc_lo, exec_lo, s0
	s_cbranch_vccnz .LBB117_25
.LBB117_9:                              ; =>This Inner Loop Header: Depth=1
	s_waitcnt vmcnt(1)
	v_add_co_u32 v3, s0, v0, s12
	s_delay_alu instid0(VALU_DEP_1) | instskip(SKIP_2) | instid1(VALU_DEP_3)
	v_add_co_ci_u32_e64 v4, null, 0, s13, s0
	v_mov_b32_e32 v1, 0
	v_mov_b32_e32 v2, 0
	v_cmp_gt_u64_e32 vcc_lo, s[4:5], v[3:4]
	s_delay_alu instid0(VALU_DEP_2)
	v_dual_mov_b32 v6, v2 :: v_dual_mov_b32 v5, v1
	s_waitcnt vmcnt(0)
	v_dual_mov_b32 v8, v2 :: v_dual_mov_b32 v7, v1
	s_and_saveexec_b32 s1, vcc_lo
	s_cbranch_execz .LBB117_11
; %bb.10:                               ;   in Loop: Header=BB117_9 Depth=1
	v_add_co_u32 v3, s0, v17, s8
	s_delay_alu instid0(VALU_DEP_1) | instskip(SKIP_1) | instid1(VALU_DEP_1)
	v_add_co_ci_u32_e64 v4, s0, s9, v18, s0
	v_add_co_u32 v7, s0, v19, s8
	v_add_co_ci_u32_e64 v8, s0, s9, v20, s0
	global_load_b64 v[5:6], v[3:4], off
	global_load_b64 v[7:8], v[7:8], off
.LBB117_11:                             ;   in Loop: Header=BB117_9 Depth=1
	s_or_b32 exec_lo, exec_lo, s1
	v_add_co_u32 v3, s0, v29, s12
	s_delay_alu instid0(VALU_DEP_1) | instskip(SKIP_1) | instid1(VALU_DEP_2)
	v_add_co_ci_u32_e64 v4, s0, s13, v32, s0
	v_dual_mov_b32 v10, v2 :: v_dual_mov_b32 v9, v1
	v_cmp_gt_u64_e64 s0, s[4:5], v[3:4]
	s_delay_alu instid0(VALU_DEP_1)
	s_and_saveexec_b32 s2, s0
	s_cbranch_execz .LBB117_13
; %bb.12:                               ;   in Loop: Header=BB117_9 Depth=1
	v_add_co_u32 v1, s1, v35, s8
	s_delay_alu instid0(VALU_DEP_1) | instskip(SKIP_1) | instid1(VALU_DEP_1)
	v_add_co_ci_u32_e64 v2, s1, s9, v36, s1
	v_add_co_u32 v3, s1, v37, s8
	v_add_co_ci_u32_e64 v4, s1, s9, v38, s1
	global_load_b64 v[1:2], v[1:2], off
	global_load_b64 v[9:10], v[3:4], off
.LBB117_13:                             ;   in Loop: Header=BB117_9 Depth=1
	s_or_b32 exec_lo, exec_lo, s2
	v_add_co_u32 v11, s1, v33, s12
	s_delay_alu instid0(VALU_DEP_1) | instskip(SKIP_2) | instid1(VALU_DEP_3)
	v_add_co_ci_u32_e64 v12, s1, s13, v34, s1
	v_mov_b32_e32 v3, 0
	v_mov_b32_e32 v4, 0
	v_cmp_gt_u64_e64 s1, s[4:5], v[11:12]
	s_delay_alu instid0(VALU_DEP_2) | instskip(SKIP_1) | instid1(VALU_DEP_3)
	v_dual_mov_b32 v12, v4 :: v_dual_mov_b32 v11, v3
	v_dual_mov_b32 v14, v4 :: v_dual_mov_b32 v13, v3
	s_and_saveexec_b32 s3, s1
	s_cbranch_execz .LBB117_15
; %bb.14:                               ;   in Loop: Header=BB117_9 Depth=1
	v_add_co_u32 v11, s2, v27, s8
	s_delay_alu instid0(VALU_DEP_1) | instskip(SKIP_1) | instid1(VALU_DEP_1)
	v_add_co_ci_u32_e64 v12, s2, s9, v28, s2
	v_add_co_u32 v13, s2, v30, s8
	v_add_co_ci_u32_e64 v14, s2, s9, v31, s2
	global_load_b64 v[11:12], v[11:12], off
	global_load_b64 v[13:14], v[13:14], off
.LBB117_15:                             ;   in Loop: Header=BB117_9 Depth=1
	s_or_b32 exec_lo, exec_lo, s3
	v_add_co_u32 v15, s2, v25, s12
	s_delay_alu instid0(VALU_DEP_1) | instskip(NEXT) | instid1(VALU_DEP_1)
	v_add_co_ci_u32_e64 v16, s2, s13, v26, s2
	v_cmp_gt_u64_e64 s2, s[4:5], v[15:16]
	v_dual_mov_b32 v16, v4 :: v_dual_mov_b32 v15, v3
	s_delay_alu instid0(VALU_DEP_2)
	s_and_saveexec_b32 s16, s2
	s_cbranch_execnz .LBB117_20
; %bb.16:                               ;   in Loop: Header=BB117_9 Depth=1
	s_or_b32 exec_lo, exec_lo, s16
	s_and_saveexec_b32 s3, vcc_lo
	s_cbranch_execnz .LBB117_21
.LBB117_17:                             ;   in Loop: Header=BB117_9 Depth=1
	s_or_b32 exec_lo, exec_lo, s3
	s_and_saveexec_b32 s3, s0
	s_cbranch_execnz .LBB117_22
.LBB117_18:                             ;   in Loop: Header=BB117_9 Depth=1
	s_or_b32 exec_lo, exec_lo, s3
	s_and_saveexec_b32 s0, s1
	s_cbranch_execnz .LBB117_23
.LBB117_19:                             ;   in Loop: Header=BB117_9 Depth=1
	s_or_b32 exec_lo, exec_lo, s0
	s_and_saveexec_b32 s0, s2
	s_cbranch_execz .LBB117_8
	s_branch .LBB117_24
.LBB117_20:                             ;   in Loop: Header=BB117_9 Depth=1
	v_add_co_u32 v3, s3, v21, s8
	s_delay_alu instid0(VALU_DEP_1) | instskip(SKIP_1) | instid1(VALU_DEP_1)
	v_add_co_ci_u32_e64 v4, s3, s9, v22, s3
	v_add_co_u32 v15, s3, v23, s8
	v_add_co_ci_u32_e64 v16, s3, s9, v24, s3
	global_load_b64 v[3:4], v[3:4], off
	global_load_b64 v[15:16], v[15:16], off
	s_or_b32 exec_lo, exec_lo, s16
	s_and_saveexec_b32 s3, vcc_lo
	s_cbranch_execz .LBB117_17
.LBB117_21:                             ;   in Loop: Header=BB117_9 Depth=1
	s_waitcnt vmcnt(0)
	v_mul_lo_u32 v8, v8, s6
	v_mul_lo_u32 v41, v7, s7
	v_mad_u64_u32 v[39:40], null, v7, s6, 0
	s_delay_alu instid0(VALU_DEP_1) | instskip(NEXT) | instid1(VALU_DEP_1)
	v_add3_u32 v40, v40, v41, v8
	v_cmp_gt_i64_e32 vcc_lo, v[5:6], v[39:40]
	v_dual_cndmask_b32 v6, v40, v6 :: v_dual_cndmask_b32 v5, v39, v5
	v_add_co_u32 v7, vcc_lo, v17, s8
	v_add_co_ci_u32_e32 v8, vcc_lo, s9, v18, vcc_lo
	global_store_b64 v[7:8], v[5:6], off
	s_or_b32 exec_lo, exec_lo, s3
	s_and_saveexec_b32 s3, s0
	s_cbranch_execz .LBB117_18
.LBB117_22:                             ;   in Loop: Header=BB117_9 Depth=1
	s_waitcnt vmcnt(0)
	v_mul_lo_u32 v7, v10, s6
	v_mul_lo_u32 v8, v9, s7
	v_mad_u64_u32 v[5:6], null, v9, s6, 0
	s_delay_alu instid0(VALU_DEP_1) | instskip(NEXT) | instid1(VALU_DEP_1)
	v_add3_u32 v6, v6, v8, v7
	v_cmp_gt_i64_e32 vcc_lo, v[1:2], v[5:6]
	v_dual_cndmask_b32 v2, v6, v2 :: v_dual_cndmask_b32 v1, v5, v1
	v_add_co_u32 v5, vcc_lo, v35, s8
	v_add_co_ci_u32_e32 v6, vcc_lo, s9, v36, vcc_lo
	global_store_b64 v[5:6], v[1:2], off
	s_or_b32 exec_lo, exec_lo, s3
	s_and_saveexec_b32 s0, s1
	s_cbranch_execz .LBB117_19
.LBB117_23:                             ;   in Loop: Header=BB117_9 Depth=1
	s_waitcnt vmcnt(0)
	v_mul_lo_u32 v5, v14, s6
	v_mul_lo_u32 v6, v13, s7
	v_mad_u64_u32 v[1:2], null, v13, s6, 0
	s_delay_alu instid0(VALU_DEP_1) | instskip(NEXT) | instid1(VALU_DEP_1)
	v_add3_u32 v2, v2, v6, v5
	v_cmp_gt_i64_e32 vcc_lo, v[11:12], v[1:2]
	v_dual_cndmask_b32 v2, v2, v12 :: v_dual_cndmask_b32 v1, v1, v11
	v_add_co_u32 v5, vcc_lo, v27, s8
	v_add_co_ci_u32_e32 v6, vcc_lo, s9, v28, vcc_lo
	global_store_b64 v[5:6], v[1:2], off
	s_or_b32 exec_lo, exec_lo, s0
	s_and_saveexec_b32 s0, s2
	s_cbranch_execz .LBB117_8
.LBB117_24:                             ;   in Loop: Header=BB117_9 Depth=1
	s_waitcnt vmcnt(0)
	v_mul_lo_u32 v5, v16, s6
	v_mul_lo_u32 v6, v15, s7
	v_mad_u64_u32 v[1:2], null, v15, s6, 0
	s_delay_alu instid0(VALU_DEP_1) | instskip(NEXT) | instid1(VALU_DEP_1)
	v_add3_u32 v2, v2, v6, v5
	v_cmp_gt_i64_e32 vcc_lo, v[3:4], v[1:2]
	v_dual_cndmask_b32 v2, v2, v4 :: v_dual_cndmask_b32 v1, v1, v3
	v_add_co_u32 v3, vcc_lo, v21, s8
	v_add_co_ci_u32_e32 v4, vcc_lo, s9, v22, vcc_lo
	global_store_b64 v[3:4], v[1:2], off
	s_branch .LBB117_8
.LBB117_25:
	s_nop 0
	s_sendmsg sendmsg(MSG_DEALLOC_VGPRS)
	s_endpgm
	.section	.rodata,"a",@progbits
	.p2align	6, 0x0
	.amdhsa_kernel _ZN2at6native12_GLOBAL__N_125multi_tensor_apply_kernelINS1_18TensorListMetadataILi2EEENS1_24BinaryOpListAlphaFunctorIlLi2ELi2ELi0EEEJNS0_7maximumIlEElEEEvT_T0_DpT1_
		.amdhsa_group_segment_fixed_size 0
		.amdhsa_private_segment_fixed_size 0
		.amdhsa_kernarg_size 3416
		.amdhsa_user_sgpr_count 15
		.amdhsa_user_sgpr_dispatch_ptr 0
		.amdhsa_user_sgpr_queue_ptr 0
		.amdhsa_user_sgpr_kernarg_segment_ptr 1
		.amdhsa_user_sgpr_dispatch_id 0
		.amdhsa_user_sgpr_private_segment_size 0
		.amdhsa_wavefront_size32 1
		.amdhsa_uses_dynamic_stack 0
		.amdhsa_enable_private_segment 0
		.amdhsa_system_sgpr_workgroup_id_x 1
		.amdhsa_system_sgpr_workgroup_id_y 0
		.amdhsa_system_sgpr_workgroup_id_z 0
		.amdhsa_system_sgpr_workgroup_info 0
		.amdhsa_system_vgpr_workitem_id 0
		.amdhsa_next_free_vgpr 42
		.amdhsa_next_free_sgpr 26
		.amdhsa_reserve_vcc 1
		.amdhsa_float_round_mode_32 0
		.amdhsa_float_round_mode_16_64 0
		.amdhsa_float_denorm_mode_32 3
		.amdhsa_float_denorm_mode_16_64 3
		.amdhsa_dx10_clamp 1
		.amdhsa_ieee_mode 1
		.amdhsa_fp16_overflow 0
		.amdhsa_workgroup_processor_mode 1
		.amdhsa_memory_ordered 1
		.amdhsa_forward_progress 0
		.amdhsa_shared_vgpr_count 0
		.amdhsa_exception_fp_ieee_invalid_op 0
		.amdhsa_exception_fp_denorm_src 0
		.amdhsa_exception_fp_ieee_div_zero 0
		.amdhsa_exception_fp_ieee_overflow 0
		.amdhsa_exception_fp_ieee_underflow 0
		.amdhsa_exception_fp_ieee_inexact 0
		.amdhsa_exception_int_div_zero 0
	.end_amdhsa_kernel
	.section	.text._ZN2at6native12_GLOBAL__N_125multi_tensor_apply_kernelINS1_18TensorListMetadataILi2EEENS1_24BinaryOpListAlphaFunctorIlLi2ELi2ELi0EEEJNS0_7maximumIlEElEEEvT_T0_DpT1_,"axG",@progbits,_ZN2at6native12_GLOBAL__N_125multi_tensor_apply_kernelINS1_18TensorListMetadataILi2EEENS1_24BinaryOpListAlphaFunctorIlLi2ELi2ELi0EEEJNS0_7maximumIlEElEEEvT_T0_DpT1_,comdat
.Lfunc_end117:
	.size	_ZN2at6native12_GLOBAL__N_125multi_tensor_apply_kernelINS1_18TensorListMetadataILi2EEENS1_24BinaryOpListAlphaFunctorIlLi2ELi2ELi0EEEJNS0_7maximumIlEElEEEvT_T0_DpT1_, .Lfunc_end117-_ZN2at6native12_GLOBAL__N_125multi_tensor_apply_kernelINS1_18TensorListMetadataILi2EEENS1_24BinaryOpListAlphaFunctorIlLi2ELi2ELi0EEEJNS0_7maximumIlEElEEEvT_T0_DpT1_
                                        ; -- End function
	.section	.AMDGPU.csdata,"",@progbits
; Kernel info:
; codeLenInByte = 1992
; NumSgprs: 28
; NumVgprs: 42
; ScratchSize: 0
; MemoryBound: 0
; FloatMode: 240
; IeeeMode: 1
; LDSByteSize: 0 bytes/workgroup (compile time only)
; SGPRBlocks: 3
; VGPRBlocks: 5
; NumSGPRsForWavesPerEU: 28
; NumVGPRsForWavesPerEU: 42
; Occupancy: 16
; WaveLimiterHint : 0
; COMPUTE_PGM_RSRC2:SCRATCH_EN: 0
; COMPUTE_PGM_RSRC2:USER_SGPR: 15
; COMPUTE_PGM_RSRC2:TRAP_HANDLER: 0
; COMPUTE_PGM_RSRC2:TGID_X_EN: 1
; COMPUTE_PGM_RSRC2:TGID_Y_EN: 0
; COMPUTE_PGM_RSRC2:TGID_Z_EN: 0
; COMPUTE_PGM_RSRC2:TIDIG_COMP_CNT: 0
	.section	.text._ZN2at6native12_GLOBAL__N_125multi_tensor_apply_kernelINS1_18TensorListMetadataILi2EEENS1_24BinaryOpListAlphaFunctorIsLi2ELi2ELi0EEEJNS0_7maximumIsEEsEEEvT_T0_DpT1_,"axG",@progbits,_ZN2at6native12_GLOBAL__N_125multi_tensor_apply_kernelINS1_18TensorListMetadataILi2EEENS1_24BinaryOpListAlphaFunctorIsLi2ELi2ELi0EEEJNS0_7maximumIsEEsEEEvT_T0_DpT1_,comdat
	.globl	_ZN2at6native12_GLOBAL__N_125multi_tensor_apply_kernelINS1_18TensorListMetadataILi2EEENS1_24BinaryOpListAlphaFunctorIsLi2ELi2ELi0EEEJNS0_7maximumIsEEsEEEvT_T0_DpT1_ ; -- Begin function _ZN2at6native12_GLOBAL__N_125multi_tensor_apply_kernelINS1_18TensorListMetadataILi2EEENS1_24BinaryOpListAlphaFunctorIsLi2ELi2ELi0EEEJNS0_7maximumIsEEsEEEvT_T0_DpT1_
	.p2align	8
	.type	_ZN2at6native12_GLOBAL__N_125multi_tensor_apply_kernelINS1_18TensorListMetadataILi2EEENS1_24BinaryOpListAlphaFunctorIsLi2ELi2ELi0EEEJNS0_7maximumIsEEsEEEvT_T0_DpT1_,@function
_ZN2at6native12_GLOBAL__N_125multi_tensor_apply_kernelINS1_18TensorListMetadataILi2EEENS1_24BinaryOpListAlphaFunctorIsLi2ELi2ELi0EEEJNS0_7maximumIsEEsEEEvT_T0_DpT1_: ; @_ZN2at6native12_GLOBAL__N_125multi_tensor_apply_kernelINS1_18TensorListMetadataILi2EEENS1_24BinaryOpListAlphaFunctorIsLi2ELi2ELi0EEEJNS0_7maximumIsEEsEEEvT_T0_DpT1_
; %bb.0:
	v_mov_b32_e32 v1, s15
	s_mul_i32 s4, s15, 3
	s_mul_hi_u32 s3, s15, 3
	s_mov_b32 s9, 0
	s_load_b32 s2, s[0:1], 0xc48
	global_load_u8 v1, v1, s[0:1] offset:1536
	s_mov_b32 s19, s9
	s_mov_b32 s17, s9
	s_waitcnt lgkmcnt(0)
	s_lshr_b32 s14, s2, 16
	s_add_u32 s2, s0, s15
	s_addc_u32 s5, s1, 0
	s_add_u32 s2, s2, s4
	s_addc_u32 s3, s5, s3
	s_load_b32 s2, s[2:3], 0x740
	s_waitcnt vmcnt(0)
	v_readfirstlane_b32 s6, v1
	s_delay_alu instid0(VALU_DEP_1)
	s_lshl_b32 s3, s6, 3
	s_clause 0x2
	s_load_b64 s[10:11], s[0:1], s3 offset:0x0
	s_load_b64 s[12:13], s[0:1], s3 offset:0x200
	;; [unrolled: 1-line block ×3, first 2 shown]
	s_waitcnt lgkmcnt(0)
	s_ashr_i32 s3, s2, 31
	s_delay_alu instid0(SALU_CYCLE_1) | instskip(SKIP_4) | instid1(SALU_CYCLE_1)
	s_lshl_b64 s[4:5], s[2:3], 17
	s_lshl_b64 s[2:3], s[2:3], 16
	s_and_b32 s8, s10, 7
	s_and_b32 s16, s12, 7
	;; [unrolled: 1-line block ×3, first 2 shown]
	s_or_b64 s[8:9], s[8:9], s[18:19]
	s_delay_alu instid0(SALU_CYCLE_1)
	s_or_b64 s[8:9], s[16:17], s[8:9]
	s_sub_u32 s6, s6, s2
	s_subb_u32 s7, s7, s3
	s_cmp_eq_u64 s[8:9], 0
	s_mov_b32 s2, -1
	s_cbranch_scc0 .LBB118_5
; %bb.1:
	v_dual_mov_b32 v2, 0 :: v_dual_lshlrev_b32 v1, 2, v0
	s_mov_b32 s8, exec_lo
	s_delay_alu instid0(VALU_DEP_1)
	v_cmpx_gt_i64_e64 s[6:7], v[1:2]
	s_cbranch_execz .LBB118_4
; %bb.2:
	s_load_b32 s2, s[0:1], 0xc5c
	v_lshlrev_b32_e32 v1, 3, v0
	s_mov_b32 s9, 0
	s_delay_alu instid0(VALU_DEP_1) | instskip(NEXT) | instid1(VALU_DEP_1)
	v_add_co_u32 v3, s3, s4, v1
	v_add_co_ci_u32_e64 v4, null, s5, 0, s3
	s_waitcnt lgkmcnt(0)
	s_and_b32 s2, s2, 0xffff
	s_delay_alu instid0(SALU_CYCLE_1)
	v_add_lshl_u32 v1, v0, s2, 2
	s_lshl_b32 s15, s2, 3
	s_lshl_b32 s16, s2, 2
.LBB118_3:                              ; =>This Inner Loop Header: Depth=1
	v_add_co_u32 v5, vcc_lo, s12, v3
	v_add_co_ci_u32_e32 v6, vcc_lo, s13, v4, vcc_lo
	v_add_co_u32 v7, vcc_lo, s10, v3
	v_add_co_ci_u32_e32 v8, vcc_lo, s11, v4, vcc_lo
	v_cmp_le_i64_e32 vcc_lo, s[6:7], v[1:2]
	global_load_b64 v[5:6], v[5:6], off
	global_load_b64 v[9:10], v[7:8], off
	v_cmp_lt_u64_e64 s2, 0xffff, v[1:2]
	v_add_co_u32 v3, s3, v3, s15
	s_delay_alu instid0(VALU_DEP_1) | instskip(SKIP_1) | instid1(VALU_DEP_4)
	v_add_co_ci_u32_e64 v4, s3, 0, v4, s3
	v_add_co_u32 v1, s3, v1, s16
	s_or_b32 s2, vcc_lo, s2
	v_add_co_ci_u32_e64 v2, s3, 0, v2, s3
	s_and_b32 s2, exec_lo, s2
	s_delay_alu instid0(SALU_CYCLE_1)
	s_or_b32 s9, s2, s9
	s_waitcnt vmcnt(1)
	v_lshrrev_b32_e32 v11, 16, v5
	v_mul_lo_u16 v5, v5, s14
	s_waitcnt vmcnt(0)
	v_lshrrev_b32_e32 v12, 16, v9
	v_mul_lo_u16 v13, v6, s14
	v_lshrrev_b32_e32 v6, 16, v6
	v_mul_lo_u16 v11, v11, s14
	v_lshrrev_b32_e32 v14, 16, v10
	v_max_i16 v5, v9, v5
	v_max_i16 v10, v10, v13
	v_mul_lo_u16 v6, v6, s14
	v_max_i16 v9, v12, v11
	s_delay_alu instid0(VALU_DEP_4) | instskip(NEXT) | instid1(VALU_DEP_4)
	v_and_b32_e32 v5, 0xffff, v5
	v_and_b32_e32 v10, 0xffff, v10
	s_delay_alu instid0(VALU_DEP_4) | instskip(NEXT) | instid1(VALU_DEP_4)
	v_max_i16 v6, v14, v6
	v_lshlrev_b32_e32 v9, 16, v9
	s_delay_alu instid0(VALU_DEP_2) | instskip(NEXT) | instid1(VALU_DEP_2)
	v_lshlrev_b32_e32 v6, 16, v6
	v_or_b32_e32 v5, v9, v5
	s_delay_alu instid0(VALU_DEP_2) | instskip(NEXT) | instid1(VALU_DEP_2)
	v_or3_b32 v6, 0, v10, v6
	v_or3_b32 v5, v5, 0, 0
	global_store_b64 v[7:8], v[5:6], off
	s_and_not1_b32 exec_lo, exec_lo, s9
	s_cbranch_execnz .LBB118_3
.LBB118_4:
	s_or_b32 exec_lo, exec_lo, s8
	s_mov_b32 s2, 0
.LBB118_5:
	s_delay_alu instid0(SALU_CYCLE_1)
	s_and_not1_b32 vcc_lo, exec_lo, s2
	s_cbranch_vccnz .LBB118_25
; %bb.6:
	v_cmp_lt_i64_e64 s2, s[6:7], 1
	s_delay_alu instid0(VALU_DEP_1)
	s_and_b32 vcc_lo, exec_lo, s2
	s_cbranch_vccnz .LBB118_25
; %bb.7:
	s_load_b32 s0, s[0:1], 0xc5c
	v_dual_mov_b32 v2, 0 :: v_dual_lshlrev_b32 v1, 1, v0
	v_cmp_gt_u64_e64 s1, 0x10000, s[6:7]
	s_delay_alu instid0(VALU_DEP_2) | instskip(NEXT) | instid1(VALU_DEP_1)
	v_add_co_u32 v3, s2, s10, v1
	v_add_co_ci_u32_e64 v4, null, s11, 0, s2
	v_add_co_u32 v5, s2, s12, v1
	s_delay_alu instid0(VALU_DEP_1)
	v_add_co_ci_u32_e64 v6, null, s13, 0, s2
	s_waitcnt lgkmcnt(0)
	s_and_b32 s0, s0, 0xffff
	s_and_b32 s1, s1, exec_lo
	v_mad_u64_u32 v[9:10], null, s0, 6, v[1:2]
	s_cselect_b32 s9, s7, 0
	s_cselect_b32 s8, s6, 0x10000
	s_lshl_b32 s15, s0, 2
	s_mul_i32 s2, s0, 3
	v_add_co_u32 v1, s3, s15, v1
	s_delay_alu instid0(VALU_DEP_2) | instskip(NEXT) | instid1(VALU_DEP_3)
	v_add_co_u32 v7, vcc_lo, s10, v9
	v_add_co_ci_u32_e32 v8, vcc_lo, s11, v10, vcc_lo
	v_add_co_u32 v11, s2, s2, v0
	v_add_co_u32 v9, vcc_lo, s12, v9
	v_add_co_ci_u32_e64 v2, null, 0, 0, s3
	v_add_co_ci_u32_e64 v12, null, 0, 0, s2
	v_add_co_u32 v15, s2, v0, s0
	v_add_co_ci_u32_e32 v10, vcc_lo, s13, v10, vcc_lo
	v_add_co_u32 v13, vcc_lo, s10, v1
	v_add_co_ci_u32_e32 v14, vcc_lo, s11, v2, vcc_lo
	v_add_co_u32 v16, vcc_lo, s12, v1
	v_lshlrev_b32_e32 v1, 1, v15
	s_lshl_b32 s1, s0, 1
	v_add_co_ci_u32_e32 v17, vcc_lo, s13, v2, vcc_lo
	v_add_co_u32 v19, s1, s1, v0
	s_delay_alu instid0(VALU_DEP_1) | instskip(SKIP_1) | instid1(VALU_DEP_1)
	v_add_co_ci_u32_e64 v20, null, 0, 0, s1
	v_add_co_u32 v21, s1, s10, v1
	v_add_co_ci_u32_e64 v22, null, s11, 0, s1
	v_add_co_u32 v23, s1, s12, v1
	v_add_co_ci_u32_e64 v18, null, 0, 0, s2
	v_add_co_ci_u32_e64 v24, null, s13, 0, s1
	s_mov_b32 s12, 0
	s_lshl_b32 s13, s0, 3
	s_mov_b64 s[10:11], 0
	s_branch .LBB118_9
.LBB118_8:                              ;   in Loop: Header=BB118_9 Depth=1
	s_or_b32 exec_lo, exec_lo, s0
	v_add_co_u32 v3, vcc_lo, v3, s13
	v_add_co_ci_u32_e32 v4, vcc_lo, 0, v4, vcc_lo
	v_add_co_u32 v5, vcc_lo, v5, s13
	v_add_co_ci_u32_e32 v6, vcc_lo, 0, v6, vcc_lo
	;; [unrolled: 2-line block ×5, first 2 shown]
	s_add_u32 s10, s10, s15
	v_add_co_u32 v16, vcc_lo, v16, s13
	s_addc_u32 s11, s11, 0
	v_add_co_ci_u32_e32 v17, vcc_lo, 0, v17, vcc_lo
	v_cmp_ge_i64_e64 s0, s[10:11], s[6:7]
	v_cmp_lt_u64_e64 s1, 0xffff, s[10:11]
	v_add_co_u32 v21, vcc_lo, v21, s13
	v_add_co_ci_u32_e32 v22, vcc_lo, 0, v22, vcc_lo
	v_add_co_u32 v23, vcc_lo, v23, s13
	v_add_co_ci_u32_e32 v24, vcc_lo, 0, v24, vcc_lo
	s_or_b32 s0, s0, s1
	s_delay_alu instid0(SALU_CYCLE_1)
	s_and_b32 vcc_lo, exec_lo, s0
	s_cbranch_vccnz .LBB118_25
.LBB118_9:                              ; =>This Inner Loop Header: Depth=1
	v_add_co_u32 v1, s0, v0, s10
	s_delay_alu instid0(VALU_DEP_1) | instskip(SKIP_2) | instid1(VALU_DEP_2)
	v_add_co_ci_u32_e64 v2, null, 0, s11, s0
	s_waitcnt vmcnt(0)
	v_mov_b32_e32 v25, 0
	v_cmp_gt_u64_e32 vcc_lo, s[8:9], v[1:2]
	v_mov_b32_e32 v1, 0
	v_mov_b32_e32 v2, 0
	s_and_saveexec_b32 s1, vcc_lo
	s_cbranch_execz .LBB118_11
; %bb.10:                               ;   in Loop: Header=BB118_9 Depth=1
	v_add_co_u32 v1, s0, v3, s4
	s_delay_alu instid0(VALU_DEP_1) | instskip(SKIP_2) | instid1(VALU_DEP_1)
	v_add_co_ci_u32_e64 v2, s0, s5, v4, s0
	global_load_u16 v26, v[1:2], off
	v_add_co_u32 v1, s0, v5, s4
	v_add_co_ci_u32_e64 v2, s0, s5, v6, s0
	global_load_u16 v25, v[1:2], off
	s_waitcnt vmcnt(1)
	v_dual_mov_b32 v2, s12 :: v_dual_and_b32 v1, 0xffff, v26
.LBB118_11:                             ;   in Loop: Header=BB118_9 Depth=1
	s_or_b32 exec_lo, exec_lo, s1
	v_add_co_u32 v26, s0, v15, s10
	s_delay_alu instid0(VALU_DEP_1) | instskip(NEXT) | instid1(VALU_DEP_1)
	v_add_co_ci_u32_e64 v27, s0, s11, v18, s0
	v_cmp_gt_u64_e64 s0, s[8:9], v[26:27]
	v_dual_mov_b32 v26, 0 :: v_dual_mov_b32 v27, 0
	s_delay_alu instid0(VALU_DEP_2)
	s_and_saveexec_b32 s2, s0
	s_cbranch_execz .LBB118_13
; %bb.12:                               ;   in Loop: Header=BB118_9 Depth=1
	v_add_co_u32 v27, s1, v21, s4
	s_delay_alu instid0(VALU_DEP_1) | instskip(SKIP_2) | instid1(VALU_DEP_1)
	v_add_co_ci_u32_e64 v28, s1, s5, v22, s1
	global_load_u16 v29, v[27:28], off
	v_add_co_u32 v27, s1, v23, s4
	v_add_co_ci_u32_e64 v28, s1, s5, v24, s1
	global_load_u16 v27, v[27:28], off
	s_waitcnt vmcnt(1)
	v_lshl_or_b32 v1, v29, 16, v1
.LBB118_13:                             ;   in Loop: Header=BB118_9 Depth=1
	s_or_b32 exec_lo, exec_lo, s2
	v_add_co_u32 v28, s1, v19, s10
	s_delay_alu instid0(VALU_DEP_1) | instskip(NEXT) | instid1(VALU_DEP_1)
	v_add_co_ci_u32_e64 v29, s1, s11, v20, s1
	v_cmp_gt_u64_e64 s1, s[8:9], v[28:29]
	s_delay_alu instid0(VALU_DEP_1)
	s_and_saveexec_b32 s3, s1
	s_cbranch_execz .LBB118_15
; %bb.14:                               ;   in Loop: Header=BB118_9 Depth=1
	v_add_co_u32 v28, s2, v13, s4
	s_delay_alu instid0(VALU_DEP_1) | instskip(SKIP_2) | instid1(VALU_DEP_1)
	v_add_co_ci_u32_e64 v29, s2, s5, v14, s2
	global_load_u16 v30, v[28:29], off
	v_add_co_u32 v28, s2, v16, s4
	v_add_co_ci_u32_e64 v29, s2, s5, v17, s2
	global_load_u16 v26, v[28:29], off
	s_waitcnt vmcnt(1)
	v_or_b32_e32 v2, v30, v2
.LBB118_15:                             ;   in Loop: Header=BB118_9 Depth=1
	s_or_b32 exec_lo, exec_lo, s3
	v_add_co_u32 v28, s2, v11, s10
	s_delay_alu instid0(VALU_DEP_1) | instskip(NEXT) | instid1(VALU_DEP_1)
	v_add_co_ci_u32_e64 v29, s2, s11, v12, s2
	v_cmp_gt_u64_e64 s2, s[8:9], v[28:29]
	v_mov_b32_e32 v28, 0
	s_delay_alu instid0(VALU_DEP_2)
	s_and_saveexec_b32 s16, s2
	s_cbranch_execnz .LBB118_20
; %bb.16:                               ;   in Loop: Header=BB118_9 Depth=1
	s_or_b32 exec_lo, exec_lo, s16
	s_and_saveexec_b32 s3, vcc_lo
	s_cbranch_execnz .LBB118_21
.LBB118_17:                             ;   in Loop: Header=BB118_9 Depth=1
	s_or_b32 exec_lo, exec_lo, s3
	s_and_saveexec_b32 s3, s0
	s_cbranch_execnz .LBB118_22
.LBB118_18:                             ;   in Loop: Header=BB118_9 Depth=1
	s_or_b32 exec_lo, exec_lo, s3
	s_and_saveexec_b32 s0, s1
	s_cbranch_execnz .LBB118_23
.LBB118_19:                             ;   in Loop: Header=BB118_9 Depth=1
	s_or_b32 exec_lo, exec_lo, s0
	s_and_saveexec_b32 s0, s2
	s_cbranch_execz .LBB118_8
	s_branch .LBB118_24
.LBB118_20:                             ;   in Loop: Header=BB118_9 Depth=1
	v_add_co_u32 v28, s3, v7, s4
	s_delay_alu instid0(VALU_DEP_1) | instskip(SKIP_3) | instid1(VALU_DEP_1)
	v_add_co_ci_u32_e64 v29, s3, s5, v8, s3
	v_mov_b32_e32 v30, 0
	global_load_d16_hi_b16 v30, v[28:29], off
	v_add_co_u32 v28, s3, v9, s4
	v_add_co_ci_u32_e64 v29, s3, s5, v10, s3
	global_load_u16 v28, v[28:29], off
	s_waitcnt vmcnt(1)
	v_or_b32_e32 v2, v30, v2
	s_or_b32 exec_lo, exec_lo, s16
	s_and_saveexec_b32 s3, vcc_lo
	s_cbranch_execz .LBB118_17
.LBB118_21:                             ;   in Loop: Header=BB118_9 Depth=1
	s_waitcnt vmcnt(0)
	v_mul_lo_u16 v25, v25, s14
	v_add_co_u32 v29, vcc_lo, v3, s4
	v_add_co_ci_u32_e32 v30, vcc_lo, s5, v4, vcc_lo
	s_delay_alu instid0(VALU_DEP_3)
	v_max_i16 v25, v1, v25
	global_store_b16 v[29:30], v25, off
	s_or_b32 exec_lo, exec_lo, s3
	s_and_saveexec_b32 s3, s0
	s_cbranch_execz .LBB118_18
.LBB118_22:                             ;   in Loop: Header=BB118_9 Depth=1
	v_lshrrev_b32_e32 v1, 16, v1
	s_waitcnt vmcnt(0)
	v_mul_lo_u16 v25, v27, s14
	v_add_co_u32 v29, vcc_lo, v21, s4
	v_add_co_ci_u32_e32 v30, vcc_lo, s5, v22, vcc_lo
	s_delay_alu instid0(VALU_DEP_3)
	v_max_i16 v1, v1, v25
	global_store_b16 v[29:30], v1, off
	s_or_b32 exec_lo, exec_lo, s3
	s_and_saveexec_b32 s0, s1
	s_cbranch_execz .LBB118_19
.LBB118_23:                             ;   in Loop: Header=BB118_9 Depth=1
	s_waitcnt vmcnt(0)
	v_mul_lo_u16 v1, v26, s14
	v_add_co_u32 v25, vcc_lo, v13, s4
	v_add_co_ci_u32_e32 v26, vcc_lo, s5, v14, vcc_lo
	s_delay_alu instid0(VALU_DEP_3)
	v_max_i16 v1, v2, v1
	global_store_b16 v[25:26], v1, off
	s_or_b32 exec_lo, exec_lo, s0
	s_and_saveexec_b32 s0, s2
	s_cbranch_execz .LBB118_8
.LBB118_24:                             ;   in Loop: Header=BB118_9 Depth=1
	v_lshrrev_b32_e32 v1, 16, v2
	s_waitcnt vmcnt(0)
	v_mul_lo_u16 v2, v28, s14
	s_delay_alu instid0(VALU_DEP_1)
	v_max_i16 v25, v1, v2
	v_add_co_u32 v1, vcc_lo, v7, s4
	v_add_co_ci_u32_e32 v2, vcc_lo, s5, v8, vcc_lo
	global_store_b16 v[1:2], v25, off
	s_branch .LBB118_8
.LBB118_25:
	s_nop 0
	s_sendmsg sendmsg(MSG_DEALLOC_VGPRS)
	s_endpgm
	.section	.rodata,"a",@progbits
	.p2align	6, 0x0
	.amdhsa_kernel _ZN2at6native12_GLOBAL__N_125multi_tensor_apply_kernelINS1_18TensorListMetadataILi2EEENS1_24BinaryOpListAlphaFunctorIsLi2ELi2ELi0EEEJNS0_7maximumIsEEsEEEvT_T0_DpT1_
		.amdhsa_group_segment_fixed_size 0
		.amdhsa_private_segment_fixed_size 0
		.amdhsa_kernarg_size 3408
		.amdhsa_user_sgpr_count 15
		.amdhsa_user_sgpr_dispatch_ptr 0
		.amdhsa_user_sgpr_queue_ptr 0
		.amdhsa_user_sgpr_kernarg_segment_ptr 1
		.amdhsa_user_sgpr_dispatch_id 0
		.amdhsa_user_sgpr_private_segment_size 0
		.amdhsa_wavefront_size32 1
		.amdhsa_uses_dynamic_stack 0
		.amdhsa_enable_private_segment 0
		.amdhsa_system_sgpr_workgroup_id_x 1
		.amdhsa_system_sgpr_workgroup_id_y 0
		.amdhsa_system_sgpr_workgroup_id_z 0
		.amdhsa_system_sgpr_workgroup_info 0
		.amdhsa_system_vgpr_workitem_id 0
		.amdhsa_next_free_vgpr 31
		.amdhsa_next_free_sgpr 20
		.amdhsa_reserve_vcc 1
		.amdhsa_float_round_mode_32 0
		.amdhsa_float_round_mode_16_64 0
		.amdhsa_float_denorm_mode_32 3
		.amdhsa_float_denorm_mode_16_64 3
		.amdhsa_dx10_clamp 1
		.amdhsa_ieee_mode 1
		.amdhsa_fp16_overflow 0
		.amdhsa_workgroup_processor_mode 1
		.amdhsa_memory_ordered 1
		.amdhsa_forward_progress 0
		.amdhsa_shared_vgpr_count 0
		.amdhsa_exception_fp_ieee_invalid_op 0
		.amdhsa_exception_fp_denorm_src 0
		.amdhsa_exception_fp_ieee_div_zero 0
		.amdhsa_exception_fp_ieee_overflow 0
		.amdhsa_exception_fp_ieee_underflow 0
		.amdhsa_exception_fp_ieee_inexact 0
		.amdhsa_exception_int_div_zero 0
	.end_amdhsa_kernel
	.section	.text._ZN2at6native12_GLOBAL__N_125multi_tensor_apply_kernelINS1_18TensorListMetadataILi2EEENS1_24BinaryOpListAlphaFunctorIsLi2ELi2ELi0EEEJNS0_7maximumIsEEsEEEvT_T0_DpT1_,"axG",@progbits,_ZN2at6native12_GLOBAL__N_125multi_tensor_apply_kernelINS1_18TensorListMetadataILi2EEENS1_24BinaryOpListAlphaFunctorIsLi2ELi2ELi0EEEJNS0_7maximumIsEEsEEEvT_T0_DpT1_,comdat
.Lfunc_end118:
	.size	_ZN2at6native12_GLOBAL__N_125multi_tensor_apply_kernelINS1_18TensorListMetadataILi2EEENS1_24BinaryOpListAlphaFunctorIsLi2ELi2ELi0EEEJNS0_7maximumIsEEsEEEvT_T0_DpT1_, .Lfunc_end118-_ZN2at6native12_GLOBAL__N_125multi_tensor_apply_kernelINS1_18TensorListMetadataILi2EEENS1_24BinaryOpListAlphaFunctorIsLi2ELi2ELi0EEEJNS0_7maximumIsEEsEEEvT_T0_DpT1_
                                        ; -- End function
	.section	.AMDGPU.csdata,"",@progbits
; Kernel info:
; codeLenInByte = 1768
; NumSgprs: 22
; NumVgprs: 31
; ScratchSize: 0
; MemoryBound: 0
; FloatMode: 240
; IeeeMode: 1
; LDSByteSize: 0 bytes/workgroup (compile time only)
; SGPRBlocks: 2
; VGPRBlocks: 3
; NumSGPRsForWavesPerEU: 22
; NumVGPRsForWavesPerEU: 31
; Occupancy: 16
; WaveLimiterHint : 0
; COMPUTE_PGM_RSRC2:SCRATCH_EN: 0
; COMPUTE_PGM_RSRC2:USER_SGPR: 15
; COMPUTE_PGM_RSRC2:TRAP_HANDLER: 0
; COMPUTE_PGM_RSRC2:TGID_X_EN: 1
; COMPUTE_PGM_RSRC2:TGID_Y_EN: 0
; COMPUTE_PGM_RSRC2:TGID_Z_EN: 0
; COMPUTE_PGM_RSRC2:TIDIG_COMP_CNT: 0
	.section	.text._ZN2at6native12_GLOBAL__N_125multi_tensor_apply_kernelINS1_18TensorListMetadataILi2EEENS1_24BinaryOpListAlphaFunctorIdLi2ELi2ELi0EEEJNS0_7maximumIdEEdEEEvT_T0_DpT1_,"axG",@progbits,_ZN2at6native12_GLOBAL__N_125multi_tensor_apply_kernelINS1_18TensorListMetadataILi2EEENS1_24BinaryOpListAlphaFunctorIdLi2ELi2ELi0EEEJNS0_7maximumIdEEdEEEvT_T0_DpT1_,comdat
	.globl	_ZN2at6native12_GLOBAL__N_125multi_tensor_apply_kernelINS1_18TensorListMetadataILi2EEENS1_24BinaryOpListAlphaFunctorIdLi2ELi2ELi0EEEJNS0_7maximumIdEEdEEEvT_T0_DpT1_ ; -- Begin function _ZN2at6native12_GLOBAL__N_125multi_tensor_apply_kernelINS1_18TensorListMetadataILi2EEENS1_24BinaryOpListAlphaFunctorIdLi2ELi2ELi0EEEJNS0_7maximumIdEEdEEEvT_T0_DpT1_
	.p2align	8
	.type	_ZN2at6native12_GLOBAL__N_125multi_tensor_apply_kernelINS1_18TensorListMetadataILi2EEENS1_24BinaryOpListAlphaFunctorIdLi2ELi2ELi0EEEJNS0_7maximumIdEEdEEEvT_T0_DpT1_,@function
_ZN2at6native12_GLOBAL__N_125multi_tensor_apply_kernelINS1_18TensorListMetadataILi2EEENS1_24BinaryOpListAlphaFunctorIdLi2ELi2ELi0EEEJNS0_7maximumIdEEdEEEvT_T0_DpT1_: ; @_ZN2at6native12_GLOBAL__N_125multi_tensor_apply_kernelINS1_18TensorListMetadataILi2EEENS1_24BinaryOpListAlphaFunctorIdLi2ELi2ELi0EEEJNS0_7maximumIdEEdEEEvT_T0_DpT1_
; %bb.0:
	v_mov_b32_e32 v1, s15
	s_add_u32 s2, s0, s15
	s_mul_hi_u32 s3, s15, 3
	s_mul_i32 s15, s15, 3
	s_addc_u32 s4, s1, 0
	global_load_u8 v1, v1, s[0:1] offset:1536
	s_add_u32 s2, s2, s15
	s_addc_u32 s3, s4, s3
	s_mov_b32 s7, 0
	s_load_b32 s2, s[2:3], 0x740
	s_mov_b32 s9, s7
	s_mov_b32 s11, s7
	s_waitcnt vmcnt(0)
	v_readfirstlane_b32 s3, v1
	s_delay_alu instid0(VALU_DEP_1)
	s_lshl_b32 s3, s3, 3
	s_clause 0x3
	s_load_b64 s[18:19], s[0:1], s3 offset:0x0
	s_load_b64 s[20:21], s[0:1], s3 offset:0x200
	;; [unrolled: 1-line block ×3, first 2 shown]
	s_load_b64 s[12:13], s[0:1], 0xc50
	s_waitcnt lgkmcnt(0)
	s_ashr_i32 s3, s2, 31
	s_delay_alu instid0(SALU_CYCLE_1) | instskip(NEXT) | instid1(SALU_CYCLE_1)
	s_lshl_b64 s[14:15], s[2:3], 19
	s_add_u32 s22, s18, s14
	s_addc_u32 s23, s19, s15
	s_and_b32 s6, s22, 31
	s_add_u32 s24, s20, s14
	s_addc_u32 s25, s21, s15
	s_and_b32 s8, s4, 3
	s_and_b32 s10, s24, 31
	s_or_b64 s[6:7], s[6:7], s[8:9]
	s_lshl_b64 s[2:3], s[2:3], 16
	s_or_b64 s[6:7], s[10:11], s[6:7]
	s_sub_u32 s16, s4, s2
	s_subb_u32 s17, s5, s3
	s_cmp_eq_u64 s[6:7], 0
	s_mov_b32 s2, -1
	s_cbranch_scc0 .LBB119_5
; %bb.1:
	v_dual_mov_b32 v2, 0 :: v_dual_lshlrev_b32 v1, 2, v0
	s_mov_b32 s26, exec_lo
	s_delay_alu instid0(VALU_DEP_1)
	v_cmpx_gt_i64_e64 s[16:17], v[1:2]
	s_cbranch_execz .LBB119_4
; %bb.2:
	s_load_b32 s2, s[0:1], 0xc64
	v_lshlrev_b32_e32 v3, 5, v0
	s_mov_b32 s27, 0
	s_waitcnt lgkmcnt(0)
	s_and_b32 s2, s2, 0xffff
	s_delay_alu instid0(SALU_CYCLE_1)
	v_add_lshl_u32 v1, v0, s2, 2
	s_lshl_b32 s28, s2, 2
	s_lshl_b32 s29, s2, 5
.LBB119_3:                              ; =>This Inner Loop Header: Depth=1
	v_add_co_u32 v8, s2, s24, v3
	s_delay_alu instid0(VALU_DEP_1) | instskip(SKIP_1) | instid1(VALU_DEP_1)
	v_add_co_ci_u32_e64 v9, null, s25, 0, s2
	v_add_co_u32 v20, s2, s22, v3
	v_add_co_ci_u32_e64 v21, null, s23, 0, s2
	s_clause 0x1
	global_load_b128 v[4:7], v[8:9], off
	global_load_b128 v[8:11], v[8:9], off offset:16
	s_clause 0x1
	global_load_b128 v[12:15], v[20:21], off
	global_load_b128 v[16:19], v[20:21], off offset:16
	v_cmp_le_i64_e64 s9, s[16:17], v[1:2]
	v_cmp_lt_u64_e64 s10, 0xffff, v[1:2]
	v_add_co_u32 v1, s11, v1, s28
	s_delay_alu instid0(VALU_DEP_1) | instskip(NEXT) | instid1(VALU_DEP_3)
	v_add_co_ci_u32_e64 v2, s11, 0, v2, s11
	s_or_b32 s9, s9, s10
	s_waitcnt vmcnt(3)
	v_mul_f64 v[4:5], v[4:5], s[12:13]
	v_mul_f64 v[6:7], v[6:7], s[12:13]
	s_waitcnt vmcnt(2)
	v_mul_f64 v[8:9], v[8:9], s[12:13]
	v_mul_f64 v[10:11], v[10:11], s[12:13]
	s_waitcnt vmcnt(1)
	v_cmp_u_f64_e32 vcc_lo, v[12:13], v[12:13]
	v_cmp_u_f64_e64 s2, v[14:15], v[14:15]
	s_waitcnt vmcnt(0)
	v_cmp_u_f64_e64 s3, v[16:17], v[16:17]
	v_cmp_u_f64_e64 s4, v[18:19], v[18:19]
	v_cmp_gt_f64_e64 s5, v[12:13], v[4:5]
	v_cmp_gt_f64_e64 s6, v[14:15], v[6:7]
	;; [unrolled: 1-line block ×4, first 2 shown]
	s_delay_alu instid0(VALU_DEP_4) | instskip(NEXT) | instid1(VALU_DEP_3)
	s_or_b32 vcc_lo, vcc_lo, s5
	s_or_b32 s2, s2, s6
	s_delay_alu instid0(VALU_DEP_2) | instskip(NEXT) | instid1(VALU_DEP_1)
	s_or_b32 s3, s3, s7
	s_or_b32 s4, s4, s8
	s_add_u32 s22, s22, s29
	s_addc_u32 s23, s23, 0
	s_add_u32 s24, s24, s29
	v_dual_cndmask_b32 v5, v5, v13 :: v_dual_cndmask_b32 v4, v4, v12
	v_cndmask_b32_e64 v7, v7, v15, s2
	v_cndmask_b32_e64 v6, v6, v14, s2
	s_addc_u32 s25, s25, 0
	v_cndmask_b32_e64 v9, v9, v17, s3
	v_cndmask_b32_e64 v11, v11, v19, s4
	;; [unrolled: 1-line block ×4, first 2 shown]
	s_and_b32 s2, exec_lo, s9
	s_clause 0x1
	global_store_b128 v[20:21], v[4:7], off
	global_store_b128 v[20:21], v[8:11], off offset:16
	s_or_b32 s27, s2, s27
	s_delay_alu instid0(SALU_CYCLE_1)
	s_and_not1_b32 exec_lo, exec_lo, s27
	s_cbranch_execnz .LBB119_3
.LBB119_4:
	s_or_b32 exec_lo, exec_lo, s26
	s_mov_b32 s2, 0
.LBB119_5:
	s_delay_alu instid0(SALU_CYCLE_1)
	s_and_not1_b32 vcc_lo, exec_lo, s2
	s_cbranch_vccnz .LBB119_25
; %bb.6:
	v_cmp_lt_i64_e64 s2, s[16:17], 1
	s_delay_alu instid0(VALU_DEP_1)
	s_and_b32 vcc_lo, exec_lo, s2
	s_cbranch_vccnz .LBB119_25
; %bb.7:
	s_load_b32 s0, s[0:1], 0xc64
	v_dual_mov_b32 v2, 0 :: v_dual_lshlrev_b32 v1, 3, v0
	v_cmp_gt_u64_e64 s1, 0x10000, s[16:17]
	s_mov_b64 s[6:7], 0
	s_delay_alu instid0(VALU_DEP_2) | instskip(NEXT) | instid1(VALU_DEP_1)
	v_add_co_u32 v17, s2, s18, v1
	v_add_co_ci_u32_e64 v18, null, s19, 0, s2
	v_add_co_u32 v19, s2, s20, v1
	s_delay_alu instid0(VALU_DEP_1)
	v_add_co_ci_u32_e64 v20, null, s21, 0, s2
	s_waitcnt lgkmcnt(0)
	s_and_b32 s0, s0, 0xffff
	s_and_b32 s1, s1, exec_lo
	v_mad_u64_u32 v[3:4], null, s0, 24, v[1:2]
	s_cselect_b32 s5, s17, 0
	s_cselect_b32 s4, s16, 0x10000
	s_lshl_b32 s3, s0, 4
	s_mul_i32 s2, s0, 3
	v_add_co_u32 v1, s3, s3, v1
	s_delay_alu instid0(VALU_DEP_2) | instskip(NEXT) | instid1(VALU_DEP_3)
	v_add_co_u32 v21, vcc_lo, s18, v3
	v_add_co_ci_u32_e32 v22, vcc_lo, s19, v4, vcc_lo
	v_add_co_u32 v25, s2, s2, v0
	v_add_co_u32 v23, vcc_lo, s20, v3
	v_add_co_ci_u32_e64 v2, null, 0, 0, s3
	v_add_co_ci_u32_e64 v26, null, 0, 0, s2
	v_add_co_u32 v29, s2, v0, s0
	v_add_co_ci_u32_e32 v24, vcc_lo, s21, v4, vcc_lo
	v_add_co_u32 v27, vcc_lo, s18, v1
	v_add_co_ci_u32_e32 v28, vcc_lo, s19, v2, vcc_lo
	v_add_co_u32 v30, vcc_lo, s20, v1
	v_lshlrev_b32_e32 v1, 3, v29
	s_lshl_b32 s1, s0, 1
	v_add_co_ci_u32_e32 v31, vcc_lo, s21, v2, vcc_lo
	v_add_co_u32 v33, s1, s1, v0
	s_delay_alu instid0(VALU_DEP_1) | instskip(SKIP_1) | instid1(VALU_DEP_1)
	v_add_co_ci_u32_e64 v34, null, 0, 0, s1
	v_add_co_u32 v35, s1, s18, v1
	v_add_co_ci_u32_e64 v36, null, s19, 0, s1
	v_add_co_u32 v37, s1, s20, v1
	v_add_co_ci_u32_e64 v32, null, 0, 0, s2
	v_add_co_ci_u32_e64 v38, null, s21, 0, s1
	s_lshl_b32 s8, s0, 2
	s_lshl_b32 s9, s0, 5
	s_branch .LBB119_9
.LBB119_8:                              ;   in Loop: Header=BB119_9 Depth=1
	s_or_b32 exec_lo, exec_lo, s1
	v_add_co_u32 v17, vcc_lo, v17, s9
	v_add_co_ci_u32_e32 v18, vcc_lo, 0, v18, vcc_lo
	v_add_co_u32 v19, vcc_lo, v19, s9
	v_add_co_ci_u32_e32 v20, vcc_lo, 0, v20, vcc_lo
	;; [unrolled: 2-line block ×5, first 2 shown]
	s_add_u32 s6, s6, s8
	v_add_co_u32 v30, vcc_lo, v30, s9
	s_addc_u32 s7, s7, 0
	v_add_co_ci_u32_e32 v31, vcc_lo, 0, v31, vcc_lo
	v_cmp_ge_i64_e64 s0, s[6:7], s[16:17]
	v_cmp_lt_u64_e64 s1, 0xffff, s[6:7]
	v_add_co_u32 v35, vcc_lo, v35, s9
	v_add_co_ci_u32_e32 v36, vcc_lo, 0, v36, vcc_lo
	v_add_co_u32 v37, vcc_lo, v37, s9
	v_add_co_ci_u32_e32 v38, vcc_lo, 0, v38, vcc_lo
	s_or_b32 s0, s0, s1
	s_delay_alu instid0(SALU_CYCLE_1)
	s_and_b32 vcc_lo, exec_lo, s0
	s_cbranch_vccnz .LBB119_25
.LBB119_9:                              ; =>This Inner Loop Header: Depth=1
	s_waitcnt vmcnt(1)
	v_add_co_u32 v3, s0, v0, s6
	s_delay_alu instid0(VALU_DEP_1) | instskip(SKIP_2) | instid1(VALU_DEP_3)
	v_add_co_ci_u32_e64 v4, null, 0, s7, s0
	v_mov_b32_e32 v1, 0
	v_mov_b32_e32 v2, 0
	v_cmp_gt_u64_e32 vcc_lo, s[4:5], v[3:4]
	s_delay_alu instid0(VALU_DEP_2)
	v_dual_mov_b32 v6, v2 :: v_dual_mov_b32 v5, v1
	s_waitcnt vmcnt(0)
	v_dual_mov_b32 v8, v2 :: v_dual_mov_b32 v7, v1
	s_and_saveexec_b32 s1, vcc_lo
	s_cbranch_execz .LBB119_11
; %bb.10:                               ;   in Loop: Header=BB119_9 Depth=1
	v_add_co_u32 v3, s0, v17, s14
	s_delay_alu instid0(VALU_DEP_1) | instskip(SKIP_1) | instid1(VALU_DEP_1)
	v_add_co_ci_u32_e64 v4, s0, s15, v18, s0
	v_add_co_u32 v7, s0, v19, s14
	v_add_co_ci_u32_e64 v8, s0, s15, v20, s0
	global_load_b64 v[5:6], v[3:4], off
	global_load_b64 v[7:8], v[7:8], off
.LBB119_11:                             ;   in Loop: Header=BB119_9 Depth=1
	s_or_b32 exec_lo, exec_lo, s1
	v_add_co_u32 v3, s0, v29, s6
	s_delay_alu instid0(VALU_DEP_1) | instskip(SKIP_1) | instid1(VALU_DEP_2)
	v_add_co_ci_u32_e64 v4, s0, s7, v32, s0
	v_dual_mov_b32 v10, v2 :: v_dual_mov_b32 v9, v1
	v_cmp_gt_u64_e64 s0, s[4:5], v[3:4]
	s_delay_alu instid0(VALU_DEP_1)
	s_and_saveexec_b32 s2, s0
	s_cbranch_execz .LBB119_13
; %bb.12:                               ;   in Loop: Header=BB119_9 Depth=1
	v_add_co_u32 v1, s1, v35, s14
	s_delay_alu instid0(VALU_DEP_1) | instskip(SKIP_1) | instid1(VALU_DEP_1)
	v_add_co_ci_u32_e64 v2, s1, s15, v36, s1
	v_add_co_u32 v3, s1, v37, s14
	v_add_co_ci_u32_e64 v4, s1, s15, v38, s1
	global_load_b64 v[1:2], v[1:2], off
	global_load_b64 v[9:10], v[3:4], off
.LBB119_13:                             ;   in Loop: Header=BB119_9 Depth=1
	s_or_b32 exec_lo, exec_lo, s2
	v_add_co_u32 v11, s1, v33, s6
	s_delay_alu instid0(VALU_DEP_1) | instskip(SKIP_2) | instid1(VALU_DEP_3)
	v_add_co_ci_u32_e64 v12, s1, s7, v34, s1
	v_mov_b32_e32 v3, 0
	v_mov_b32_e32 v4, 0
	v_cmp_gt_u64_e64 s1, s[4:5], v[11:12]
	s_delay_alu instid0(VALU_DEP_2) | instskip(SKIP_1) | instid1(VALU_DEP_3)
	v_dual_mov_b32 v12, v4 :: v_dual_mov_b32 v11, v3
	v_dual_mov_b32 v14, v4 :: v_dual_mov_b32 v13, v3
	s_and_saveexec_b32 s3, s1
	s_cbranch_execz .LBB119_15
; %bb.14:                               ;   in Loop: Header=BB119_9 Depth=1
	v_add_co_u32 v11, s2, v27, s14
	s_delay_alu instid0(VALU_DEP_1) | instskip(SKIP_1) | instid1(VALU_DEP_1)
	v_add_co_ci_u32_e64 v12, s2, s15, v28, s2
	v_add_co_u32 v13, s2, v30, s14
	v_add_co_ci_u32_e64 v14, s2, s15, v31, s2
	global_load_b64 v[11:12], v[11:12], off
	global_load_b64 v[13:14], v[13:14], off
.LBB119_15:                             ;   in Loop: Header=BB119_9 Depth=1
	s_or_b32 exec_lo, exec_lo, s3
	v_add_co_u32 v15, s2, v25, s6
	s_delay_alu instid0(VALU_DEP_1) | instskip(NEXT) | instid1(VALU_DEP_1)
	v_add_co_ci_u32_e64 v16, s2, s7, v26, s2
	v_cmp_gt_u64_e64 s2, s[4:5], v[15:16]
	v_dual_mov_b32 v16, v4 :: v_dual_mov_b32 v15, v3
	s_delay_alu instid0(VALU_DEP_2)
	s_and_saveexec_b32 s10, s2
	s_cbranch_execnz .LBB119_20
; %bb.16:                               ;   in Loop: Header=BB119_9 Depth=1
	s_or_b32 exec_lo, exec_lo, s10
	s_and_saveexec_b32 s10, vcc_lo
	s_cbranch_execnz .LBB119_21
.LBB119_17:                             ;   in Loop: Header=BB119_9 Depth=1
	s_or_b32 exec_lo, exec_lo, s10
	s_and_saveexec_b32 s3, s0
	s_cbranch_execnz .LBB119_22
.LBB119_18:                             ;   in Loop: Header=BB119_9 Depth=1
	s_or_b32 exec_lo, exec_lo, s3
	s_and_saveexec_b32 s3, s1
	s_cbranch_execnz .LBB119_23
.LBB119_19:                             ;   in Loop: Header=BB119_9 Depth=1
	s_or_b32 exec_lo, exec_lo, s3
	s_and_saveexec_b32 s1, s2
	s_cbranch_execz .LBB119_8
	s_branch .LBB119_24
.LBB119_20:                             ;   in Loop: Header=BB119_9 Depth=1
	v_add_co_u32 v3, s3, v21, s14
	s_delay_alu instid0(VALU_DEP_1) | instskip(SKIP_1) | instid1(VALU_DEP_1)
	v_add_co_ci_u32_e64 v4, s3, s15, v22, s3
	v_add_co_u32 v15, s3, v23, s14
	v_add_co_ci_u32_e64 v16, s3, s15, v24, s3
	global_load_b64 v[3:4], v[3:4], off
	global_load_b64 v[15:16], v[15:16], off
	s_or_b32 exec_lo, exec_lo, s10
	s_and_saveexec_b32 s10, vcc_lo
	s_cbranch_execz .LBB119_17
.LBB119_21:                             ;   in Loop: Header=BB119_9 Depth=1
	s_waitcnt vmcnt(0)
	v_mul_f64 v[7:8], v[7:8], s[12:13]
	v_cmp_u_f64_e32 vcc_lo, v[5:6], v[5:6]
	s_delay_alu instid0(VALU_DEP_2) | instskip(NEXT) | instid1(VALU_DEP_1)
	v_cmp_gt_f64_e64 s3, v[5:6], v[7:8]
	s_or_b32 vcc_lo, vcc_lo, s3
	v_dual_cndmask_b32 v6, v8, v6 :: v_dual_cndmask_b32 v5, v7, v5
	v_add_co_u32 v7, vcc_lo, v17, s14
	v_add_co_ci_u32_e32 v8, vcc_lo, s15, v18, vcc_lo
	global_store_b64 v[7:8], v[5:6], off
	s_or_b32 exec_lo, exec_lo, s10
	s_and_saveexec_b32 s3, s0
	s_cbranch_execz .LBB119_18
.LBB119_22:                             ;   in Loop: Header=BB119_9 Depth=1
	s_waitcnt vmcnt(0)
	v_mul_f64 v[5:6], v[9:10], s[12:13]
	v_cmp_u_f64_e32 vcc_lo, v[1:2], v[1:2]
	s_delay_alu instid0(VALU_DEP_2) | instskip(NEXT) | instid1(VALU_DEP_1)
	v_cmp_gt_f64_e64 s0, v[1:2], v[5:6]
	s_or_b32 vcc_lo, vcc_lo, s0
	v_dual_cndmask_b32 v2, v6, v2 :: v_dual_cndmask_b32 v1, v5, v1
	v_add_co_u32 v5, vcc_lo, v35, s14
	v_add_co_ci_u32_e32 v6, vcc_lo, s15, v36, vcc_lo
	global_store_b64 v[5:6], v[1:2], off
	s_or_b32 exec_lo, exec_lo, s3
	s_and_saveexec_b32 s3, s1
	s_cbranch_execz .LBB119_19
.LBB119_23:                             ;   in Loop: Header=BB119_9 Depth=1
	s_waitcnt vmcnt(0)
	v_mul_f64 v[1:2], v[13:14], s[12:13]
	v_cmp_u_f64_e32 vcc_lo, v[11:12], v[11:12]
	s_delay_alu instid0(VALU_DEP_2) | instskip(NEXT) | instid1(VALU_DEP_1)
	v_cmp_gt_f64_e64 s0, v[11:12], v[1:2]
	s_or_b32 vcc_lo, vcc_lo, s0
	v_dual_cndmask_b32 v2, v2, v12 :: v_dual_cndmask_b32 v1, v1, v11
	v_add_co_u32 v5, vcc_lo, v27, s14
	v_add_co_ci_u32_e32 v6, vcc_lo, s15, v28, vcc_lo
	global_store_b64 v[5:6], v[1:2], off
	s_or_b32 exec_lo, exec_lo, s3
	s_and_saveexec_b32 s1, s2
	s_cbranch_execz .LBB119_8
.LBB119_24:                             ;   in Loop: Header=BB119_9 Depth=1
	s_waitcnt vmcnt(0)
	v_mul_f64 v[1:2], v[15:16], s[12:13]
	v_cmp_u_f64_e32 vcc_lo, v[3:4], v[3:4]
	s_delay_alu instid0(VALU_DEP_2) | instskip(NEXT) | instid1(VALU_DEP_1)
	v_cmp_gt_f64_e64 s0, v[3:4], v[1:2]
	s_or_b32 vcc_lo, vcc_lo, s0
	v_dual_cndmask_b32 v2, v2, v4 :: v_dual_cndmask_b32 v1, v1, v3
	v_add_co_u32 v3, vcc_lo, v21, s14
	v_add_co_ci_u32_e32 v4, vcc_lo, s15, v22, vcc_lo
	global_store_b64 v[3:4], v[1:2], off
	s_branch .LBB119_8
.LBB119_25:
	s_nop 0
	s_sendmsg sendmsg(MSG_DEALLOC_VGPRS)
	s_endpgm
	.section	.rodata,"a",@progbits
	.p2align	6, 0x0
	.amdhsa_kernel _ZN2at6native12_GLOBAL__N_125multi_tensor_apply_kernelINS1_18TensorListMetadataILi2EEENS1_24BinaryOpListAlphaFunctorIdLi2ELi2ELi0EEEJNS0_7maximumIdEEdEEEvT_T0_DpT1_
		.amdhsa_group_segment_fixed_size 0
		.amdhsa_private_segment_fixed_size 0
		.amdhsa_kernarg_size 3416
		.amdhsa_user_sgpr_count 15
		.amdhsa_user_sgpr_dispatch_ptr 0
		.amdhsa_user_sgpr_queue_ptr 0
		.amdhsa_user_sgpr_kernarg_segment_ptr 1
		.amdhsa_user_sgpr_dispatch_id 0
		.amdhsa_user_sgpr_private_segment_size 0
		.amdhsa_wavefront_size32 1
		.amdhsa_uses_dynamic_stack 0
		.amdhsa_enable_private_segment 0
		.amdhsa_system_sgpr_workgroup_id_x 1
		.amdhsa_system_sgpr_workgroup_id_y 0
		.amdhsa_system_sgpr_workgroup_id_z 0
		.amdhsa_system_sgpr_workgroup_info 0
		.amdhsa_system_vgpr_workitem_id 0
		.amdhsa_next_free_vgpr 39
		.amdhsa_next_free_sgpr 30
		.amdhsa_reserve_vcc 1
		.amdhsa_float_round_mode_32 0
		.amdhsa_float_round_mode_16_64 0
		.amdhsa_float_denorm_mode_32 3
		.amdhsa_float_denorm_mode_16_64 3
		.amdhsa_dx10_clamp 1
		.amdhsa_ieee_mode 1
		.amdhsa_fp16_overflow 0
		.amdhsa_workgroup_processor_mode 1
		.amdhsa_memory_ordered 1
		.amdhsa_forward_progress 0
		.amdhsa_shared_vgpr_count 0
		.amdhsa_exception_fp_ieee_invalid_op 0
		.amdhsa_exception_fp_denorm_src 0
		.amdhsa_exception_fp_ieee_div_zero 0
		.amdhsa_exception_fp_ieee_overflow 0
		.amdhsa_exception_fp_ieee_underflow 0
		.amdhsa_exception_fp_ieee_inexact 0
		.amdhsa_exception_int_div_zero 0
	.end_amdhsa_kernel
	.section	.text._ZN2at6native12_GLOBAL__N_125multi_tensor_apply_kernelINS1_18TensorListMetadataILi2EEENS1_24BinaryOpListAlphaFunctorIdLi2ELi2ELi0EEEJNS0_7maximumIdEEdEEEvT_T0_DpT1_,"axG",@progbits,_ZN2at6native12_GLOBAL__N_125multi_tensor_apply_kernelINS1_18TensorListMetadataILi2EEENS1_24BinaryOpListAlphaFunctorIdLi2ELi2ELi0EEEJNS0_7maximumIdEEdEEEvT_T0_DpT1_,comdat
.Lfunc_end119:
	.size	_ZN2at6native12_GLOBAL__N_125multi_tensor_apply_kernelINS1_18TensorListMetadataILi2EEENS1_24BinaryOpListAlphaFunctorIdLi2ELi2ELi0EEEJNS0_7maximumIdEEdEEEvT_T0_DpT1_, .Lfunc_end119-_ZN2at6native12_GLOBAL__N_125multi_tensor_apply_kernelINS1_18TensorListMetadataILi2EEENS1_24BinaryOpListAlphaFunctorIdLi2ELi2ELi0EEEJNS0_7maximumIdEEdEEEvT_T0_DpT1_
                                        ; -- End function
	.section	.AMDGPU.csdata,"",@progbits
; Kernel info:
; codeLenInByte = 1900
; NumSgprs: 32
; NumVgprs: 39
; ScratchSize: 0
; MemoryBound: 0
; FloatMode: 240
; IeeeMode: 1
; LDSByteSize: 0 bytes/workgroup (compile time only)
; SGPRBlocks: 3
; VGPRBlocks: 4
; NumSGPRsForWavesPerEU: 32
; NumVGPRsForWavesPerEU: 39
; Occupancy: 16
; WaveLimiterHint : 0
; COMPUTE_PGM_RSRC2:SCRATCH_EN: 0
; COMPUTE_PGM_RSRC2:USER_SGPR: 15
; COMPUTE_PGM_RSRC2:TRAP_HANDLER: 0
; COMPUTE_PGM_RSRC2:TGID_X_EN: 1
; COMPUTE_PGM_RSRC2:TGID_Y_EN: 0
; COMPUTE_PGM_RSRC2:TGID_Z_EN: 0
; COMPUTE_PGM_RSRC2:TIDIG_COMP_CNT: 0
	.section	.text._ZN2at6native12_GLOBAL__N_125multi_tensor_apply_kernelINS1_18TensorListMetadataILi2EEENS1_24BinaryOpListAlphaFunctorIfLi2ELi2ELi0EEEJNS0_7maximumIfEEfEEEvT_T0_DpT1_,"axG",@progbits,_ZN2at6native12_GLOBAL__N_125multi_tensor_apply_kernelINS1_18TensorListMetadataILi2EEENS1_24BinaryOpListAlphaFunctorIfLi2ELi2ELi0EEEJNS0_7maximumIfEEfEEEvT_T0_DpT1_,comdat
	.globl	_ZN2at6native12_GLOBAL__N_125multi_tensor_apply_kernelINS1_18TensorListMetadataILi2EEENS1_24BinaryOpListAlphaFunctorIfLi2ELi2ELi0EEEJNS0_7maximumIfEEfEEEvT_T0_DpT1_ ; -- Begin function _ZN2at6native12_GLOBAL__N_125multi_tensor_apply_kernelINS1_18TensorListMetadataILi2EEENS1_24BinaryOpListAlphaFunctorIfLi2ELi2ELi0EEEJNS0_7maximumIfEEfEEEvT_T0_DpT1_
	.p2align	8
	.type	_ZN2at6native12_GLOBAL__N_125multi_tensor_apply_kernelINS1_18TensorListMetadataILi2EEENS1_24BinaryOpListAlphaFunctorIfLi2ELi2ELi0EEEJNS0_7maximumIfEEfEEEvT_T0_DpT1_,@function
_ZN2at6native12_GLOBAL__N_125multi_tensor_apply_kernelINS1_18TensorListMetadataILi2EEENS1_24BinaryOpListAlphaFunctorIfLi2ELi2ELi0EEEJNS0_7maximumIfEEfEEEvT_T0_DpT1_: ; @_ZN2at6native12_GLOBAL__N_125multi_tensor_apply_kernelINS1_18TensorListMetadataILi2EEENS1_24BinaryOpListAlphaFunctorIfLi2ELi2ELi0EEEJNS0_7maximumIfEEfEEEvT_T0_DpT1_
; %bb.0:
	v_mov_b32_e32 v1, s15
	s_add_u32 s2, s0, s15
	s_mul_hi_u32 s3, s15, 3
	s_mul_i32 s15, s15, 3
	s_addc_u32 s4, s1, 0
	global_load_u8 v1, v1, s[0:1] offset:1536
	s_add_u32 s2, s2, s15
	s_addc_u32 s3, s4, s3
	s_mov_b32 s7, 0
	s_load_b32 s2, s[2:3], 0x740
	s_mov_b32 s13, s7
	s_mov_b32 s23, s7
	s_waitcnt vmcnt(0)
	v_readfirstlane_b32 s3, v1
	s_delay_alu instid0(VALU_DEP_1)
	s_lshl_b32 s3, s3, 3
	s_clause 0x3
	s_load_b64 s[14:15], s[0:1], s3 offset:0x0
	s_load_b64 s[16:17], s[0:1], s3 offset:0x200
	;; [unrolled: 1-line block ×3, first 2 shown]
	s_load_b32 s18, s[0:1], 0xc4c
	s_waitcnt lgkmcnt(0)
	s_ashr_i32 s3, s2, 31
	s_delay_alu instid0(SALU_CYCLE_1) | instskip(NEXT) | instid1(SALU_CYCLE_1)
	s_lshl_b64 s[10:11], s[2:3], 18
	s_add_u32 s9, s14, s10
	s_addc_u32 s19, s15, s11
	s_and_b32 s6, s9, 15
	s_add_u32 s20, s16, s10
	s_addc_u32 s21, s17, s11
	s_and_b32 s12, s4, 3
	s_and_b32 s22, s20, 15
	s_or_b64 s[6:7], s[6:7], s[12:13]
	s_lshl_b64 s[2:3], s[2:3], 16
	s_or_b64 s[6:7], s[22:23], s[6:7]
	s_sub_u32 s12, s4, s2
	s_subb_u32 s13, s5, s3
	s_cmp_eq_u64 s[6:7], 0
	s_mov_b32 s2, -1
	s_cbranch_scc0 .LBB120_5
; %bb.1:
	v_dual_mov_b32 v2, 0 :: v_dual_lshlrev_b32 v1, 2, v0
	s_mov_b32 s22, exec_lo
	s_delay_alu instid0(VALU_DEP_1)
	v_cmpx_gt_i64_e64 s[12:13], v[1:2]
	s_cbranch_execz .LBB120_4
; %bb.2:
	s_load_b32 s2, s[0:1], 0xc5c
	v_lshlrev_b32_e32 v3, 4, v0
	s_mov_b32 s23, 0
	s_waitcnt lgkmcnt(0)
	s_and_b32 s2, s2, 0xffff
	s_delay_alu instid0(SALU_CYCLE_1)
	v_add_lshl_u32 v1, v0, s2, 2
	s_lshl_b32 s24, s2, 2
	s_lshl_b32 s25, s2, 4
.LBB120_3:                              ; =>This Inner Loop Header: Depth=1
	v_add_co_u32 v4, s2, s20, v3
	s_delay_alu instid0(VALU_DEP_1) | instskip(SKIP_1) | instid1(VALU_DEP_1)
	v_add_co_ci_u32_e64 v5, null, s21, 0, s2
	v_add_co_u32 v12, s2, s9, v3
	v_add_co_ci_u32_e64 v13, null, s19, 0, s2
	global_load_b128 v[4:7], v[4:5], off
	global_load_b128 v[8:11], v[12:13], off
	v_cmp_le_i64_e32 vcc_lo, s[12:13], v[1:2]
	v_cmp_lt_u64_e64 s2, 0xffff, v[1:2]
	v_add_co_u32 v1, s3, v1, s24
	s_delay_alu instid0(VALU_DEP_1) | instskip(NEXT) | instid1(VALU_DEP_3)
	v_add_co_ci_u32_e64 v2, s3, 0, v2, s3
	s_or_b32 s26, vcc_lo, s2
	s_waitcnt vmcnt(1)
	v_dual_mul_f32 v4, s18, v4 :: v_dual_mul_f32 v5, s18, v5
	v_dual_mul_f32 v6, s18, v6 :: v_dual_mul_f32 v7, s18, v7
	s_waitcnt vmcnt(0)
	v_cmp_u_f32_e32 vcc_lo, v8, v8
	s_delay_alu instid0(VALU_DEP_3)
	v_cmp_gt_f32_e64 s5, v8, v4
	v_cmp_u_f32_e64 s2, v9, v9
	v_cmp_gt_f32_e64 s6, v9, v5
	v_cmp_u_f32_e64 s3, v10, v10
	v_cmp_gt_f32_e64 s7, v10, v6
	s_or_b32 vcc_lo, vcc_lo, s5
	v_cmp_u_f32_e64 s4, v11, v11
	v_cmp_gt_f32_e64 s8, v11, v7
	v_cndmask_b32_e32 v4, v4, v8, vcc_lo
	s_or_b32 vcc_lo, s2, s6
	v_cndmask_b32_e32 v5, v5, v9, vcc_lo
	s_or_b32 vcc_lo, s3, s7
	;; [unrolled: 2-line block ×3, first 2 shown]
	s_add_u32 s9, s9, s25
	v_cndmask_b32_e32 v7, v7, v11, vcc_lo
	s_addc_u32 s19, s19, 0
	s_add_u32 s20, s20, s25
	s_addc_u32 s21, s21, 0
	s_and_b32 s2, exec_lo, s26
	global_store_b128 v[12:13], v[4:7], off
	s_or_b32 s23, s2, s23
	s_delay_alu instid0(SALU_CYCLE_1)
	s_and_not1_b32 exec_lo, exec_lo, s23
	s_cbranch_execnz .LBB120_3
.LBB120_4:
	s_or_b32 exec_lo, exec_lo, s22
	s_mov_b32 s2, 0
.LBB120_5:
	s_delay_alu instid0(SALU_CYCLE_1)
	s_and_not1_b32 vcc_lo, exec_lo, s2
	s_cbranch_vccnz .LBB120_25
; %bb.6:
	v_cmp_lt_i64_e64 s2, s[12:13], 1
	s_delay_alu instid0(VALU_DEP_1)
	s_and_b32 vcc_lo, exec_lo, s2
	s_cbranch_vccnz .LBB120_25
; %bb.7:
	s_load_b32 s0, s[0:1], 0xc5c
	v_dual_mov_b32 v10, 0 :: v_dual_lshlrev_b32 v9, 2, v0
	v_cmp_gt_u64_e64 s1, 0x10000, s[12:13]
	s_mov_b64 s[8:9], 0
	s_delay_alu instid0(VALU_DEP_2) | instskip(NEXT) | instid1(VALU_DEP_1)
	v_add_co_u32 v1, s2, s14, v9
	v_add_co_ci_u32_e64 v2, null, s15, 0, s2
	v_add_co_u32 v3, s2, s16, v9
	s_delay_alu instid0(VALU_DEP_1)
	v_add_co_ci_u32_e64 v4, null, s17, 0, s2
	s_waitcnt lgkmcnt(0)
	s_and_b32 s0, s0, 0xffff
	s_and_b32 s1, s1, exec_lo
	v_mad_u64_u32 v[7:8], null, s0, 12, v[9:10]
	s_cselect_b32 s7, s13, 0
	s_cselect_b32 s6, s12, 0x10000
	s_mul_i32 s2, s0, 3
	s_lshl_b32 s3, s0, 3
	s_lshl_b32 s1, s0, 1
	v_add_co_u32 v14, s3, s3, v9
	v_add_co_u32 v9, s2, s2, v0
	s_delay_alu instid0(VALU_DEP_1) | instskip(SKIP_3) | instid1(VALU_DEP_3)
	v_add_co_ci_u32_e64 v10, null, 0, 0, s2
	v_add_co_u32 v13, s2, v0, s0
	v_add_co_u32 v5, vcc_lo, s14, v7
	v_add_co_ci_u32_e32 v6, vcc_lo, s15, v8, vcc_lo
	v_lshlrev_b32_e32 v21, 2, v13
	v_add_co_u32 v7, vcc_lo, s16, v7
	v_add_co_ci_u32_e64 v15, null, 0, 0, s3
	v_add_co_ci_u32_e32 v8, vcc_lo, s17, v8, vcc_lo
	v_add_co_u32 v17, s1, s1, v0
	v_add_co_u32 v11, vcc_lo, s14, v14
	v_add_co_ci_u32_e64 v18, null, 0, 0, s1
	v_add_co_u32 v19, s1, s14, v21
	v_add_co_ci_u32_e32 v12, vcc_lo, s15, v15, vcc_lo
	v_add_co_u32 v14, vcc_lo, s16, v14
	v_add_co_ci_u32_e64 v20, null, s15, 0, s1
	v_add_co_u32 v21, s1, s16, v21
	v_add_co_ci_u32_e32 v15, vcc_lo, s17, v15, vcc_lo
	v_add_co_ci_u32_e64 v16, null, 0, 0, s2
	v_add_co_ci_u32_e64 v22, null, s17, 0, s1
	s_lshl_b32 s5, s0, 2
	s_lshl_b32 s14, s0, 4
	s_branch .LBB120_9
.LBB120_8:                              ;   in Loop: Header=BB120_9 Depth=1
	s_or_b32 exec_lo, exec_lo, s1
	v_add_co_u32 v1, vcc_lo, v1, s14
	v_add_co_ci_u32_e32 v2, vcc_lo, 0, v2, vcc_lo
	v_add_co_u32 v3, vcc_lo, v3, s14
	v_add_co_ci_u32_e32 v4, vcc_lo, 0, v4, vcc_lo
	;; [unrolled: 2-line block ×5, first 2 shown]
	s_add_u32 s8, s8, s5
	v_add_co_u32 v14, vcc_lo, v14, s14
	s_addc_u32 s9, s9, 0
	v_add_co_ci_u32_e32 v15, vcc_lo, 0, v15, vcc_lo
	v_cmp_ge_i64_e64 s0, s[8:9], s[12:13]
	v_cmp_lt_u64_e64 s1, 0xffff, s[8:9]
	v_add_co_u32 v19, vcc_lo, v19, s14
	v_add_co_ci_u32_e32 v20, vcc_lo, 0, v20, vcc_lo
	v_add_co_u32 v21, vcc_lo, v21, s14
	v_add_co_ci_u32_e32 v22, vcc_lo, 0, v22, vcc_lo
	s_or_b32 s0, s0, s1
	s_delay_alu instid0(SALU_CYCLE_1)
	s_and_b32 vcc_lo, exec_lo, s0
	s_cbranch_vccnz .LBB120_25
.LBB120_9:                              ; =>This Inner Loop Header: Depth=1
	s_waitcnt vmcnt(1)
	v_add_co_u32 v23, s0, v0, s8
	s_delay_alu instid0(VALU_DEP_1) | instskip(SKIP_2) | instid1(VALU_DEP_2)
	v_add_co_ci_u32_e64 v24, null, 0, s9, s0
	s_waitcnt vmcnt(0)
	v_mov_b32_e32 v25, 0
	v_cmp_gt_u64_e32 vcc_lo, s[6:7], v[23:24]
	v_mov_b32_e32 v24, 0
	s_and_saveexec_b32 s1, vcc_lo
	s_cbranch_execz .LBB120_11
; %bb.10:                               ;   in Loop: Header=BB120_9 Depth=1
	v_add_co_u32 v23, s0, v1, s10
	s_delay_alu instid0(VALU_DEP_1) | instskip(SKIP_1) | instid1(VALU_DEP_1)
	v_add_co_ci_u32_e64 v24, s0, s11, v2, s0
	v_add_co_u32 v25, s0, v3, s10
	v_add_co_ci_u32_e64 v26, s0, s11, v4, s0
	global_load_b32 v24, v[23:24], off
	global_load_b32 v25, v[25:26], off
.LBB120_11:                             ;   in Loop: Header=BB120_9 Depth=1
	s_or_b32 exec_lo, exec_lo, s1
	v_add_co_u32 v26, s0, v13, s8
	s_delay_alu instid0(VALU_DEP_1) | instskip(SKIP_1) | instid1(VALU_DEP_2)
	v_add_co_ci_u32_e64 v27, s0, s9, v16, s0
	v_mov_b32_e32 v23, 0
	v_cmp_gt_u64_e64 s0, s[6:7], v[26:27]
	v_dual_mov_b32 v26, 0 :: v_dual_mov_b32 v27, 0
	s_delay_alu instid0(VALU_DEP_2)
	s_and_saveexec_b32 s2, s0
	s_cbranch_execz .LBB120_13
; %bb.12:                               ;   in Loop: Header=BB120_9 Depth=1
	v_add_co_u32 v26, s1, v19, s10
	s_delay_alu instid0(VALU_DEP_1) | instskip(SKIP_1) | instid1(VALU_DEP_1)
	v_add_co_ci_u32_e64 v27, s1, s11, v20, s1
	v_add_co_u32 v28, s1, v21, s10
	v_add_co_ci_u32_e64 v29, s1, s11, v22, s1
	global_load_b32 v26, v[26:27], off
	global_load_b32 v27, v[28:29], off
.LBB120_13:                             ;   in Loop: Header=BB120_9 Depth=1
	s_or_b32 exec_lo, exec_lo, s2
	v_add_co_u32 v28, s1, v17, s8
	s_delay_alu instid0(VALU_DEP_1) | instskip(NEXT) | instid1(VALU_DEP_1)
	v_add_co_ci_u32_e64 v29, s1, s9, v18, s1
	v_cmp_gt_u64_e64 s1, s[6:7], v[28:29]
	v_mov_b32_e32 v28, 0
	s_delay_alu instid0(VALU_DEP_2)
	s_and_saveexec_b32 s3, s1
	s_cbranch_execz .LBB120_15
; %bb.14:                               ;   in Loop: Header=BB120_9 Depth=1
	v_add_co_u32 v28, s2, v11, s10
	s_delay_alu instid0(VALU_DEP_1) | instskip(SKIP_1) | instid1(VALU_DEP_1)
	v_add_co_ci_u32_e64 v29, s2, s11, v12, s2
	v_add_co_u32 v30, s2, v14, s10
	v_add_co_ci_u32_e64 v31, s2, s11, v15, s2
	global_load_b32 v23, v[28:29], off
	global_load_b32 v28, v[30:31], off
.LBB120_15:                             ;   in Loop: Header=BB120_9 Depth=1
	s_or_b32 exec_lo, exec_lo, s3
	v_add_co_u32 v29, s2, v9, s8
	s_delay_alu instid0(VALU_DEP_1) | instskip(NEXT) | instid1(VALU_DEP_1)
	v_add_co_ci_u32_e64 v30, s2, s9, v10, s2
	v_cmp_gt_u64_e64 s2, s[6:7], v[29:30]
	v_dual_mov_b32 v29, 0 :: v_dual_mov_b32 v30, 0
	s_delay_alu instid0(VALU_DEP_2)
	s_and_saveexec_b32 s4, s2
	s_cbranch_execnz .LBB120_20
; %bb.16:                               ;   in Loop: Header=BB120_9 Depth=1
	s_or_b32 exec_lo, exec_lo, s4
	s_and_saveexec_b32 s15, vcc_lo
	s_cbranch_execnz .LBB120_21
.LBB120_17:                             ;   in Loop: Header=BB120_9 Depth=1
	s_or_b32 exec_lo, exec_lo, s15
	s_and_saveexec_b32 s3, s0
	s_cbranch_execnz .LBB120_22
.LBB120_18:                             ;   in Loop: Header=BB120_9 Depth=1
	s_or_b32 exec_lo, exec_lo, s3
	s_and_saveexec_b32 s3, s1
	s_cbranch_execnz .LBB120_23
.LBB120_19:                             ;   in Loop: Header=BB120_9 Depth=1
	s_or_b32 exec_lo, exec_lo, s3
	s_and_saveexec_b32 s1, s2
	s_cbranch_execz .LBB120_8
	s_branch .LBB120_24
.LBB120_20:                             ;   in Loop: Header=BB120_9 Depth=1
	v_add_co_u32 v29, s3, v5, s10
	s_delay_alu instid0(VALU_DEP_1) | instskip(SKIP_1) | instid1(VALU_DEP_1)
	v_add_co_ci_u32_e64 v30, s3, s11, v6, s3
	v_add_co_u32 v31, s3, v7, s10
	v_add_co_ci_u32_e64 v32, s3, s11, v8, s3
	global_load_b32 v29, v[29:30], off
	global_load_b32 v30, v[31:32], off
	s_or_b32 exec_lo, exec_lo, s4
	s_and_saveexec_b32 s15, vcc_lo
	s_cbranch_execz .LBB120_17
.LBB120_21:                             ;   in Loop: Header=BB120_9 Depth=1
	s_waitcnt vmcnt(0)
	v_mul_f32_e32 v25, s18, v25
	v_cmp_u_f32_e32 vcc_lo, v24, v24
	v_add_co_u32 v31, s4, v1, s10
	s_delay_alu instid0(VALU_DEP_1) | instskip(NEXT) | instid1(VALU_DEP_4)
	v_add_co_ci_u32_e64 v32, s4, s11, v2, s4
	v_cmp_gt_f32_e64 s3, v24, v25
	s_delay_alu instid0(VALU_DEP_1)
	s_or_b32 vcc_lo, vcc_lo, s3
	v_cndmask_b32_e32 v24, v25, v24, vcc_lo
	global_store_b32 v[31:32], v24, off
	s_or_b32 exec_lo, exec_lo, s15
	s_and_saveexec_b32 s3, s0
	s_cbranch_execz .LBB120_18
.LBB120_22:                             ;   in Loop: Header=BB120_9 Depth=1
	s_waitcnt vmcnt(0)
	v_mul_f32_e32 v24, s18, v27
	v_cmp_u_f32_e32 vcc_lo, v26, v26
	s_delay_alu instid0(VALU_DEP_2) | instskip(NEXT) | instid1(VALU_DEP_1)
	v_cmp_gt_f32_e64 s0, v26, v24
	s_or_b32 vcc_lo, vcc_lo, s0
	v_cndmask_b32_e32 v26, v24, v26, vcc_lo
	v_add_co_u32 v24, vcc_lo, v19, s10
	v_add_co_ci_u32_e32 v25, vcc_lo, s11, v20, vcc_lo
	global_store_b32 v[24:25], v26, off
	s_or_b32 exec_lo, exec_lo, s3
	s_and_saveexec_b32 s3, s1
	s_cbranch_execz .LBB120_19
.LBB120_23:                             ;   in Loop: Header=BB120_9 Depth=1
	s_waitcnt vmcnt(0)
	v_mul_f32_e32 v24, s18, v28
	v_cmp_u_f32_e32 vcc_lo, v23, v23
	s_delay_alu instid0(VALU_DEP_2) | instskip(NEXT) | instid1(VALU_DEP_1)
	v_cmp_gt_f32_e64 s0, v23, v24
	s_or_b32 vcc_lo, vcc_lo, s0
	v_cndmask_b32_e32 v25, v24, v23, vcc_lo
	v_add_co_u32 v23, vcc_lo, v11, s10
	v_add_co_ci_u32_e32 v24, vcc_lo, s11, v12, vcc_lo
	global_store_b32 v[23:24], v25, off
	s_or_b32 exec_lo, exec_lo, s3
	s_and_saveexec_b32 s1, s2
	s_cbranch_execz .LBB120_8
.LBB120_24:                             ;   in Loop: Header=BB120_9 Depth=1
	s_waitcnt vmcnt(0)
	v_mul_f32_e32 v23, s18, v30
	v_cmp_u_f32_e32 vcc_lo, v29, v29
	s_delay_alu instid0(VALU_DEP_2) | instskip(NEXT) | instid1(VALU_DEP_1)
	v_cmp_gt_f32_e64 s0, v29, v23
	s_or_b32 vcc_lo, vcc_lo, s0
	v_cndmask_b32_e32 v25, v23, v29, vcc_lo
	v_add_co_u32 v23, vcc_lo, v5, s10
	v_add_co_ci_u32_e32 v24, vcc_lo, s11, v6, vcc_lo
	global_store_b32 v[23:24], v25, off
	s_branch .LBB120_8
.LBB120_25:
	s_nop 0
	s_sendmsg sendmsg(MSG_DEALLOC_VGPRS)
	s_endpgm
	.section	.rodata,"a",@progbits
	.p2align	6, 0x0
	.amdhsa_kernel _ZN2at6native12_GLOBAL__N_125multi_tensor_apply_kernelINS1_18TensorListMetadataILi2EEENS1_24BinaryOpListAlphaFunctorIfLi2ELi2ELi0EEEJNS0_7maximumIfEEfEEEvT_T0_DpT1_
		.amdhsa_group_segment_fixed_size 0
		.amdhsa_private_segment_fixed_size 0
		.amdhsa_kernarg_size 3408
		.amdhsa_user_sgpr_count 15
		.amdhsa_user_sgpr_dispatch_ptr 0
		.amdhsa_user_sgpr_queue_ptr 0
		.amdhsa_user_sgpr_kernarg_segment_ptr 1
		.amdhsa_user_sgpr_dispatch_id 0
		.amdhsa_user_sgpr_private_segment_size 0
		.amdhsa_wavefront_size32 1
		.amdhsa_uses_dynamic_stack 0
		.amdhsa_enable_private_segment 0
		.amdhsa_system_sgpr_workgroup_id_x 1
		.amdhsa_system_sgpr_workgroup_id_y 0
		.amdhsa_system_sgpr_workgroup_id_z 0
		.amdhsa_system_sgpr_workgroup_info 0
		.amdhsa_system_vgpr_workitem_id 0
		.amdhsa_next_free_vgpr 33
		.amdhsa_next_free_sgpr 27
		.amdhsa_reserve_vcc 1
		.amdhsa_float_round_mode_32 0
		.amdhsa_float_round_mode_16_64 0
		.amdhsa_float_denorm_mode_32 3
		.amdhsa_float_denorm_mode_16_64 3
		.amdhsa_dx10_clamp 1
		.amdhsa_ieee_mode 1
		.amdhsa_fp16_overflow 0
		.amdhsa_workgroup_processor_mode 1
		.amdhsa_memory_ordered 1
		.amdhsa_forward_progress 0
		.amdhsa_shared_vgpr_count 0
		.amdhsa_exception_fp_ieee_invalid_op 0
		.amdhsa_exception_fp_denorm_src 0
		.amdhsa_exception_fp_ieee_div_zero 0
		.amdhsa_exception_fp_ieee_overflow 0
		.amdhsa_exception_fp_ieee_underflow 0
		.amdhsa_exception_fp_ieee_inexact 0
		.amdhsa_exception_int_div_zero 0
	.end_amdhsa_kernel
	.section	.text._ZN2at6native12_GLOBAL__N_125multi_tensor_apply_kernelINS1_18TensorListMetadataILi2EEENS1_24BinaryOpListAlphaFunctorIfLi2ELi2ELi0EEEJNS0_7maximumIfEEfEEEvT_T0_DpT1_,"axG",@progbits,_ZN2at6native12_GLOBAL__N_125multi_tensor_apply_kernelINS1_18TensorListMetadataILi2EEENS1_24BinaryOpListAlphaFunctorIfLi2ELi2ELi0EEEJNS0_7maximumIfEEfEEEvT_T0_DpT1_,comdat
.Lfunc_end120:
	.size	_ZN2at6native12_GLOBAL__N_125multi_tensor_apply_kernelINS1_18TensorListMetadataILi2EEENS1_24BinaryOpListAlphaFunctorIfLi2ELi2ELi0EEEJNS0_7maximumIfEEfEEEvT_T0_DpT1_, .Lfunc_end120-_ZN2at6native12_GLOBAL__N_125multi_tensor_apply_kernelINS1_18TensorListMetadataILi2EEENS1_24BinaryOpListAlphaFunctorIfLi2ELi2ELi0EEEJNS0_7maximumIfEEfEEEvT_T0_DpT1_
                                        ; -- End function
	.section	.AMDGPU.csdata,"",@progbits
; Kernel info:
; codeLenInByte = 1728
; NumSgprs: 29
; NumVgprs: 33
; ScratchSize: 0
; MemoryBound: 0
; FloatMode: 240
; IeeeMode: 1
; LDSByteSize: 0 bytes/workgroup (compile time only)
; SGPRBlocks: 3
; VGPRBlocks: 4
; NumSGPRsForWavesPerEU: 29
; NumVGPRsForWavesPerEU: 33
; Occupancy: 16
; WaveLimiterHint : 0
; COMPUTE_PGM_RSRC2:SCRATCH_EN: 0
; COMPUTE_PGM_RSRC2:USER_SGPR: 15
; COMPUTE_PGM_RSRC2:TRAP_HANDLER: 0
; COMPUTE_PGM_RSRC2:TGID_X_EN: 1
; COMPUTE_PGM_RSRC2:TGID_Y_EN: 0
; COMPUTE_PGM_RSRC2:TGID_Z_EN: 0
; COMPUTE_PGM_RSRC2:TIDIG_COMP_CNT: 0
	.section	.text._ZN2at6native12_GLOBAL__N_125multi_tensor_apply_kernelINS1_18TensorListMetadataILi2EEENS1_24BinaryOpListAlphaFunctorIN3c108BFloat16ELi2ELi2ELi0EEEJNS0_7maximumIfEEfEEEvT_T0_DpT1_,"axG",@progbits,_ZN2at6native12_GLOBAL__N_125multi_tensor_apply_kernelINS1_18TensorListMetadataILi2EEENS1_24BinaryOpListAlphaFunctorIN3c108BFloat16ELi2ELi2ELi0EEEJNS0_7maximumIfEEfEEEvT_T0_DpT1_,comdat
	.globl	_ZN2at6native12_GLOBAL__N_125multi_tensor_apply_kernelINS1_18TensorListMetadataILi2EEENS1_24BinaryOpListAlphaFunctorIN3c108BFloat16ELi2ELi2ELi0EEEJNS0_7maximumIfEEfEEEvT_T0_DpT1_ ; -- Begin function _ZN2at6native12_GLOBAL__N_125multi_tensor_apply_kernelINS1_18TensorListMetadataILi2EEENS1_24BinaryOpListAlphaFunctorIN3c108BFloat16ELi2ELi2ELi0EEEJNS0_7maximumIfEEfEEEvT_T0_DpT1_
	.p2align	8
	.type	_ZN2at6native12_GLOBAL__N_125multi_tensor_apply_kernelINS1_18TensorListMetadataILi2EEENS1_24BinaryOpListAlphaFunctorIN3c108BFloat16ELi2ELi2ELi0EEEJNS0_7maximumIfEEfEEEvT_T0_DpT1_,@function
_ZN2at6native12_GLOBAL__N_125multi_tensor_apply_kernelINS1_18TensorListMetadataILi2EEENS1_24BinaryOpListAlphaFunctorIN3c108BFloat16ELi2ELi2ELi0EEEJNS0_7maximumIfEEfEEEvT_T0_DpT1_: ; @_ZN2at6native12_GLOBAL__N_125multi_tensor_apply_kernelINS1_18TensorListMetadataILi2EEENS1_24BinaryOpListAlphaFunctorIN3c108BFloat16ELi2ELi2ELi0EEEJNS0_7maximumIfEEfEEEvT_T0_DpT1_
; %bb.0:
	v_mov_b32_e32 v1, s15
	s_add_u32 s2, s0, s15
	s_mul_hi_u32 s3, s15, 3
	s_mul_i32 s15, s15, 3
	s_addc_u32 s4, s1, 0
	global_load_u8 v1, v1, s[0:1] offset:1536
	s_add_u32 s2, s2, s15
	s_addc_u32 s3, s4, s3
	s_mov_b32 s7, 0
	s_load_b32 s2, s[2:3], 0x740
	s_mov_b32 s15, s7
	s_mov_b32 s9, s7
	s_waitcnt vmcnt(0)
	v_readfirstlane_b32 s3, v1
	s_delay_alu instid0(VALU_DEP_1)
	s_lshl_b32 s3, s3, 3
	s_clause 0x3
	s_load_b64 s[16:17], s[0:1], s3 offset:0x0
	s_load_b64 s[18:19], s[0:1], s3 offset:0x200
	;; [unrolled: 1-line block ×3, first 2 shown]
	s_load_b32 s11, s[0:1], 0xc4c
	s_waitcnt lgkmcnt(0)
	s_ashr_i32 s3, s2, 31
	s_delay_alu instid0(SALU_CYCLE_1) | instskip(SKIP_4) | instid1(SALU_CYCLE_1)
	s_lshl_b64 s[12:13], s[2:3], 17
	s_lshl_b64 s[2:3], s[2:3], 16
	s_and_b32 s6, s16, 7
	s_and_b32 s8, s18, 7
	;; [unrolled: 1-line block ×3, first 2 shown]
	s_or_b64 s[6:7], s[6:7], s[14:15]
	s_delay_alu instid0(SALU_CYCLE_1)
	s_or_b64 s[6:7], s[8:9], s[6:7]
	s_sub_u32 s14, s4, s2
	s_subb_u32 s15, s5, s3
	s_cmp_eq_u64 s[6:7], 0
	s_mov_b32 s2, -1
	s_cbranch_scc0 .LBB121_5
; %bb.1:
	v_dual_mov_b32 v2, 0 :: v_dual_lshlrev_b32 v1, 2, v0
	s_mov_b32 s20, exec_lo
	s_delay_alu instid0(VALU_DEP_1)
	v_cmpx_gt_i64_e64 s[14:15], v[1:2]
	s_cbranch_execz .LBB121_4
; %bb.2:
	s_load_b32 s2, s[0:1], 0xc5c
	v_lshlrev_b32_e32 v1, 3, v0
	s_mov_b32 s21, 0
	s_delay_alu instid0(VALU_DEP_1) | instskip(NEXT) | instid1(VALU_DEP_1)
	v_add_co_u32 v3, s3, s12, v1
	v_add_co_ci_u32_e64 v4, null, s13, 0, s3
	s_waitcnt lgkmcnt(0)
	s_and_b32 s2, s2, 0xffff
	s_delay_alu instid0(SALU_CYCLE_1)
	v_add_lshl_u32 v1, v0, s2, 2
	s_lshl_b32 s22, s2, 3
	s_lshl_b32 s23, s2, 2
.LBB121_3:                              ; =>This Inner Loop Header: Depth=1
	v_add_co_u32 v5, vcc_lo, s18, v3
	v_add_co_ci_u32_e32 v6, vcc_lo, s19, v4, vcc_lo
	v_add_co_u32 v7, vcc_lo, s16, v3
	v_add_co_ci_u32_e32 v8, vcc_lo, s17, v4, vcc_lo
	v_cmp_le_i64_e32 vcc_lo, s[14:15], v[1:2]
	global_load_b64 v[5:6], v[5:6], off
	global_load_b64 v[9:10], v[7:8], off
	v_cmp_lt_u64_e64 s2, 0xffff, v[1:2]
	v_add_co_u32 v3, s3, v3, s22
	s_delay_alu instid0(VALU_DEP_1) | instskip(SKIP_1) | instid1(VALU_DEP_4)
	v_add_co_ci_u32_e64 v4, s3, 0, v4, s3
	v_add_co_u32 v1, s3, v1, s23
	s_or_b32 s2, vcc_lo, s2
	v_add_co_ci_u32_e64 v2, s3, 0, v2, s3
	s_waitcnt vmcnt(1)
	v_lshlrev_b32_e32 v12, 16, v5
	v_and_b32_e32 v14, 0xffff0000, v5
	s_waitcnt vmcnt(0)
	v_lshlrev_b32_e32 v11, 16, v9
	v_and_b32_e32 v13, 0xffff0000, v9
	v_alignbit_b32 v9, v10, v9, 16
	v_mul_f32_e32 v12, s11, v12
	v_mul_f32_e32 v14, s11, v14
	v_alignbit_b32 v5, v6, v5, 16
	v_and_b32_e32 v6, 0xffff0000, v6
	v_cmp_u_f32_e64 s4, v11, v11
	v_cmp_lt_f32_e64 s7, v12, v11
	v_cmp_u_f32_e64 s5, v13, v13
	s_delay_alu instid0(VALU_DEP_4)
	v_dual_mul_f32 v6, s11, v6 :: v_dual_and_b32 v9, 0xffff0000, v9
	v_and_b32_e32 v5, 0xffff0000, v5
	v_and_b32_e32 v10, 0xffff0000, v10
	v_cmp_lt_f32_e64 s8, v14, v13
	s_or_b32 s4, s4, s7
	v_cmp_u_f32_e64 s9, v9, v9
	v_mul_f32_e32 v5, s11, v5
	v_cmp_u_f32_e64 s6, v10, v10
	v_cmp_lt_f32_e64 s10, v6, v10
	v_cndmask_b32_e64 v11, v12, v11, s4
	s_or_b32 s4, s5, s8
	s_delay_alu instid0(SALU_CYCLE_1) | instskip(SKIP_2) | instid1(SALU_CYCLE_1)
	v_cndmask_b32_e64 v12, v14, v13, s4
	v_cmp_lt_f32_e64 s4, v5, v9
	s_or_b32 s5, s6, s10
	v_cndmask_b32_e64 v6, v6, v10, s5
	s_delay_alu instid0(VALU_DEP_3) | instskip(NEXT) | instid1(VALU_DEP_3)
	v_bfe_u32 v13, v12, 16, 1
	s_or_b32 s4, s9, s4
	v_bfe_u32 v10, v11, 16, 1
	v_cndmask_b32_e64 v5, v5, v9, s4
	v_bfe_u32 v9, v6, 16, 1
	v_add3_u32 v13, v12, v13, 0x7fff
	v_cmp_o_f32_e64 s4, v12, v12
	v_add3_u32 v10, v11, v10, 0x7fff
	v_bfe_u32 v14, v5, 16, 1
	v_add3_u32 v9, v6, v9, 0x7fff
	v_and_b32_e32 v13, 0xffff0000, v13
	v_cmp_o_f32_e64 s5, v11, v11
	v_lshrrev_b32_e32 v10, 16, v10
	v_add3_u32 v14, v5, v14, 0x7fff
	v_and_b32_e32 v9, 0xffff0000, v9
	v_cndmask_b32_e64 v12, 0x7fc00000, v13, s4
	v_cmp_o_f32_e64 s4, v6, v6
	v_cndmask_b32_e64 v10, 0x7fc0, v10, s5
	v_lshrrev_b32_e32 v11, 16, v14
	s_and_b32 s2, exec_lo, s2
	s_delay_alu instid0(VALU_DEP_3) | instskip(SKIP_3) | instid1(VALU_DEP_2)
	v_cndmask_b32_e64 v6, 0x7fc00000, v9, s4
	v_cmp_o_f32_e64 s4, v5, v5
	v_or_b32_e32 v9, v10, v12
	s_or_b32 s21, s2, s21
	v_cndmask_b32_e64 v5, 0x7fc0, v11, s4
	s_delay_alu instid0(VALU_DEP_1) | instskip(NEXT) | instid1(VALU_DEP_3)
	v_or3_b32 v6, 0, v5, v6
	v_or3_b32 v5, v9, 0, 0
	global_store_b64 v[7:8], v[5:6], off
	s_and_not1_b32 exec_lo, exec_lo, s21
	s_cbranch_execnz .LBB121_3
.LBB121_4:
	s_or_b32 exec_lo, exec_lo, s20
	s_mov_b32 s2, 0
.LBB121_5:
	s_delay_alu instid0(SALU_CYCLE_1)
	s_and_not1_b32 vcc_lo, exec_lo, s2
	s_cbranch_vccnz .LBB121_25
; %bb.6:
	v_cmp_lt_i64_e64 s2, s[14:15], 1
	s_delay_alu instid0(VALU_DEP_1)
	s_and_b32 vcc_lo, exec_lo, s2
	s_cbranch_vccnz .LBB121_25
; %bb.7:
	s_load_b32 s0, s[0:1], 0xc5c
	v_dual_mov_b32 v2, 0 :: v_dual_lshlrev_b32 v1, 1, v0
	v_cmp_gt_u64_e64 s1, 0x10000, s[14:15]
	s_mov_b32 s9, 0
	s_mov_b64 s[6:7], 0
	s_delay_alu instid0(VALU_DEP_2) | instskip(NEXT) | instid1(VALU_DEP_1)
	v_add_co_u32 v3, s2, s16, v1
	v_add_co_ci_u32_e64 v4, null, s17, 0, s2
	v_add_co_u32 v5, s2, s18, v1
	s_delay_alu instid0(VALU_DEP_1)
	v_add_co_ci_u32_e64 v6, null, s19, 0, s2
	s_waitcnt lgkmcnt(0)
	s_and_b32 s0, s0, 0xffff
	s_and_b32 s1, s1, exec_lo
	v_mad_u64_u32 v[9:10], null, s0, 6, v[1:2]
	s_cselect_b32 s5, s15, 0
	s_cselect_b32 s4, s14, 0x10000
	s_lshl_b32 s8, s0, 2
	s_mul_i32 s2, s0, 3
	v_add_co_u32 v1, s3, s8, v1
	s_delay_alu instid0(VALU_DEP_2) | instskip(NEXT) | instid1(VALU_DEP_3)
	v_add_co_u32 v7, vcc_lo, s16, v9
	v_add_co_ci_u32_e32 v8, vcc_lo, s17, v10, vcc_lo
	v_add_co_u32 v11, s2, s2, v0
	v_add_co_u32 v9, vcc_lo, s18, v9
	v_add_co_ci_u32_e64 v2, null, 0, 0, s3
	v_add_co_ci_u32_e64 v12, null, 0, 0, s2
	v_add_co_u32 v15, s2, v0, s0
	v_add_co_ci_u32_e32 v10, vcc_lo, s19, v10, vcc_lo
	v_add_co_u32 v13, vcc_lo, s16, v1
	v_add_co_ci_u32_e32 v14, vcc_lo, s17, v2, vcc_lo
	v_add_co_u32 v16, vcc_lo, s18, v1
	v_lshlrev_b32_e32 v1, 1, v15
	s_lshl_b32 s1, s0, 1
	v_add_co_ci_u32_e32 v17, vcc_lo, s19, v2, vcc_lo
	v_add_co_u32 v19, s1, s1, v0
	s_delay_alu instid0(VALU_DEP_1) | instskip(SKIP_1) | instid1(VALU_DEP_1)
	v_add_co_ci_u32_e64 v20, null, 0, 0, s1
	v_add_co_u32 v21, s1, s16, v1
	v_add_co_ci_u32_e64 v22, null, s17, 0, s1
	v_add_co_u32 v23, s1, s18, v1
	v_add_co_ci_u32_e64 v18, null, 0, 0, s2
	v_add_co_ci_u32_e64 v24, null, s19, 0, s1
	s_lshl_b32 s10, s0, 3
	s_branch .LBB121_9
.LBB121_8:                              ;   in Loop: Header=BB121_9 Depth=1
	s_or_b32 exec_lo, exec_lo, s1
	v_add_co_u32 v3, vcc_lo, v3, s10
	v_add_co_ci_u32_e32 v4, vcc_lo, 0, v4, vcc_lo
	v_add_co_u32 v5, vcc_lo, v5, s10
	v_add_co_ci_u32_e32 v6, vcc_lo, 0, v6, vcc_lo
	;; [unrolled: 2-line block ×5, first 2 shown]
	s_add_u32 s6, s6, s8
	v_add_co_u32 v16, vcc_lo, v16, s10
	s_addc_u32 s7, s7, 0
	v_add_co_ci_u32_e32 v17, vcc_lo, 0, v17, vcc_lo
	v_cmp_ge_i64_e64 s0, s[6:7], s[14:15]
	v_cmp_lt_u64_e64 s1, 0xffff, s[6:7]
	v_add_co_u32 v21, vcc_lo, v21, s10
	v_add_co_ci_u32_e32 v22, vcc_lo, 0, v22, vcc_lo
	v_add_co_u32 v23, vcc_lo, v23, s10
	v_add_co_ci_u32_e32 v24, vcc_lo, 0, v24, vcc_lo
	s_or_b32 s0, s0, s1
	s_delay_alu instid0(SALU_CYCLE_1)
	s_and_b32 vcc_lo, exec_lo, s0
	s_cbranch_vccnz .LBB121_25
.LBB121_9:                              ; =>This Inner Loop Header: Depth=1
	v_add_co_u32 v1, s0, v0, s6
	s_delay_alu instid0(VALU_DEP_1) | instskip(SKIP_2) | instid1(VALU_DEP_2)
	v_add_co_ci_u32_e64 v2, null, 0, s7, s0
	s_waitcnt vmcnt(0)
	v_mov_b32_e32 v26, 0
	v_cmp_gt_u64_e32 vcc_lo, s[4:5], v[1:2]
	v_mov_b32_e32 v1, 0
	v_mov_b32_e32 v2, 0
	s_and_saveexec_b32 s1, vcc_lo
	s_cbranch_execz .LBB121_11
; %bb.10:                               ;   in Loop: Header=BB121_9 Depth=1
	v_add_co_u32 v1, s0, v3, s12
	s_delay_alu instid0(VALU_DEP_1) | instskip(SKIP_2) | instid1(VALU_DEP_1)
	v_add_co_ci_u32_e64 v2, s0, s13, v4, s0
	global_load_u16 v25, v[1:2], off
	v_add_co_u32 v1, s0, v5, s12
	v_add_co_ci_u32_e64 v2, s0, s13, v6, s0
	global_load_u16 v26, v[1:2], off
	s_waitcnt vmcnt(1)
	v_dual_mov_b32 v2, s9 :: v_dual_and_b32 v1, 0xffff, v25
.LBB121_11:                             ;   in Loop: Header=BB121_9 Depth=1
	s_or_b32 exec_lo, exec_lo, s1
	v_add_co_u32 v27, s0, v15, s6
	s_delay_alu instid0(VALU_DEP_1) | instskip(SKIP_1) | instid1(VALU_DEP_2)
	v_add_co_ci_u32_e64 v28, s0, s7, v18, s0
	v_mov_b32_e32 v25, 0
	v_cmp_gt_u64_e64 s0, s[4:5], v[27:28]
	v_mov_b32_e32 v27, 0
	s_delay_alu instid0(VALU_DEP_2)
	s_and_saveexec_b32 s2, s0
	s_cbranch_execz .LBB121_13
; %bb.12:                               ;   in Loop: Header=BB121_9 Depth=1
	v_add_co_u32 v27, s1, v21, s12
	s_delay_alu instid0(VALU_DEP_1) | instskip(SKIP_2) | instid1(VALU_DEP_1)
	v_add_co_ci_u32_e64 v28, s1, s13, v22, s1
	global_load_u16 v29, v[27:28], off
	v_add_co_u32 v27, s1, v23, s12
	v_add_co_ci_u32_e64 v28, s1, s13, v24, s1
	global_load_u16 v27, v[27:28], off
	s_waitcnt vmcnt(1)
	v_lshl_or_b32 v1, v29, 16, v1
.LBB121_13:                             ;   in Loop: Header=BB121_9 Depth=1
	s_or_b32 exec_lo, exec_lo, s2
	v_add_co_u32 v28, s1, v19, s6
	s_delay_alu instid0(VALU_DEP_1) | instskip(NEXT) | instid1(VALU_DEP_1)
	v_add_co_ci_u32_e64 v29, s1, s7, v20, s1
	v_cmp_gt_u64_e64 s1, s[4:5], v[28:29]
	s_delay_alu instid0(VALU_DEP_1)
	s_and_saveexec_b32 s3, s1
	s_cbranch_execz .LBB121_15
; %bb.14:                               ;   in Loop: Header=BB121_9 Depth=1
	v_add_co_u32 v28, s2, v13, s12
	s_delay_alu instid0(VALU_DEP_1) | instskip(SKIP_2) | instid1(VALU_DEP_1)
	v_add_co_ci_u32_e64 v29, s2, s13, v14, s2
	global_load_u16 v30, v[28:29], off
	v_add_co_u32 v28, s2, v16, s12
	v_add_co_ci_u32_e64 v29, s2, s13, v17, s2
	global_load_u16 v25, v[28:29], off
	s_waitcnt vmcnt(1)
	v_or_b32_e32 v2, v30, v2
.LBB121_15:                             ;   in Loop: Header=BB121_9 Depth=1
	s_or_b32 exec_lo, exec_lo, s3
	v_add_co_u32 v28, s2, v11, s6
	s_delay_alu instid0(VALU_DEP_1) | instskip(NEXT) | instid1(VALU_DEP_1)
	v_add_co_ci_u32_e64 v29, s2, s7, v12, s2
	v_cmp_gt_u64_e64 s2, s[4:5], v[28:29]
	v_mov_b32_e32 v28, 0
	s_delay_alu instid0(VALU_DEP_2)
	s_and_saveexec_b32 s16, s2
	s_cbranch_execnz .LBB121_20
; %bb.16:                               ;   in Loop: Header=BB121_9 Depth=1
	s_or_b32 exec_lo, exec_lo, s16
	s_and_saveexec_b32 s16, vcc_lo
	s_cbranch_execnz .LBB121_21
.LBB121_17:                             ;   in Loop: Header=BB121_9 Depth=1
	s_or_b32 exec_lo, exec_lo, s16
	s_and_saveexec_b32 s3, s0
	s_cbranch_execnz .LBB121_22
.LBB121_18:                             ;   in Loop: Header=BB121_9 Depth=1
	s_or_b32 exec_lo, exec_lo, s3
	s_and_saveexec_b32 s3, s1
	s_cbranch_execnz .LBB121_23
.LBB121_19:                             ;   in Loop: Header=BB121_9 Depth=1
	s_or_b32 exec_lo, exec_lo, s3
	s_and_saveexec_b32 s1, s2
	s_cbranch_execz .LBB121_8
	s_branch .LBB121_24
.LBB121_20:                             ;   in Loop: Header=BB121_9 Depth=1
	v_add_co_u32 v28, s3, v7, s12
	s_delay_alu instid0(VALU_DEP_1) | instskip(SKIP_3) | instid1(VALU_DEP_1)
	v_add_co_ci_u32_e64 v29, s3, s13, v8, s3
	v_mov_b32_e32 v30, 0
	global_load_d16_hi_b16 v30, v[28:29], off
	v_add_co_u32 v28, s3, v9, s12
	v_add_co_ci_u32_e64 v29, s3, s13, v10, s3
	global_load_u16 v28, v[28:29], off
	s_waitcnt vmcnt(1)
	v_or_b32_e32 v2, v30, v2
	s_or_b32 exec_lo, exec_lo, s16
	s_and_saveexec_b32 s16, vcc_lo
	s_cbranch_execz .LBB121_17
.LBB121_21:                             ;   in Loop: Header=BB121_9 Depth=1
	s_waitcnt vmcnt(0)
	v_lshlrev_b32_e32 v26, 16, v26
	s_delay_alu instid0(VALU_DEP_1) | instskip(NEXT) | instid1(VALU_DEP_1)
	v_dual_mul_f32 v26, s11, v26 :: v_dual_lshlrev_b32 v29, 16, v1
	v_cmp_u_f32_e32 vcc_lo, v29, v29
	s_delay_alu instid0(VALU_DEP_2) | instskip(NEXT) | instid1(VALU_DEP_1)
	v_cmp_lt_f32_e64 s3, v26, v29
	s_or_b32 vcc_lo, vcc_lo, s3
	v_cndmask_b32_e32 v26, v26, v29, vcc_lo
	s_delay_alu instid0(VALU_DEP_1) | instskip(NEXT) | instid1(VALU_DEP_1)
	v_bfe_u32 v29, v26, 16, 1
	v_add3_u32 v29, v26, v29, 0x7fff
	s_delay_alu instid0(VALU_DEP_1) | instskip(SKIP_3) | instid1(VALU_DEP_4)
	v_lshrrev_b32_e32 v31, 16, v29
	v_add_co_u32 v29, vcc_lo, v3, s12
	v_add_co_ci_u32_e32 v30, vcc_lo, s13, v4, vcc_lo
	v_cmp_o_f32_e32 vcc_lo, v26, v26
	v_cndmask_b32_e32 v26, 0x7fc0, v31, vcc_lo
	global_store_b16 v[29:30], v26, off
	s_or_b32 exec_lo, exec_lo, s16
	s_and_saveexec_b32 s3, s0
	s_cbranch_execz .LBB121_18
.LBB121_22:                             ;   in Loop: Header=BB121_9 Depth=1
	s_waitcnt vmcnt(0)
	v_lshlrev_b32_e32 v26, 16, v27
	s_delay_alu instid0(VALU_DEP_1) | instskip(NEXT) | instid1(VALU_DEP_1)
	v_dual_mul_f32 v26, s11, v26 :: v_dual_and_b32 v27, 0xffff0000, v1
	v_cmp_u_f32_e32 vcc_lo, v27, v27
	s_delay_alu instid0(VALU_DEP_2) | instskip(NEXT) | instid1(VALU_DEP_1)
	v_cmp_lt_f32_e64 s0, v26, v27
	s_or_b32 vcc_lo, vcc_lo, s0
	v_cndmask_b32_e32 v26, v26, v27, vcc_lo
	s_delay_alu instid0(VALU_DEP_1) | instskip(SKIP_1) | instid1(VALU_DEP_2)
	v_bfe_u32 v27, v26, 16, 1
	v_cmp_o_f32_e32 vcc_lo, v26, v26
	v_add3_u32 v27, v26, v27, 0x7fff
	s_delay_alu instid0(VALU_DEP_1) | instskip(NEXT) | instid1(VALU_DEP_1)
	v_lshrrev_b32_e32 v27, 16, v27
	v_cndmask_b32_e32 v29, 0x7fc0, v27, vcc_lo
	v_add_co_u32 v26, vcc_lo, v21, s12
	v_add_co_ci_u32_e32 v27, vcc_lo, s13, v22, vcc_lo
	global_store_b16 v[26:27], v29, off
	s_or_b32 exec_lo, exec_lo, s3
	s_and_saveexec_b32 s3, s1
	s_cbranch_execz .LBB121_19
.LBB121_23:                             ;   in Loop: Header=BB121_9 Depth=1
	v_alignbit_b32 v1, v2, v1, 16
	s_waitcnt vmcnt(0)
	v_lshlrev_b32_e32 v25, 16, v25
	s_delay_alu instid0(VALU_DEP_2) | instskip(NEXT) | instid1(VALU_DEP_2)
	v_and_b32_e32 v1, 0xffff0000, v1
	v_mul_f32_e32 v25, s11, v25
	s_delay_alu instid0(VALU_DEP_2) | instskip(NEXT) | instid1(VALU_DEP_2)
	v_cmp_u_f32_e32 vcc_lo, v1, v1
	v_cmp_lt_f32_e64 s0, v25, v1
	s_delay_alu instid0(VALU_DEP_1) | instskip(SKIP_1) | instid1(VALU_DEP_1)
	s_or_b32 vcc_lo, vcc_lo, s0
	v_cndmask_b32_e32 v1, v25, v1, vcc_lo
	v_bfe_u32 v25, v1, 16, 1
	v_cmp_o_f32_e32 vcc_lo, v1, v1
	s_delay_alu instid0(VALU_DEP_2) | instskip(NEXT) | instid1(VALU_DEP_1)
	v_add3_u32 v25, v1, v25, 0x7fff
	v_lshrrev_b32_e32 v25, 16, v25
	s_delay_alu instid0(VALU_DEP_1)
	v_cndmask_b32_e32 v1, 0x7fc0, v25, vcc_lo
	v_add_co_u32 v25, vcc_lo, v13, s12
	v_add_co_ci_u32_e32 v26, vcc_lo, s13, v14, vcc_lo
	global_store_b16 v[25:26], v1, off
	s_or_b32 exec_lo, exec_lo, s3
	s_and_saveexec_b32 s1, s2
	s_cbranch_execz .LBB121_8
.LBB121_24:                             ;   in Loop: Header=BB121_9 Depth=1
	s_waitcnt vmcnt(0)
	v_lshlrev_b32_e32 v1, 16, v28
	s_delay_alu instid0(VALU_DEP_1) | instskip(NEXT) | instid1(VALU_DEP_1)
	v_dual_mul_f32 v1, s11, v1 :: v_dual_and_b32 v2, 0xffff0000, v2
	v_cmp_u_f32_e32 vcc_lo, v2, v2
	s_delay_alu instid0(VALU_DEP_2) | instskip(NEXT) | instid1(VALU_DEP_1)
	v_cmp_lt_f32_e64 s0, v1, v2
	s_or_b32 vcc_lo, vcc_lo, s0
	v_cndmask_b32_e32 v1, v1, v2, vcc_lo
	s_delay_alu instid0(VALU_DEP_1) | instskip(SKIP_1) | instid1(VALU_DEP_2)
	v_bfe_u32 v2, v1, 16, 1
	v_cmp_o_f32_e32 vcc_lo, v1, v1
	v_add3_u32 v2, v1, v2, 0x7fff
	s_delay_alu instid0(VALU_DEP_1) | instskip(NEXT) | instid1(VALU_DEP_1)
	v_lshrrev_b32_e32 v2, 16, v2
	v_cndmask_b32_e32 v25, 0x7fc0, v2, vcc_lo
	v_add_co_u32 v1, vcc_lo, v7, s12
	v_add_co_ci_u32_e32 v2, vcc_lo, s13, v8, vcc_lo
	global_store_b16 v[1:2], v25, off
	s_branch .LBB121_8
.LBB121_25:
	s_nop 0
	s_sendmsg sendmsg(MSG_DEALLOC_VGPRS)
	s_endpgm
	.section	.rodata,"a",@progbits
	.p2align	6, 0x0
	.amdhsa_kernel _ZN2at6native12_GLOBAL__N_125multi_tensor_apply_kernelINS1_18TensorListMetadataILi2EEENS1_24BinaryOpListAlphaFunctorIN3c108BFloat16ELi2ELi2ELi0EEEJNS0_7maximumIfEEfEEEvT_T0_DpT1_
		.amdhsa_group_segment_fixed_size 0
		.amdhsa_private_segment_fixed_size 0
		.amdhsa_kernarg_size 3408
		.amdhsa_user_sgpr_count 15
		.amdhsa_user_sgpr_dispatch_ptr 0
		.amdhsa_user_sgpr_queue_ptr 0
		.amdhsa_user_sgpr_kernarg_segment_ptr 1
		.amdhsa_user_sgpr_dispatch_id 0
		.amdhsa_user_sgpr_private_segment_size 0
		.amdhsa_wavefront_size32 1
		.amdhsa_uses_dynamic_stack 0
		.amdhsa_enable_private_segment 0
		.amdhsa_system_sgpr_workgroup_id_x 1
		.amdhsa_system_sgpr_workgroup_id_y 0
		.amdhsa_system_sgpr_workgroup_id_z 0
		.amdhsa_system_sgpr_workgroup_info 0
		.amdhsa_system_vgpr_workitem_id 0
		.amdhsa_next_free_vgpr 32
		.amdhsa_next_free_sgpr 24
		.amdhsa_reserve_vcc 1
		.amdhsa_float_round_mode_32 0
		.amdhsa_float_round_mode_16_64 0
		.amdhsa_float_denorm_mode_32 3
		.amdhsa_float_denorm_mode_16_64 3
		.amdhsa_dx10_clamp 1
		.amdhsa_ieee_mode 1
		.amdhsa_fp16_overflow 0
		.amdhsa_workgroup_processor_mode 1
		.amdhsa_memory_ordered 1
		.amdhsa_forward_progress 0
		.amdhsa_shared_vgpr_count 0
		.amdhsa_exception_fp_ieee_invalid_op 0
		.amdhsa_exception_fp_denorm_src 0
		.amdhsa_exception_fp_ieee_div_zero 0
		.amdhsa_exception_fp_ieee_overflow 0
		.amdhsa_exception_fp_ieee_underflow 0
		.amdhsa_exception_fp_ieee_inexact 0
		.amdhsa_exception_int_div_zero 0
	.end_amdhsa_kernel
	.section	.text._ZN2at6native12_GLOBAL__N_125multi_tensor_apply_kernelINS1_18TensorListMetadataILi2EEENS1_24BinaryOpListAlphaFunctorIN3c108BFloat16ELi2ELi2ELi0EEEJNS0_7maximumIfEEfEEEvT_T0_DpT1_,"axG",@progbits,_ZN2at6native12_GLOBAL__N_125multi_tensor_apply_kernelINS1_18TensorListMetadataILi2EEENS1_24BinaryOpListAlphaFunctorIN3c108BFloat16ELi2ELi2ELi0EEEJNS0_7maximumIfEEfEEEvT_T0_DpT1_,comdat
.Lfunc_end121:
	.size	_ZN2at6native12_GLOBAL__N_125multi_tensor_apply_kernelINS1_18TensorListMetadataILi2EEENS1_24BinaryOpListAlphaFunctorIN3c108BFloat16ELi2ELi2ELi0EEEJNS0_7maximumIfEEfEEEvT_T0_DpT1_, .Lfunc_end121-_ZN2at6native12_GLOBAL__N_125multi_tensor_apply_kernelINS1_18TensorListMetadataILi2EEENS1_24BinaryOpListAlphaFunctorIN3c108BFloat16ELi2ELi2ELi0EEEJNS0_7maximumIfEEfEEEvT_T0_DpT1_
                                        ; -- End function
	.section	.AMDGPU.csdata,"",@progbits
; Kernel info:
; codeLenInByte = 2312
; NumSgprs: 26
; NumVgprs: 32
; ScratchSize: 0
; MemoryBound: 0
; FloatMode: 240
; IeeeMode: 1
; LDSByteSize: 0 bytes/workgroup (compile time only)
; SGPRBlocks: 3
; VGPRBlocks: 3
; NumSGPRsForWavesPerEU: 26
; NumVGPRsForWavesPerEU: 32
; Occupancy: 16
; WaveLimiterHint : 0
; COMPUTE_PGM_RSRC2:SCRATCH_EN: 0
; COMPUTE_PGM_RSRC2:USER_SGPR: 15
; COMPUTE_PGM_RSRC2:TRAP_HANDLER: 0
; COMPUTE_PGM_RSRC2:TGID_X_EN: 1
; COMPUTE_PGM_RSRC2:TGID_Y_EN: 0
; COMPUTE_PGM_RSRC2:TGID_Z_EN: 0
; COMPUTE_PGM_RSRC2:TIDIG_COMP_CNT: 0
	.section	.text._ZN2at6native12_GLOBAL__N_125multi_tensor_apply_kernelINS1_18TensorListMetadataILi2EEENS1_24BinaryOpListAlphaFunctorIN3c104HalfELi2ELi2ELi0EEEJNS0_7maximumIfEEfEEEvT_T0_DpT1_,"axG",@progbits,_ZN2at6native12_GLOBAL__N_125multi_tensor_apply_kernelINS1_18TensorListMetadataILi2EEENS1_24BinaryOpListAlphaFunctorIN3c104HalfELi2ELi2ELi0EEEJNS0_7maximumIfEEfEEEvT_T0_DpT1_,comdat
	.globl	_ZN2at6native12_GLOBAL__N_125multi_tensor_apply_kernelINS1_18TensorListMetadataILi2EEENS1_24BinaryOpListAlphaFunctorIN3c104HalfELi2ELi2ELi0EEEJNS0_7maximumIfEEfEEEvT_T0_DpT1_ ; -- Begin function _ZN2at6native12_GLOBAL__N_125multi_tensor_apply_kernelINS1_18TensorListMetadataILi2EEENS1_24BinaryOpListAlphaFunctorIN3c104HalfELi2ELi2ELi0EEEJNS0_7maximumIfEEfEEEvT_T0_DpT1_
	.p2align	8
	.type	_ZN2at6native12_GLOBAL__N_125multi_tensor_apply_kernelINS1_18TensorListMetadataILi2EEENS1_24BinaryOpListAlphaFunctorIN3c104HalfELi2ELi2ELi0EEEJNS0_7maximumIfEEfEEEvT_T0_DpT1_,@function
_ZN2at6native12_GLOBAL__N_125multi_tensor_apply_kernelINS1_18TensorListMetadataILi2EEENS1_24BinaryOpListAlphaFunctorIN3c104HalfELi2ELi2ELi0EEEJNS0_7maximumIfEEfEEEvT_T0_DpT1_: ; @_ZN2at6native12_GLOBAL__N_125multi_tensor_apply_kernelINS1_18TensorListMetadataILi2EEENS1_24BinaryOpListAlphaFunctorIN3c104HalfELi2ELi2ELi0EEEJNS0_7maximumIfEEfEEEvT_T0_DpT1_
; %bb.0:
	v_mov_b32_e32 v1, s15
	s_add_u32 s2, s0, s15
	s_mul_hi_u32 s3, s15, 3
	s_mul_i32 s15, s15, 3
	s_addc_u32 s4, s1, 0
	global_load_u8 v1, v1, s[0:1] offset:1536
	s_add_u32 s2, s2, s15
	s_addc_u32 s3, s4, s3
	s_mov_b32 s11, 0
	s_load_b32 s2, s[2:3], 0x740
	s_mov_b32 s21, s11
	s_mov_b32 s23, s11
	s_waitcnt vmcnt(0)
	v_readfirstlane_b32 s3, v1
	s_delay_alu instid0(VALU_DEP_1)
	s_lshl_b32 s3, s3, 3
	s_clause 0x3
	s_load_b64 s[12:13], s[0:1], s3 offset:0x0
	s_load_b64 s[14:15], s[0:1], s3 offset:0x200
	;; [unrolled: 1-line block ×3, first 2 shown]
	s_load_b32 s16, s[0:1], 0xc4c
	s_waitcnt lgkmcnt(0)
	s_ashr_i32 s3, s2, 31
	s_delay_alu instid0(SALU_CYCLE_1) | instskip(NEXT) | instid1(SALU_CYCLE_1)
	s_lshl_b64 s[8:9], s[2:3], 17
	s_add_u32 s7, s12, s8
	s_addc_u32 s17, s13, s9
	s_and_b32 s10, s7, 7
	s_add_u32 s18, s14, s8
	s_addc_u32 s19, s15, s9
	s_and_b32 s20, s4, 3
	s_and_b32 s22, s18, 7
	s_or_b64 s[10:11], s[10:11], s[20:21]
	s_lshl_b64 s[2:3], s[2:3], 16
	s_or_b64 s[20:21], s[22:23], s[10:11]
	s_sub_u32 s10, s4, s2
	s_subb_u32 s11, s5, s3
	s_cmp_eq_u64 s[20:21], 0
	s_mov_b32 s2, -1
	s_cbranch_scc0 .LBB122_5
; %bb.1:
	v_dual_mov_b32 v2, 0 :: v_dual_lshlrev_b32 v1, 2, v0
	s_mov_b32 s20, exec_lo
	s_delay_alu instid0(VALU_DEP_1)
	v_cmpx_gt_i64_e64 s[10:11], v[1:2]
	s_cbranch_execz .LBB122_4
; %bb.2:
	s_load_b32 s2, s[0:1], 0xc5c
	v_lshlrev_b32_e32 v3, 3, v0
	s_mov_b32 s21, 0
	s_waitcnt lgkmcnt(0)
	s_and_b32 s2, s2, 0xffff
	s_delay_alu instid0(SALU_CYCLE_1)
	v_add_lshl_u32 v1, v0, s2, 2
	s_lshl_b32 s22, s2, 2
	s_lshl_b32 s23, s2, 3
.LBB122_3:                              ; =>This Inner Loop Header: Depth=1
	v_add_co_u32 v4, s2, s18, v3
	s_delay_alu instid0(VALU_DEP_1) | instskip(SKIP_1) | instid1(VALU_DEP_1)
	v_add_co_ci_u32_e64 v5, null, s19, 0, s2
	v_add_co_u32 v6, s2, s7, v3
	v_add_co_ci_u32_e64 v7, null, s17, 0, s2
	global_load_b64 v[4:5], v[4:5], off
	global_load_b64 v[8:9], v[6:7], off
	v_cmp_le_i64_e32 vcc_lo, s[10:11], v[1:2]
	v_cmp_lt_u64_e64 s2, 0xffff, v[1:2]
	v_add_co_u32 v1, s3, v1, s22
	s_delay_alu instid0(VALU_DEP_1) | instskip(NEXT) | instid1(VALU_DEP_3)
	v_add_co_ci_u32_e64 v2, s3, 0, v2, s3
	s_or_b32 s24, vcc_lo, s2
	s_waitcnt vmcnt(1)
	v_lshrrev_b32_e32 v12, 16, v4
	v_cvt_f32_f16_e32 v4, v4
	v_lshrrev_b32_e32 v13, 16, v5
	s_waitcnt vmcnt(0)
	v_cvt_f32_f16_e32 v14, v8
	v_cvt_f32_f16_e32 v5, v5
	v_lshrrev_b32_e32 v10, 16, v8
	v_mul_f32_e32 v4, s16, v4
	v_cvt_f32_f16_e32 v12, v12
	v_lshrrev_b32_e32 v11, 16, v9
	v_mul_f32_e32 v5, s16, v5
	v_cvt_f32_f16_e32 v13, v13
	v_cmp_u_f16_e32 vcc_lo, v8, v8
	v_cmp_lt_f32_e64 s5, v4, v14
	v_cvt_f32_f16_e32 v16, v10
	v_cvt_f16_f32_e32 v4, v4
	v_dual_mul_f32 v12, s16, v12 :: v_dual_mul_f32 v13, s16, v13
	v_cvt_f32_f16_e32 v15, v9
	v_cvt_f32_f16_e32 v17, v11
	s_or_b32 vcc_lo, vcc_lo, s5
	v_cmp_u_f16_e64 s3, v10, v10
	v_cndmask_b32_e32 v4, v4, v8, vcc_lo
	v_cmp_lt_f32_e32 vcc_lo, v12, v16
	v_cmp_u_f16_e64 s2, v9, v9
	v_cmp_u_f16_e64 s4, v11, v11
	v_cmp_lt_f32_e64 s6, v5, v15
	v_cvt_f16_f32_e32 v8, v12
	v_cmp_lt_f32_e64 s5, v13, v17
	v_cvt_f16_f32_e32 v5, v5
	v_cvt_f16_f32_e32 v12, v13
	s_or_b32 vcc_lo, s3, vcc_lo
	s_or_b32 s2, s2, s6
	v_cndmask_b32_e32 v8, v8, v10, vcc_lo
	s_or_b32 vcc_lo, s4, s5
	v_cndmask_b32_e64 v5, v5, v9, s2
	v_cndmask_b32_e32 v9, v12, v11, vcc_lo
	s_add_u32 s7, s7, s23
	s_addc_u32 s17, s17, 0
	s_add_u32 s18, s18, s23
	s_addc_u32 s19, s19, 0
	v_perm_b32 v5, v9, v5, 0x5040100
	v_perm_b32 v4, v8, v4, 0x5040100
	s_and_b32 s2, exec_lo, s24
	s_delay_alu instid0(SALU_CYCLE_1)
	s_or_b32 s21, s2, s21
	global_store_b64 v[6:7], v[4:5], off
	s_and_not1_b32 exec_lo, exec_lo, s21
	s_cbranch_execnz .LBB122_3
.LBB122_4:
	s_or_b32 exec_lo, exec_lo, s20
	s_mov_b32 s2, 0
.LBB122_5:
	s_delay_alu instid0(SALU_CYCLE_1)
	s_and_not1_b32 vcc_lo, exec_lo, s2
	s_cbranch_vccnz .LBB122_25
; %bb.6:
	v_cmp_lt_i64_e64 s2, s[10:11], 1
	s_delay_alu instid0(VALU_DEP_1)
	s_and_b32 vcc_lo, exec_lo, s2
	s_cbranch_vccnz .LBB122_25
; %bb.7:
	s_load_b32 s0, s[0:1], 0xc5c
	v_dual_mov_b32 v10, 0 :: v_dual_lshlrev_b32 v9, 1, v0
	v_cmp_gt_u64_e64 s1, 0x10000, s[10:11]
	s_mov_b64 s[6:7], 0
	s_delay_alu instid0(VALU_DEP_2) | instskip(NEXT) | instid1(VALU_DEP_1)
	v_add_co_u32 v1, s2, s12, v9
	v_add_co_ci_u32_e64 v2, null, s13, 0, s2
	v_add_co_u32 v3, s2, s14, v9
	s_delay_alu instid0(VALU_DEP_1)
	v_add_co_ci_u32_e64 v4, null, s15, 0, s2
	s_waitcnt lgkmcnt(0)
	s_and_b32 s0, s0, 0xffff
	s_and_b32 s1, s1, exec_lo
	v_mad_u64_u32 v[7:8], null, s0, 6, v[9:10]
	s_cselect_b32 s5, s11, 0
	s_cselect_b32 s4, s10, 0x10000
	s_mul_i32 s2, s0, 3
	s_lshl_b32 s17, s0, 2
	s_lshl_b32 s1, s0, 1
	v_add_co_u32 v14, s3, s17, v9
	v_add_co_u32 v9, s2, s2, v0
	s_delay_alu instid0(VALU_DEP_1) | instskip(SKIP_3) | instid1(VALU_DEP_3)
	v_add_co_ci_u32_e64 v10, null, 0, 0, s2
	v_add_co_u32 v13, s2, v0, s0
	v_add_co_u32 v5, vcc_lo, s12, v7
	v_add_co_ci_u32_e32 v6, vcc_lo, s13, v8, vcc_lo
	v_lshlrev_b32_e32 v21, 1, v13
	v_add_co_u32 v7, vcc_lo, s14, v7
	v_add_co_ci_u32_e64 v15, null, 0, 0, s3
	v_add_co_ci_u32_e32 v8, vcc_lo, s15, v8, vcc_lo
	v_add_co_u32 v17, s1, s1, v0
	v_add_co_u32 v11, vcc_lo, s12, v14
	v_add_co_ci_u32_e64 v18, null, 0, 0, s1
	v_add_co_u32 v19, s1, s12, v21
	v_add_co_ci_u32_e32 v12, vcc_lo, s13, v15, vcc_lo
	v_add_co_u32 v14, vcc_lo, s14, v14
	v_add_co_ci_u32_e64 v20, null, s13, 0, s1
	v_add_co_u32 v21, s1, s14, v21
	v_add_co_ci_u32_e32 v15, vcc_lo, s15, v15, vcc_lo
	v_add_co_ci_u32_e64 v16, null, 0, 0, s2
	v_add_co_ci_u32_e64 v22, null, s15, 0, s1
	s_lshl_b32 s12, s0, 3
	s_branch .LBB122_9
.LBB122_8:                              ;   in Loop: Header=BB122_9 Depth=1
	s_or_b32 exec_lo, exec_lo, s1
	v_add_co_u32 v1, vcc_lo, v1, s12
	v_add_co_ci_u32_e32 v2, vcc_lo, 0, v2, vcc_lo
	v_add_co_u32 v3, vcc_lo, v3, s12
	v_add_co_ci_u32_e32 v4, vcc_lo, 0, v4, vcc_lo
	;; [unrolled: 2-line block ×5, first 2 shown]
	s_add_u32 s6, s6, s17
	v_add_co_u32 v14, vcc_lo, v14, s12
	s_addc_u32 s7, s7, 0
	v_add_co_ci_u32_e32 v15, vcc_lo, 0, v15, vcc_lo
	v_cmp_ge_i64_e64 s0, s[6:7], s[10:11]
	v_cmp_lt_u64_e64 s1, 0xffff, s[6:7]
	v_add_co_u32 v19, vcc_lo, v19, s12
	v_add_co_ci_u32_e32 v20, vcc_lo, 0, v20, vcc_lo
	v_add_co_u32 v21, vcc_lo, v21, s12
	v_add_co_ci_u32_e32 v22, vcc_lo, 0, v22, vcc_lo
	s_or_b32 s0, s0, s1
	s_delay_alu instid0(SALU_CYCLE_1)
	s_and_b32 vcc_lo, exec_lo, s0
	s_cbranch_vccnz .LBB122_25
.LBB122_9:                              ; =>This Inner Loop Header: Depth=1
	s_waitcnt vmcnt(1)
	v_add_co_u32 v23, s0, v0, s6
	s_delay_alu instid0(VALU_DEP_1) | instskip(SKIP_2) | instid1(VALU_DEP_2)
	v_add_co_ci_u32_e64 v24, null, 0, s7, s0
	s_waitcnt vmcnt(0)
	v_mov_b32_e32 v26, 0
	v_cmp_gt_u64_e32 vcc_lo, s[4:5], v[23:24]
	v_mov_b32_e32 v24, 0
	s_and_saveexec_b32 s1, vcc_lo
	s_cbranch_execz .LBB122_11
; %bb.10:                               ;   in Loop: Header=BB122_9 Depth=1
	v_add_co_u32 v23, s0, v1, s8
	s_delay_alu instid0(VALU_DEP_1) | instskip(SKIP_1) | instid1(VALU_DEP_1)
	v_add_co_ci_u32_e64 v24, s0, s9, v2, s0
	v_add_co_u32 v25, s0, v3, s8
	v_add_co_ci_u32_e64 v26, s0, s9, v4, s0
	global_load_u16 v24, v[23:24], off
	global_load_u16 v26, v[25:26], off
.LBB122_11:                             ;   in Loop: Header=BB122_9 Depth=1
	s_or_b32 exec_lo, exec_lo, s1
	v_add_co_u32 v27, s0, v13, s6
	s_delay_alu instid0(VALU_DEP_1) | instskip(SKIP_2) | instid1(VALU_DEP_3)
	v_add_co_ci_u32_e64 v28, s0, s7, v16, s0
	v_mov_b32_e32 v23, 0
	v_mov_b32_e32 v25, 0
	v_cmp_gt_u64_e64 s0, s[4:5], v[27:28]
	v_mov_b32_e32 v27, 0
	s_delay_alu instid0(VALU_DEP_2)
	s_and_saveexec_b32 s2, s0
	s_cbranch_execz .LBB122_13
; %bb.12:                               ;   in Loop: Header=BB122_9 Depth=1
	v_add_co_u32 v27, s1, v19, s8
	s_delay_alu instid0(VALU_DEP_1) | instskip(SKIP_1) | instid1(VALU_DEP_1)
	v_add_co_ci_u32_e64 v28, s1, s9, v20, s1
	v_add_co_u32 v29, s1, v21, s8
	v_add_co_ci_u32_e64 v30, s1, s9, v22, s1
	global_load_u16 v25, v[27:28], off
	global_load_u16 v27, v[29:30], off
.LBB122_13:                             ;   in Loop: Header=BB122_9 Depth=1
	s_or_b32 exec_lo, exec_lo, s2
	v_add_co_u32 v28, s1, v17, s6
	s_delay_alu instid0(VALU_DEP_1) | instskip(NEXT) | instid1(VALU_DEP_1)
	v_add_co_ci_u32_e64 v29, s1, s7, v18, s1
	v_cmp_gt_u64_e64 s1, s[4:5], v[28:29]
	v_mov_b32_e32 v29, 0
	s_delay_alu instid0(VALU_DEP_2)
	s_and_saveexec_b32 s3, s1
	s_cbranch_execz .LBB122_15
; %bb.14:                               ;   in Loop: Header=BB122_9 Depth=1
	v_add_co_u32 v28, s2, v11, s8
	s_delay_alu instid0(VALU_DEP_1) | instskip(SKIP_1) | instid1(VALU_DEP_1)
	v_add_co_ci_u32_e64 v29, s2, s9, v12, s2
	v_add_co_u32 v30, s2, v14, s8
	v_add_co_ci_u32_e64 v31, s2, s9, v15, s2
	global_load_u16 v23, v[28:29], off
	global_load_u16 v29, v[30:31], off
.LBB122_15:                             ;   in Loop: Header=BB122_9 Depth=1
	s_or_b32 exec_lo, exec_lo, s3
	v_add_co_u32 v30, s2, v9, s6
	s_delay_alu instid0(VALU_DEP_1) | instskip(SKIP_1) | instid1(VALU_DEP_2)
	v_add_co_ci_u32_e64 v31, s2, s7, v10, s2
	v_mov_b32_e32 v28, 0
	v_cmp_gt_u64_e64 s2, s[4:5], v[30:31]
	v_mov_b32_e32 v30, 0
	s_delay_alu instid0(VALU_DEP_2)
	s_and_saveexec_b32 s13, s2
	s_cbranch_execnz .LBB122_20
; %bb.16:                               ;   in Loop: Header=BB122_9 Depth=1
	s_or_b32 exec_lo, exec_lo, s13
	s_and_saveexec_b32 s13, vcc_lo
	s_cbranch_execnz .LBB122_21
.LBB122_17:                             ;   in Loop: Header=BB122_9 Depth=1
	s_or_b32 exec_lo, exec_lo, s13
	s_and_saveexec_b32 s3, s0
	s_cbranch_execnz .LBB122_22
.LBB122_18:                             ;   in Loop: Header=BB122_9 Depth=1
	s_or_b32 exec_lo, exec_lo, s3
	s_and_saveexec_b32 s3, s1
	s_cbranch_execnz .LBB122_23
.LBB122_19:                             ;   in Loop: Header=BB122_9 Depth=1
	s_or_b32 exec_lo, exec_lo, s3
	s_and_saveexec_b32 s1, s2
	s_cbranch_execz .LBB122_8
	s_branch .LBB122_24
.LBB122_20:                             ;   in Loop: Header=BB122_9 Depth=1
	v_add_co_u32 v30, s3, v5, s8
	s_delay_alu instid0(VALU_DEP_1) | instskip(SKIP_1) | instid1(VALU_DEP_1)
	v_add_co_ci_u32_e64 v31, s3, s9, v6, s3
	v_add_co_u32 v32, s3, v7, s8
	v_add_co_ci_u32_e64 v33, s3, s9, v8, s3
	global_load_u16 v28, v[30:31], off
	global_load_u16 v30, v[32:33], off
	s_or_b32 exec_lo, exec_lo, s13
	s_and_saveexec_b32 s13, vcc_lo
	s_cbranch_execz .LBB122_17
.LBB122_21:                             ;   in Loop: Header=BB122_9 Depth=1
	s_waitcnt vmcnt(0)
	v_cvt_f32_f16_e32 v26, v26
	v_cvt_f32_f16_e32 v31, v24
	v_cmp_u_f16_e32 vcc_lo, v24, v24
	s_delay_alu instid0(VALU_DEP_3) | instskip(NEXT) | instid1(VALU_DEP_1)
	v_mul_f32_e32 v26, s16, v26
	v_cmp_lt_f32_e64 s3, v26, v31
	v_cvt_f16_f32_e32 v26, v26
	s_delay_alu instid0(VALU_DEP_2) | instskip(NEXT) | instid1(VALU_DEP_1)
	s_or_b32 vcc_lo, vcc_lo, s3
	v_cndmask_b32_e32 v24, v26, v24, vcc_lo
	v_add_co_u32 v31, vcc_lo, v1, s8
	v_add_co_ci_u32_e32 v32, vcc_lo, s9, v2, vcc_lo
	global_store_b16 v[31:32], v24, off
	s_or_b32 exec_lo, exec_lo, s13
	s_and_saveexec_b32 s3, s0
	s_cbranch_execz .LBB122_18
.LBB122_22:                             ;   in Loop: Header=BB122_9 Depth=1
	s_waitcnt vmcnt(0)
	v_cvt_f32_f16_e32 v24, v27
	v_cvt_f32_f16_e32 v26, v25
	v_cmp_u_f16_e32 vcc_lo, v25, v25
	s_delay_alu instid0(VALU_DEP_3) | instskip(NEXT) | instid1(VALU_DEP_1)
	v_mul_f32_e32 v24, s16, v24
	v_cmp_lt_f32_e64 s0, v24, v26
	v_cvt_f16_f32_e32 v24, v24
	s_delay_alu instid0(VALU_DEP_2) | instskip(NEXT) | instid1(VALU_DEP_1)
	s_or_b32 vcc_lo, vcc_lo, s0
	v_cndmask_b32_e32 v26, v24, v25, vcc_lo
	v_add_co_u32 v24, vcc_lo, v19, s8
	v_add_co_ci_u32_e32 v25, vcc_lo, s9, v20, vcc_lo
	global_store_b16 v[24:25], v26, off
	s_or_b32 exec_lo, exec_lo, s3
	s_and_saveexec_b32 s3, s1
	s_cbranch_execz .LBB122_19
.LBB122_23:                             ;   in Loop: Header=BB122_9 Depth=1
	s_waitcnt vmcnt(0)
	v_cvt_f32_f16_e32 v24, v29
	v_cvt_f32_f16_e32 v25, v23
	v_cmp_u_f16_e32 vcc_lo, v23, v23
	s_delay_alu instid0(VALU_DEP_3) | instskip(NEXT) | instid1(VALU_DEP_1)
	v_mul_f32_e32 v24, s16, v24
	v_cmp_lt_f32_e64 s0, v24, v25
	v_cvt_f16_f32_e32 v24, v24
	s_delay_alu instid0(VALU_DEP_2) | instskip(NEXT) | instid1(VALU_DEP_1)
	s_or_b32 vcc_lo, vcc_lo, s0
	v_cndmask_b32_e32 v25, v24, v23, vcc_lo
	v_add_co_u32 v23, vcc_lo, v11, s8
	v_add_co_ci_u32_e32 v24, vcc_lo, s9, v12, vcc_lo
	global_store_b16 v[23:24], v25, off
	s_or_b32 exec_lo, exec_lo, s3
	s_and_saveexec_b32 s1, s2
	s_cbranch_execz .LBB122_8
.LBB122_24:                             ;   in Loop: Header=BB122_9 Depth=1
	s_waitcnt vmcnt(0)
	v_cvt_f32_f16_e32 v23, v30
	v_cvt_f32_f16_e32 v24, v28
	v_cmp_u_f16_e32 vcc_lo, v28, v28
	s_delay_alu instid0(VALU_DEP_3) | instskip(NEXT) | instid1(VALU_DEP_1)
	v_mul_f32_e32 v23, s16, v23
	v_cmp_lt_f32_e64 s0, v23, v24
	v_cvt_f16_f32_e32 v23, v23
	s_delay_alu instid0(VALU_DEP_2) | instskip(NEXT) | instid1(VALU_DEP_1)
	s_or_b32 vcc_lo, vcc_lo, s0
	v_cndmask_b32_e32 v25, v23, v28, vcc_lo
	v_add_co_u32 v23, vcc_lo, v5, s8
	v_add_co_ci_u32_e32 v24, vcc_lo, s9, v6, vcc_lo
	global_store_b16 v[23:24], v25, off
	s_branch .LBB122_8
.LBB122_25:
	s_nop 0
	s_sendmsg sendmsg(MSG_DEALLOC_VGPRS)
	s_endpgm
	.section	.rodata,"a",@progbits
	.p2align	6, 0x0
	.amdhsa_kernel _ZN2at6native12_GLOBAL__N_125multi_tensor_apply_kernelINS1_18TensorListMetadataILi2EEENS1_24BinaryOpListAlphaFunctorIN3c104HalfELi2ELi2ELi0EEEJNS0_7maximumIfEEfEEEvT_T0_DpT1_
		.amdhsa_group_segment_fixed_size 0
		.amdhsa_private_segment_fixed_size 0
		.amdhsa_kernarg_size 3408
		.amdhsa_user_sgpr_count 15
		.amdhsa_user_sgpr_dispatch_ptr 0
		.amdhsa_user_sgpr_queue_ptr 0
		.amdhsa_user_sgpr_kernarg_segment_ptr 1
		.amdhsa_user_sgpr_dispatch_id 0
		.amdhsa_user_sgpr_private_segment_size 0
		.amdhsa_wavefront_size32 1
		.amdhsa_uses_dynamic_stack 0
		.amdhsa_enable_private_segment 0
		.amdhsa_system_sgpr_workgroup_id_x 1
		.amdhsa_system_sgpr_workgroup_id_y 0
		.amdhsa_system_sgpr_workgroup_id_z 0
		.amdhsa_system_sgpr_workgroup_info 0
		.amdhsa_system_vgpr_workitem_id 0
		.amdhsa_next_free_vgpr 34
		.amdhsa_next_free_sgpr 25
		.amdhsa_reserve_vcc 1
		.amdhsa_float_round_mode_32 0
		.amdhsa_float_round_mode_16_64 0
		.amdhsa_float_denorm_mode_32 3
		.amdhsa_float_denorm_mode_16_64 3
		.amdhsa_dx10_clamp 1
		.amdhsa_ieee_mode 1
		.amdhsa_fp16_overflow 0
		.amdhsa_workgroup_processor_mode 1
		.amdhsa_memory_ordered 1
		.amdhsa_forward_progress 0
		.amdhsa_shared_vgpr_count 0
		.amdhsa_exception_fp_ieee_invalid_op 0
		.amdhsa_exception_fp_denorm_src 0
		.amdhsa_exception_fp_ieee_div_zero 0
		.amdhsa_exception_fp_ieee_overflow 0
		.amdhsa_exception_fp_ieee_underflow 0
		.amdhsa_exception_fp_ieee_inexact 0
		.amdhsa_exception_int_div_zero 0
	.end_amdhsa_kernel
	.section	.text._ZN2at6native12_GLOBAL__N_125multi_tensor_apply_kernelINS1_18TensorListMetadataILi2EEENS1_24BinaryOpListAlphaFunctorIN3c104HalfELi2ELi2ELi0EEEJNS0_7maximumIfEEfEEEvT_T0_DpT1_,"axG",@progbits,_ZN2at6native12_GLOBAL__N_125multi_tensor_apply_kernelINS1_18TensorListMetadataILi2EEENS1_24BinaryOpListAlphaFunctorIN3c104HalfELi2ELi2ELi0EEEJNS0_7maximumIfEEfEEEvT_T0_DpT1_,comdat
.Lfunc_end122:
	.size	_ZN2at6native12_GLOBAL__N_125multi_tensor_apply_kernelINS1_18TensorListMetadataILi2EEENS1_24BinaryOpListAlphaFunctorIN3c104HalfELi2ELi2ELi0EEEJNS0_7maximumIfEEfEEEvT_T0_DpT1_, .Lfunc_end122-_ZN2at6native12_GLOBAL__N_125multi_tensor_apply_kernelINS1_18TensorListMetadataILi2EEENS1_24BinaryOpListAlphaFunctorIN3c104HalfELi2ELi2ELi0EEEJNS0_7maximumIfEEfEEEvT_T0_DpT1_
                                        ; -- End function
	.section	.AMDGPU.csdata,"",@progbits
; Kernel info:
; codeLenInByte = 1864
; NumSgprs: 27
; NumVgprs: 34
; ScratchSize: 0
; MemoryBound: 0
; FloatMode: 240
; IeeeMode: 1
; LDSByteSize: 0 bytes/workgroup (compile time only)
; SGPRBlocks: 3
; VGPRBlocks: 4
; NumSGPRsForWavesPerEU: 27
; NumVGPRsForWavesPerEU: 34
; Occupancy: 16
; WaveLimiterHint : 0
; COMPUTE_PGM_RSRC2:SCRATCH_EN: 0
; COMPUTE_PGM_RSRC2:USER_SGPR: 15
; COMPUTE_PGM_RSRC2:TRAP_HANDLER: 0
; COMPUTE_PGM_RSRC2:TGID_X_EN: 1
; COMPUTE_PGM_RSRC2:TGID_Y_EN: 0
; COMPUTE_PGM_RSRC2:TGID_Z_EN: 0
; COMPUTE_PGM_RSRC2:TIDIG_COMP_CNT: 0
	.section	.text._ZN2at6native12_GLOBAL__N_125multi_tensor_apply_kernelINS1_18TensorListMetadataILi3EEENS1_24BinaryOpListAlphaFunctorIhLi3ELi2ELi2EEEJNS0_7maximumIhEEhEEEvT_T0_DpT1_,"axG",@progbits,_ZN2at6native12_GLOBAL__N_125multi_tensor_apply_kernelINS1_18TensorListMetadataILi3EEENS1_24BinaryOpListAlphaFunctorIhLi3ELi2ELi2EEEJNS0_7maximumIhEEhEEEvT_T0_DpT1_,comdat
	.globl	_ZN2at6native12_GLOBAL__N_125multi_tensor_apply_kernelINS1_18TensorListMetadataILi3EEENS1_24BinaryOpListAlphaFunctorIhLi3ELi2ELi2EEEJNS0_7maximumIhEEhEEEvT_T0_DpT1_ ; -- Begin function _ZN2at6native12_GLOBAL__N_125multi_tensor_apply_kernelINS1_18TensorListMetadataILi3EEENS1_24BinaryOpListAlphaFunctorIhLi3ELi2ELi2EEEJNS0_7maximumIhEEhEEEvT_T0_DpT1_
	.p2align	8
	.type	_ZN2at6native12_GLOBAL__N_125multi_tensor_apply_kernelINS1_18TensorListMetadataILi3EEENS1_24BinaryOpListAlphaFunctorIhLi3ELi2ELi2EEEJNS0_7maximumIhEEhEEEvT_T0_DpT1_,@function
_ZN2at6native12_GLOBAL__N_125multi_tensor_apply_kernelINS1_18TensorListMetadataILi3EEENS1_24BinaryOpListAlphaFunctorIhLi3ELi2ELi2EEEJNS0_7maximumIhEEhEEEvT_T0_DpT1_: ; @_ZN2at6native12_GLOBAL__N_125multi_tensor_apply_kernelINS1_18TensorListMetadataILi3EEENS1_24BinaryOpListAlphaFunctorIhLi3ELi2ELi2EEEJNS0_7maximumIhEEhEEEvT_T0_DpT1_
; %bb.0:
	v_mov_b32_e32 v1, s15
	s_add_u32 s2, s0, s15
	s_mul_hi_u32 s3, s15, 3
	s_mul_i32 s15, s15, 3
	s_addc_u32 s4, s1, 0
	global_load_u8 v1, v1, s[0:1] offset:1536
	s_add_u32 s2, s2, s15
	s_addc_u32 s3, s4, s3
	s_load_b32 s2, s[2:3], 0x740
	s_waitcnt vmcnt(0)
	v_readfirstlane_b32 s3, v1
	s_delay_alu instid0(VALU_DEP_1)
	s_lshl_b32 s3, s3, 3
	s_clause 0x3
	s_load_b64 s[8:9], s[0:1], s3 offset:0x0
	s_load_b64 s[10:11], s[0:1], s3 offset:0x180
	;; [unrolled: 1-line block ×4, first 2 shown]
	s_waitcnt lgkmcnt(0)
	s_ashr_i32 s3, s2, 31
	s_delay_alu instid0(SALU_CYCLE_1)
	s_lshl_b64 s[14:15], s[2:3], 16
	s_load_b32 s3, s[0:1], 0xc48
	s_add_u32 s6, s8, s14
	s_addc_u32 s7, s9, s15
	s_add_u32 s16, s10, s14
	s_addc_u32 s17, s11, s15
	s_add_u32 s18, s12, s14
	s_addc_u32 s19, s13, s15
	s_or_b32 s2, s18, s16
	s_delay_alu instid0(SALU_CYCLE_1) | instskip(NEXT) | instid1(SALU_CYCLE_1)
	s_and_b32 s2, s2, 3
	s_cmp_lg_u32 s2, 0
	s_cselect_b32 s2, -1, 0
	s_sub_u32 s4, s20, s14
	s_subb_u32 s5, s21, s15
	s_or_b64 s[20:21], s[20:21], s[6:7]
	s_mov_b32 s21, 0
	s_and_b32 s20, s20, 3
	s_delay_alu instid0(SALU_CYCLE_1) | instskip(SKIP_1) | instid1(SALU_CYCLE_1)
	s_cmp_lg_u64 s[20:21], 0
	s_cselect_b32 s20, -1, 0
	s_or_b32 s2, s2, s20
	s_delay_alu instid0(SALU_CYCLE_1)
	s_and_not1_b32 vcc_lo, exec_lo, s2
	s_mov_b32 s2, -1
	s_cbranch_vccz .LBB123_5
; %bb.1:
	v_dual_mov_b32 v2, 0 :: v_dual_lshlrev_b32 v1, 2, v0
	s_mov_b32 s20, exec_lo
	s_delay_alu instid0(VALU_DEP_1)
	v_cmpx_gt_i64_e64 s[4:5], v[1:2]
	s_cbranch_execz .LBB123_4
; %bb.2:
	s_load_b32 s2, s[0:1], 0xc5c
	s_waitcnt lgkmcnt(0)
	s_lshr_b32 s23, s3, 16
	s_and_b32 s2, s2, 0xffff
	s_delay_alu instid0(SALU_CYCLE_1)
	s_lshl_b32 s22, s2, 2
.LBB123_3:                              ; =>This Inner Loop Header: Depth=1
	v_add_co_u32 v3, vcc_lo, s16, v1
	v_add_co_ci_u32_e32 v4, vcc_lo, s17, v2, vcc_lo
	v_add_co_u32 v5, vcc_lo, s6, v1
	v_add_co_ci_u32_e32 v6, vcc_lo, s7, v2, vcc_lo
	global_load_b32 v7, v[3:4], off
	global_load_b32 v5, v[5:6], off
	v_add_co_u32 v3, vcc_lo, s18, v1
	v_add_co_ci_u32_e32 v4, vcc_lo, s19, v2, vcc_lo
	v_add_co_u32 v1, vcc_lo, s22, v1
	v_add_co_ci_u32_e32 v2, vcc_lo, 0, v2, vcc_lo
	s_delay_alu instid0(VALU_DEP_1) | instskip(SKIP_1) | instid1(VALU_DEP_1)
	v_cmp_le_i64_e32 vcc_lo, s[4:5], v[1:2]
	v_cmp_lt_u64_e64 s2, 0xffff, v[1:2]
	s_or_b32 s2, vcc_lo, s2
	s_delay_alu instid0(SALU_CYCLE_1) | instskip(NEXT) | instid1(SALU_CYCLE_1)
	s_and_b32 s2, exec_lo, s2
	s_or_b32 s21, s2, s21
	s_waitcnt vmcnt(1)
	v_lshrrev_b32_e32 v10, 8, v7
	v_mul_lo_u16 v8, v7, s23
	s_waitcnt vmcnt(0)
	v_lshrrev_b32_e32 v9, 8, v5
	v_lshrrev_b32_e32 v12, 16, v7
	;; [unrolled: 1-line block ×3, first 2 shown]
	v_mul_lo_u16 v10, v10, s23
	v_and_b32_e32 v6, 0xff, v5
	v_lshrrev_b32_e32 v11, 16, v5
	v_and_b32_e32 v8, 0xff, v8
	v_and_b32_e32 v9, 0xff, v9
	v_mul_lo_u16 v12, v12, s23
	v_mul_lo_u16 v7, v7, s23
	v_and_b32_e32 v10, 0xff, v10
	v_lshrrev_b32_e32 v5, 24, v5
	v_and_b32_e32 v11, 0xff, v11
	v_max_u16 v6, v6, v8
	v_and_b32_e32 v8, 0xff, v12
	v_and_b32_e32 v7, 0xff, v7
	v_max_u16 v9, v9, v10
	s_delay_alu instid0(VALU_DEP_4) | instskip(NEXT) | instid1(VALU_DEP_4)
	v_and_b32_e32 v6, 0xffff, v6
	v_max_u16 v8, v11, v8
	s_delay_alu instid0(VALU_DEP_4) | instskip(NEXT) | instid1(VALU_DEP_4)
	v_max_u16 v5, v5, v7
	v_and_b32_e32 v7, 0xffff, v9
	s_delay_alu instid0(VALU_DEP_3) | instskip(NEXT) | instid1(VALU_DEP_3)
	v_lshlrev_b32_e32 v8, 16, v8
	v_lshlrev_b32_e32 v5, 24, v5
	s_delay_alu instid0(VALU_DEP_3) | instskip(NEXT) | instid1(VALU_DEP_1)
	v_lshl_or_b32 v6, v7, 8, v6
	v_or3_b32 v5, v6, v8, v5
	global_store_b32 v[3:4], v5, off
	s_and_not1_b32 exec_lo, exec_lo, s21
	s_cbranch_execnz .LBB123_3
.LBB123_4:
	s_or_b32 exec_lo, exec_lo, s20
	s_mov_b32 s2, 0
.LBB123_5:
	s_delay_alu instid0(SALU_CYCLE_1)
	s_and_not1_b32 vcc_lo, exec_lo, s2
	s_cbranch_vccnz .LBB123_25
; %bb.6:
	v_cmp_lt_i64_e64 s2, s[4:5], 1
	s_delay_alu instid0(VALU_DEP_1)
	s_and_b32 vcc_lo, exec_lo, s2
	s_cbranch_vccnz .LBB123_25
; %bb.7:
	s_load_b32 s0, s[0:1], 0xc5c
	v_add_co_u32 v21, s1, s14, v0
	s_delay_alu instid0(VALU_DEP_1) | instskip(SKIP_1) | instid1(VALU_DEP_3)
	v_add_co_ci_u32_e64 v22, null, s15, 0, s1
	v_cmp_gt_u64_e64 s1, 0x10000, s[4:5]
	v_add_co_u32 v1, vcc_lo, s8, v21
	s_delay_alu instid0(VALU_DEP_3)
	v_add_co_ci_u32_e32 v2, vcc_lo, s9, v22, vcc_lo
	v_add_co_u32 v3, vcc_lo, s10, v21
	v_add_co_ci_u32_e32 v4, vcc_lo, s11, v22, vcc_lo
	v_add_co_u32 v5, vcc_lo, s12, v21
	v_add_co_ci_u32_e32 v6, vcc_lo, s13, v22, vcc_lo
	s_waitcnt lgkmcnt(0)
	s_and_b32 s0, s0, 0xffff
	s_and_b32 s1, s1, exec_lo
	s_mul_i32 s2, s0, 3
	s_cselect_b32 s7, s5, 0
	s_cselect_b32 s6, s4, 0x10000
	s_lshl_b32 s1, s0, 1
	s_lshl_b32 s16, s0, 2
	s_add_u32 s17, s14, s2
	s_addc_u32 s18, s15, 0
	v_add_co_u32 v11, s17, s17, v0
	s_delay_alu instid0(VALU_DEP_1) | instskip(SKIP_1) | instid1(VALU_DEP_2)
	v_add_co_ci_u32_e64 v12, null, s18, 0, s17
	s_add_u32 s14, s14, s1
	v_add_co_u32 v7, vcc_lo, s8, v11
	s_delay_alu instid0(VALU_DEP_2)
	v_add_co_ci_u32_e32 v8, vcc_lo, s9, v12, vcc_lo
	v_add_co_u32 v9, vcc_lo, s10, v11
	s_addc_u32 s15, s15, 0
	v_add_co_u32 v19, s14, s14, v0
	v_add_co_ci_u32_e32 v10, vcc_lo, s11, v12, vcc_lo
	v_add_co_u32 v11, vcc_lo, s12, v11
	v_add_co_ci_u32_e64 v20, null, s15, 0, s14
	v_add_co_ci_u32_e32 v12, vcc_lo, s13, v12, vcc_lo
	v_add_co_u32 v15, vcc_lo, s8, v19
	s_delay_alu instid0(VALU_DEP_3)
	v_add_co_ci_u32_e32 v16, vcc_lo, s9, v20, vcc_lo
	v_add_co_u32 v17, vcc_lo, s10, v19
	v_add_co_ci_u32_e32 v18, vcc_lo, s11, v20, vcc_lo
	v_add_co_u32 v19, vcc_lo, s12, v19
	;; [unrolled: 2-line block ×3, first 2 shown]
	v_add_co_ci_u32_e32 v28, vcc_lo, 0, v22, vcc_lo
	v_add_co_u32 v13, s2, s2, v0
	s_delay_alu instid0(VALU_DEP_3) | instskip(NEXT) | instid1(VALU_DEP_3)
	v_add_co_u32 v23, vcc_lo, s8, v27
	v_add_co_ci_u32_e32 v24, vcc_lo, s9, v28, vcc_lo
	v_add_co_u32 v25, vcc_lo, s10, v27
	v_add_co_ci_u32_e32 v26, vcc_lo, s11, v28, vcc_lo
	v_add_co_u32 v21, s1, s1, v0
	v_add_co_u32 v27, vcc_lo, s12, v27
	v_add_co_u32 v29, s0, v0, s0
	v_add_co_ci_u32_e64 v14, null, 0, 0, s2
	v_add_co_ci_u32_e64 v22, null, 0, 0, s1
	v_add_co_ci_u32_e32 v28, vcc_lo, s13, v28, vcc_lo
	v_add_co_ci_u32_e64 v30, null, 0, 0, s0
	s_mov_b64 s[8:9], 0
	s_lshr_b32 s10, s3, 16
	s_branch .LBB123_9
.LBB123_8:                              ;   in Loop: Header=BB123_9 Depth=1
	s_or_b32 exec_lo, exec_lo, s0
	s_add_u32 s8, s8, s16
	s_addc_u32 s9, s9, 0
	s_delay_alu instid0(SALU_CYCLE_1) | instskip(SKIP_1) | instid1(VALU_DEP_1)
	v_cmp_ge_i64_e64 s0, s[8:9], s[4:5]
	v_cmp_lt_u64_e64 s1, 0xffff, s[8:9]
	s_or_b32 s0, s0, s1
	s_delay_alu instid0(SALU_CYCLE_1)
	s_and_b32 vcc_lo, exec_lo, s0
	s_cbranch_vccnz .LBB123_25
.LBB123_9:                              ; =>This Inner Loop Header: Depth=1
	s_waitcnt vmcnt(0)
	v_add_co_u32 v33, s0, v0, s8
	s_delay_alu instid0(VALU_DEP_1) | instskip(SKIP_1) | instid1(VALU_DEP_2)
	v_add_co_ci_u32_e64 v34, null, 0, s9, s0
	v_dual_mov_b32 v32, 0 :: v_dual_mov_b32 v31, 0
	v_cmp_gt_u64_e32 vcc_lo, s[6:7], v[33:34]
	v_mov_b32_e32 v33, 0
	s_and_saveexec_b32 s1, vcc_lo
	s_cbranch_execz .LBB123_11
; %bb.10:                               ;   in Loop: Header=BB123_9 Depth=1
	v_add_co_u32 v33, s0, v1, s8
	s_delay_alu instid0(VALU_DEP_1) | instskip(SKIP_1) | instid1(VALU_DEP_1)
	v_add_co_ci_u32_e64 v34, s0, s9, v2, s0
	v_add_co_u32 v35, s0, v3, s8
	v_add_co_ci_u32_e64 v36, s0, s9, v4, s0
	global_load_u8 v31, v[33:34], off
	global_load_u8 v33, v[35:36], off
.LBB123_11:                             ;   in Loop: Header=BB123_9 Depth=1
	s_or_b32 exec_lo, exec_lo, s1
	v_add_co_u32 v34, s0, v29, s8
	s_delay_alu instid0(VALU_DEP_1) | instskip(NEXT) | instid1(VALU_DEP_1)
	v_add_co_ci_u32_e64 v35, s0, s9, v30, s0
	v_cmp_gt_u64_e64 s0, s[6:7], v[34:35]
	s_delay_alu instid0(VALU_DEP_1)
	s_and_saveexec_b32 s2, s0
	s_cbranch_execz .LBB123_13
; %bb.12:                               ;   in Loop: Header=BB123_9 Depth=1
	v_add_co_u32 v34, s1, v23, s8
	s_delay_alu instid0(VALU_DEP_1) | instskip(SKIP_2) | instid1(VALU_DEP_1)
	v_add_co_ci_u32_e64 v35, s1, s9, v24, s1
	global_load_u8 v36, v[34:35], off
	v_add_co_u32 v34, s1, v25, s8
	v_add_co_ci_u32_e64 v35, s1, s9, v26, s1
	global_load_u8 v32, v[34:35], off
	s_waitcnt vmcnt(1)
	v_lshl_or_b32 v31, v36, 8, v31
.LBB123_13:                             ;   in Loop: Header=BB123_9 Depth=1
	s_or_b32 exec_lo, exec_lo, s2
	v_add_co_u32 v34, s1, v21, s8
	s_delay_alu instid0(VALU_DEP_1) | instskip(NEXT) | instid1(VALU_DEP_1)
	v_add_co_ci_u32_e64 v35, s1, s9, v22, s1
	v_cmp_gt_u64_e64 s1, s[6:7], v[34:35]
	v_dual_mov_b32 v34, 0 :: v_dual_mov_b32 v35, 0
	s_delay_alu instid0(VALU_DEP_2)
	s_and_saveexec_b32 s3, s1
	s_cbranch_execz .LBB123_15
; %bb.14:                               ;   in Loop: Header=BB123_9 Depth=1
	v_add_co_u32 v35, s2, v15, s8
	s_delay_alu instid0(VALU_DEP_1) | instskip(SKIP_2) | instid1(VALU_DEP_1)
	v_add_co_ci_u32_e64 v36, s2, s9, v16, s2
	global_load_u8 v37, v[35:36], off
	v_add_co_u32 v35, s2, v17, s8
	v_add_co_ci_u32_e64 v36, s2, s9, v18, s2
	global_load_u8 v35, v[35:36], off
	s_waitcnt vmcnt(1)
	v_lshl_or_b32 v31, v37, 16, v31
.LBB123_15:                             ;   in Loop: Header=BB123_9 Depth=1
	s_or_b32 exec_lo, exec_lo, s3
	v_add_co_u32 v36, s2, v13, s8
	s_delay_alu instid0(VALU_DEP_1) | instskip(NEXT) | instid1(VALU_DEP_1)
	v_add_co_ci_u32_e64 v37, s2, s9, v14, s2
	v_cmp_gt_u64_e64 s2, s[6:7], v[36:37]
	s_delay_alu instid0(VALU_DEP_1)
	s_and_saveexec_b32 s11, s2
	s_cbranch_execnz .LBB123_20
; %bb.16:                               ;   in Loop: Header=BB123_9 Depth=1
	s_or_b32 exec_lo, exec_lo, s11
	s_and_saveexec_b32 s3, vcc_lo
	s_cbranch_execnz .LBB123_21
.LBB123_17:                             ;   in Loop: Header=BB123_9 Depth=1
	s_or_b32 exec_lo, exec_lo, s3
	s_and_saveexec_b32 s3, s0
	s_cbranch_execnz .LBB123_22
.LBB123_18:                             ;   in Loop: Header=BB123_9 Depth=1
	s_or_b32 exec_lo, exec_lo, s3
	s_and_saveexec_b32 s0, s1
	s_cbranch_execnz .LBB123_23
.LBB123_19:                             ;   in Loop: Header=BB123_9 Depth=1
	s_or_b32 exec_lo, exec_lo, s0
	s_and_saveexec_b32 s0, s2
	s_cbranch_execz .LBB123_8
	s_branch .LBB123_24
.LBB123_20:                             ;   in Loop: Header=BB123_9 Depth=1
	v_add_co_u32 v36, s3, v7, s8
	s_delay_alu instid0(VALU_DEP_1) | instskip(SKIP_2) | instid1(VALU_DEP_1)
	v_add_co_ci_u32_e64 v37, s3, s9, v8, s3
	global_load_u8 v38, v[36:37], off
	v_add_co_u32 v36, s3, v9, s8
	v_add_co_ci_u32_e64 v37, s3, s9, v10, s3
	global_load_u8 v34, v[36:37], off
	s_waitcnt vmcnt(1)
	v_lshl_or_b32 v31, v38, 24, v31
	s_or_b32 exec_lo, exec_lo, s11
	s_and_saveexec_b32 s3, vcc_lo
	s_cbranch_execz .LBB123_17
.LBB123_21:                             ;   in Loop: Header=BB123_9 Depth=1
	s_waitcnt vmcnt(0)
	v_mul_lo_u16 v33, v33, s10
	v_and_b32_e32 v36, 0xff, v31
	s_delay_alu instid0(VALU_DEP_2) | instskip(NEXT) | instid1(VALU_DEP_1)
	v_and_b32_e32 v33, 0xff, v33
	v_max_u16 v33, v36, v33
	v_add_co_u32 v36, vcc_lo, v5, s8
	v_add_co_ci_u32_e32 v37, vcc_lo, s9, v6, vcc_lo
	global_store_b8 v[36:37], v33, off
	s_or_b32 exec_lo, exec_lo, s3
	s_and_saveexec_b32 s3, s0
	s_cbranch_execz .LBB123_18
.LBB123_22:                             ;   in Loop: Header=BB123_9 Depth=1
	s_waitcnt vmcnt(0)
	v_lshrrev_b32_e32 v33, 8, v31
	v_mul_lo_u16 v32, v32, s10
	s_delay_alu instid0(VALU_DEP_2) | instskip(NEXT) | instid1(VALU_DEP_2)
	v_and_b32_e32 v33, 0xff, v33
	v_and_b32_e32 v32, 0xff, v32
	s_delay_alu instid0(VALU_DEP_1)
	v_max_u16 v36, v33, v32
	v_add_co_u32 v32, vcc_lo, v27, s8
	v_add_co_ci_u32_e32 v33, vcc_lo, s9, v28, vcc_lo
	global_store_b8 v[32:33], v36, off
	s_or_b32 exec_lo, exec_lo, s3
	s_and_saveexec_b32 s0, s1
	s_cbranch_execz .LBB123_19
.LBB123_23:                             ;   in Loop: Header=BB123_9 Depth=1
	s_waitcnt vmcnt(0)
	v_lshrrev_b32_e32 v32, 16, v31
	v_mul_lo_u16 v33, v35, s10
	s_delay_alu instid0(VALU_DEP_2) | instskip(NEXT) | instid1(VALU_DEP_2)
	v_and_b32_e32 v32, 0xff, v32
	v_and_b32_e32 v33, 0xff, v33
	s_delay_alu instid0(VALU_DEP_1)
	v_max_u16 v35, v32, v33
	v_add_co_u32 v32, vcc_lo, v19, s8
	v_add_co_ci_u32_e32 v33, vcc_lo, s9, v20, vcc_lo
	global_store_b8 v[32:33], v35, off
	s_or_b32 exec_lo, exec_lo, s0
	s_and_saveexec_b32 s0, s2
	s_cbranch_execz .LBB123_8
.LBB123_24:                             ;   in Loop: Header=BB123_9 Depth=1
	s_waitcnt vmcnt(0)
	v_mul_lo_u16 v32, v34, s10
	v_lshrrev_b32_e32 v31, 24, v31
	s_delay_alu instid0(VALU_DEP_2) | instskip(NEXT) | instid1(VALU_DEP_1)
	v_and_b32_e32 v32, 0xff, v32
	v_max_u16 v33, v31, v32
	v_add_co_u32 v31, vcc_lo, v11, s8
	v_add_co_ci_u32_e32 v32, vcc_lo, s9, v12, vcc_lo
	global_store_b8 v[31:32], v33, off
	s_branch .LBB123_8
.LBB123_25:
	s_nop 0
	s_sendmsg sendmsg(MSG_DEALLOC_VGPRS)
	s_endpgm
	.section	.rodata,"a",@progbits
	.p2align	6, 0x0
	.amdhsa_kernel _ZN2at6native12_GLOBAL__N_125multi_tensor_apply_kernelINS1_18TensorListMetadataILi3EEENS1_24BinaryOpListAlphaFunctorIhLi3ELi2ELi2EEEJNS0_7maximumIhEEhEEEvT_T0_DpT1_
		.amdhsa_group_segment_fixed_size 0
		.amdhsa_private_segment_fixed_size 0
		.amdhsa_kernarg_size 3408
		.amdhsa_user_sgpr_count 15
		.amdhsa_user_sgpr_dispatch_ptr 0
		.amdhsa_user_sgpr_queue_ptr 0
		.amdhsa_user_sgpr_kernarg_segment_ptr 1
		.amdhsa_user_sgpr_dispatch_id 0
		.amdhsa_user_sgpr_private_segment_size 0
		.amdhsa_wavefront_size32 1
		.amdhsa_uses_dynamic_stack 0
		.amdhsa_enable_private_segment 0
		.amdhsa_system_sgpr_workgroup_id_x 1
		.amdhsa_system_sgpr_workgroup_id_y 0
		.amdhsa_system_sgpr_workgroup_id_z 0
		.amdhsa_system_sgpr_workgroup_info 0
		.amdhsa_system_vgpr_workitem_id 0
		.amdhsa_next_free_vgpr 39
		.amdhsa_next_free_sgpr 24
		.amdhsa_reserve_vcc 1
		.amdhsa_float_round_mode_32 0
		.amdhsa_float_round_mode_16_64 0
		.amdhsa_float_denorm_mode_32 3
		.amdhsa_float_denorm_mode_16_64 3
		.amdhsa_dx10_clamp 1
		.amdhsa_ieee_mode 1
		.amdhsa_fp16_overflow 0
		.amdhsa_workgroup_processor_mode 1
		.amdhsa_memory_ordered 1
		.amdhsa_forward_progress 0
		.amdhsa_shared_vgpr_count 0
		.amdhsa_exception_fp_ieee_invalid_op 0
		.amdhsa_exception_fp_denorm_src 0
		.amdhsa_exception_fp_ieee_div_zero 0
		.amdhsa_exception_fp_ieee_overflow 0
		.amdhsa_exception_fp_ieee_underflow 0
		.amdhsa_exception_fp_ieee_inexact 0
		.amdhsa_exception_int_div_zero 0
	.end_amdhsa_kernel
	.section	.text._ZN2at6native12_GLOBAL__N_125multi_tensor_apply_kernelINS1_18TensorListMetadataILi3EEENS1_24BinaryOpListAlphaFunctorIhLi3ELi2ELi2EEEJNS0_7maximumIhEEhEEEvT_T0_DpT1_,"axG",@progbits,_ZN2at6native12_GLOBAL__N_125multi_tensor_apply_kernelINS1_18TensorListMetadataILi3EEENS1_24BinaryOpListAlphaFunctorIhLi3ELi2ELi2EEEJNS0_7maximumIhEEhEEEvT_T0_DpT1_,comdat
.Lfunc_end123:
	.size	_ZN2at6native12_GLOBAL__N_125multi_tensor_apply_kernelINS1_18TensorListMetadataILi3EEENS1_24BinaryOpListAlphaFunctorIhLi3ELi2ELi2EEEJNS0_7maximumIhEEhEEEvT_T0_DpT1_, .Lfunc_end123-_ZN2at6native12_GLOBAL__N_125multi_tensor_apply_kernelINS1_18TensorListMetadataILi3EEENS1_24BinaryOpListAlphaFunctorIhLi3ELi2ELi2EEEJNS0_7maximumIhEEhEEEvT_T0_DpT1_
                                        ; -- End function
	.section	.AMDGPU.csdata,"",@progbits
; Kernel info:
; codeLenInByte = 1856
; NumSgprs: 26
; NumVgprs: 39
; ScratchSize: 0
; MemoryBound: 0
; FloatMode: 240
; IeeeMode: 1
; LDSByteSize: 0 bytes/workgroup (compile time only)
; SGPRBlocks: 3
; VGPRBlocks: 4
; NumSGPRsForWavesPerEU: 26
; NumVGPRsForWavesPerEU: 39
; Occupancy: 16
; WaveLimiterHint : 0
; COMPUTE_PGM_RSRC2:SCRATCH_EN: 0
; COMPUTE_PGM_RSRC2:USER_SGPR: 15
; COMPUTE_PGM_RSRC2:TRAP_HANDLER: 0
; COMPUTE_PGM_RSRC2:TGID_X_EN: 1
; COMPUTE_PGM_RSRC2:TGID_Y_EN: 0
; COMPUTE_PGM_RSRC2:TGID_Z_EN: 0
; COMPUTE_PGM_RSRC2:TIDIG_COMP_CNT: 0
	.section	.text._ZN2at6native12_GLOBAL__N_125multi_tensor_apply_kernelINS1_18TensorListMetadataILi3EEENS1_24BinaryOpListAlphaFunctorIaLi3ELi2ELi2EEEJNS0_7maximumIaEEaEEEvT_T0_DpT1_,"axG",@progbits,_ZN2at6native12_GLOBAL__N_125multi_tensor_apply_kernelINS1_18TensorListMetadataILi3EEENS1_24BinaryOpListAlphaFunctorIaLi3ELi2ELi2EEEJNS0_7maximumIaEEaEEEvT_T0_DpT1_,comdat
	.globl	_ZN2at6native12_GLOBAL__N_125multi_tensor_apply_kernelINS1_18TensorListMetadataILi3EEENS1_24BinaryOpListAlphaFunctorIaLi3ELi2ELi2EEEJNS0_7maximumIaEEaEEEvT_T0_DpT1_ ; -- Begin function _ZN2at6native12_GLOBAL__N_125multi_tensor_apply_kernelINS1_18TensorListMetadataILi3EEENS1_24BinaryOpListAlphaFunctorIaLi3ELi2ELi2EEEJNS0_7maximumIaEEaEEEvT_T0_DpT1_
	.p2align	8
	.type	_ZN2at6native12_GLOBAL__N_125multi_tensor_apply_kernelINS1_18TensorListMetadataILi3EEENS1_24BinaryOpListAlphaFunctorIaLi3ELi2ELi2EEEJNS0_7maximumIaEEaEEEvT_T0_DpT1_,@function
_ZN2at6native12_GLOBAL__N_125multi_tensor_apply_kernelINS1_18TensorListMetadataILi3EEENS1_24BinaryOpListAlphaFunctorIaLi3ELi2ELi2EEEJNS0_7maximumIaEEaEEEvT_T0_DpT1_: ; @_ZN2at6native12_GLOBAL__N_125multi_tensor_apply_kernelINS1_18TensorListMetadataILi3EEENS1_24BinaryOpListAlphaFunctorIaLi3ELi2ELi2EEEJNS0_7maximumIaEEaEEEvT_T0_DpT1_
; %bb.0:
	v_mov_b32_e32 v1, s15
	s_add_u32 s2, s0, s15
	s_mul_hi_u32 s3, s15, 3
	s_mul_i32 s15, s15, 3
	s_addc_u32 s4, s1, 0
	global_load_u8 v1, v1, s[0:1] offset:1536
	s_add_u32 s2, s2, s15
	s_addc_u32 s3, s4, s3
	s_load_b32 s2, s[2:3], 0x740
	s_waitcnt vmcnt(0)
	v_readfirstlane_b32 s3, v1
	s_delay_alu instid0(VALU_DEP_1)
	s_lshl_b32 s3, s3, 3
	s_clause 0x3
	s_load_b64 s[8:9], s[0:1], s3 offset:0x0
	s_load_b64 s[10:11], s[0:1], s3 offset:0x180
	;; [unrolled: 1-line block ×4, first 2 shown]
	s_waitcnt lgkmcnt(0)
	s_ashr_i32 s3, s2, 31
	s_delay_alu instid0(SALU_CYCLE_1)
	s_lshl_b64 s[14:15], s[2:3], 16
	s_load_b32 s3, s[0:1], 0xc48
	s_add_u32 s6, s8, s14
	s_addc_u32 s7, s9, s15
	s_add_u32 s16, s10, s14
	s_addc_u32 s17, s11, s15
	;; [unrolled: 2-line block ×3, first 2 shown]
	s_or_b32 s2, s18, s16
	s_delay_alu instid0(SALU_CYCLE_1) | instskip(NEXT) | instid1(SALU_CYCLE_1)
	s_and_b32 s2, s2, 3
	s_cmp_lg_u32 s2, 0
	s_cselect_b32 s2, -1, 0
	s_sub_u32 s4, s20, s14
	s_subb_u32 s5, s21, s15
	s_or_b64 s[20:21], s[20:21], s[6:7]
	s_mov_b32 s21, 0
	s_and_b32 s20, s20, 3
	s_delay_alu instid0(SALU_CYCLE_1) | instskip(SKIP_1) | instid1(SALU_CYCLE_1)
	s_cmp_lg_u64 s[20:21], 0
	s_cselect_b32 s20, -1, 0
	s_or_b32 s2, s2, s20
	s_delay_alu instid0(SALU_CYCLE_1)
	s_and_not1_b32 vcc_lo, exec_lo, s2
	s_mov_b32 s2, -1
	s_cbranch_vccz .LBB124_5
; %bb.1:
	v_dual_mov_b32 v2, 0 :: v_dual_lshlrev_b32 v1, 2, v0
	s_mov_b32 s20, exec_lo
	s_delay_alu instid0(VALU_DEP_1)
	v_cmpx_gt_i64_e64 s[4:5], v[1:2]
	s_cbranch_execz .LBB124_4
; %bb.2:
	s_load_b32 s2, s[0:1], 0xc5c
	s_waitcnt lgkmcnt(0)
	s_lshr_b32 s23, s3, 16
	s_and_b32 s2, s2, 0xffff
	s_delay_alu instid0(SALU_CYCLE_1)
	s_lshl_b32 s22, s2, 2
.LBB124_3:                              ; =>This Inner Loop Header: Depth=1
	v_add_co_u32 v3, vcc_lo, s16, v1
	v_add_co_ci_u32_e32 v4, vcc_lo, s17, v2, vcc_lo
	v_add_co_u32 v5, vcc_lo, s6, v1
	v_add_co_ci_u32_e32 v6, vcc_lo, s7, v2, vcc_lo
	global_load_b32 v7, v[3:4], off
	global_load_b32 v5, v[5:6], off
	v_add_co_u32 v3, vcc_lo, s18, v1
	v_add_co_ci_u32_e32 v4, vcc_lo, s19, v2, vcc_lo
	v_add_co_u32 v1, vcc_lo, s22, v1
	v_add_co_ci_u32_e32 v2, vcc_lo, 0, v2, vcc_lo
	s_delay_alu instid0(VALU_DEP_1) | instskip(SKIP_1) | instid1(VALU_DEP_1)
	v_cmp_le_i64_e32 vcc_lo, s[4:5], v[1:2]
	v_cmp_lt_u64_e64 s2, 0xffff, v[1:2]
	s_or_b32 s2, vcc_lo, s2
	s_delay_alu instid0(SALU_CYCLE_1) | instskip(NEXT) | instid1(SALU_CYCLE_1)
	s_and_b32 s2, exec_lo, s2
	s_or_b32 s21, s2, s21
	s_waitcnt vmcnt(1)
	v_lshrrev_b32_e32 v10, 8, v7
	v_lshrrev_b32_e32 v12, 16, v7
	v_mul_lo_u16 v8, v7, s23
	s_waitcnt vmcnt(0)
	v_lshrrev_b32_e32 v9, 8, v5
	v_lshrrev_b32_e32 v11, 16, v5
	;; [unrolled: 1-line block ×3, first 2 shown]
	v_mul_lo_u16 v10, v10, s23
	v_mul_lo_u16 v12, v12, s23
	v_bfe_i32 v6, v5, 0, 8
	v_lshrrev_b32_e32 v5, 24, v5
	v_bfe_i32 v9, v9, 0, 8
	v_bfe_i32 v11, v11, 0, 8
	v_mul_lo_u16 v7, v7, s23
	v_bfe_i32 v10, v10, 0, 8
	v_bfe_i32 v12, v12, 0, 8
	;; [unrolled: 1-line block ×5, first 2 shown]
	v_max_i16 v9, v9, v10
	v_max_i16 v10, v11, v12
	;; [unrolled: 1-line block ×3, first 2 shown]
	s_delay_alu instid0(VALU_DEP_4) | instskip(NEXT) | instid1(VALU_DEP_4)
	v_max_i16 v5, v5, v7
	v_and_b32_e32 v7, 0xff, v9
	s_delay_alu instid0(VALU_DEP_4) | instskip(NEXT) | instid1(VALU_DEP_3)
	v_and_b32_e32 v8, 0xff, v10
	v_lshlrev_b32_e32 v5, 24, v5
	s_delay_alu instid0(VALU_DEP_3) | instskip(NEXT) | instid1(VALU_DEP_3)
	v_perm_b32 v6, v7, v6, 0x6050400
	v_lshlrev_b32_e32 v7, 16, v8
	s_delay_alu instid0(VALU_DEP_1)
	v_or3_b32 v5, v6, v7, v5
	global_store_b32 v[3:4], v5, off
	s_and_not1_b32 exec_lo, exec_lo, s21
	s_cbranch_execnz .LBB124_3
.LBB124_4:
	s_or_b32 exec_lo, exec_lo, s20
	s_mov_b32 s2, 0
.LBB124_5:
	s_delay_alu instid0(SALU_CYCLE_1)
	s_and_not1_b32 vcc_lo, exec_lo, s2
	s_cbranch_vccnz .LBB124_25
; %bb.6:
	v_cmp_lt_i64_e64 s2, s[4:5], 1
	s_delay_alu instid0(VALU_DEP_1)
	s_and_b32 vcc_lo, exec_lo, s2
	s_cbranch_vccnz .LBB124_25
; %bb.7:
	s_load_b32 s0, s[0:1], 0xc5c
	v_add_co_u32 v21, s1, s14, v0
	s_delay_alu instid0(VALU_DEP_1) | instskip(SKIP_1) | instid1(VALU_DEP_3)
	v_add_co_ci_u32_e64 v22, null, s15, 0, s1
	v_cmp_gt_u64_e64 s1, 0x10000, s[4:5]
	v_add_co_u32 v1, vcc_lo, s8, v21
	s_delay_alu instid0(VALU_DEP_3)
	v_add_co_ci_u32_e32 v2, vcc_lo, s9, v22, vcc_lo
	v_add_co_u32 v3, vcc_lo, s10, v21
	v_add_co_ci_u32_e32 v4, vcc_lo, s11, v22, vcc_lo
	v_add_co_u32 v5, vcc_lo, s12, v21
	v_add_co_ci_u32_e32 v6, vcc_lo, s13, v22, vcc_lo
	s_waitcnt lgkmcnt(0)
	s_and_b32 s0, s0, 0xffff
	s_and_b32 s1, s1, exec_lo
	s_mul_i32 s2, s0, 3
	s_cselect_b32 s7, s5, 0
	s_cselect_b32 s6, s4, 0x10000
	s_lshl_b32 s1, s0, 1
	s_lshl_b32 s16, s0, 2
	s_add_u32 s17, s14, s2
	s_addc_u32 s18, s15, 0
	v_add_co_u32 v11, s17, s17, v0
	s_delay_alu instid0(VALU_DEP_1) | instskip(SKIP_1) | instid1(VALU_DEP_2)
	v_add_co_ci_u32_e64 v12, null, s18, 0, s17
	s_add_u32 s14, s14, s1
	v_add_co_u32 v7, vcc_lo, s8, v11
	s_delay_alu instid0(VALU_DEP_2)
	v_add_co_ci_u32_e32 v8, vcc_lo, s9, v12, vcc_lo
	v_add_co_u32 v9, vcc_lo, s10, v11
	s_addc_u32 s15, s15, 0
	v_add_co_u32 v19, s14, s14, v0
	v_add_co_ci_u32_e32 v10, vcc_lo, s11, v12, vcc_lo
	v_add_co_u32 v11, vcc_lo, s12, v11
	v_add_co_ci_u32_e64 v20, null, s15, 0, s14
	v_add_co_ci_u32_e32 v12, vcc_lo, s13, v12, vcc_lo
	v_add_co_u32 v15, vcc_lo, s8, v19
	s_delay_alu instid0(VALU_DEP_3)
	v_add_co_ci_u32_e32 v16, vcc_lo, s9, v20, vcc_lo
	v_add_co_u32 v17, vcc_lo, s10, v19
	v_add_co_ci_u32_e32 v18, vcc_lo, s11, v20, vcc_lo
	v_add_co_u32 v19, vcc_lo, s12, v19
	;; [unrolled: 2-line block ×3, first 2 shown]
	v_add_co_ci_u32_e32 v28, vcc_lo, 0, v22, vcc_lo
	v_add_co_u32 v13, s2, s2, v0
	s_delay_alu instid0(VALU_DEP_3) | instskip(NEXT) | instid1(VALU_DEP_3)
	v_add_co_u32 v23, vcc_lo, s8, v27
	v_add_co_ci_u32_e32 v24, vcc_lo, s9, v28, vcc_lo
	v_add_co_u32 v25, vcc_lo, s10, v27
	v_add_co_ci_u32_e32 v26, vcc_lo, s11, v28, vcc_lo
	v_add_co_u32 v21, s1, s1, v0
	v_add_co_u32 v27, vcc_lo, s12, v27
	v_add_co_u32 v29, s0, v0, s0
	v_add_co_ci_u32_e64 v14, null, 0, 0, s2
	v_add_co_ci_u32_e64 v22, null, 0, 0, s1
	v_add_co_ci_u32_e32 v28, vcc_lo, s13, v28, vcc_lo
	v_add_co_ci_u32_e64 v30, null, 0, 0, s0
	s_mov_b64 s[8:9], 0
	s_lshr_b32 s10, s3, 16
	s_branch .LBB124_9
.LBB124_8:                              ;   in Loop: Header=BB124_9 Depth=1
	s_or_b32 exec_lo, exec_lo, s0
	s_add_u32 s8, s8, s16
	s_addc_u32 s9, s9, 0
	s_delay_alu instid0(SALU_CYCLE_1) | instskip(SKIP_1) | instid1(VALU_DEP_1)
	v_cmp_ge_i64_e64 s0, s[8:9], s[4:5]
	v_cmp_lt_u64_e64 s1, 0xffff, s[8:9]
	s_or_b32 s0, s0, s1
	s_delay_alu instid0(SALU_CYCLE_1)
	s_and_b32 vcc_lo, exec_lo, s0
	s_cbranch_vccnz .LBB124_25
.LBB124_9:                              ; =>This Inner Loop Header: Depth=1
	s_waitcnt vmcnt(0)
	v_add_co_u32 v33, s0, v0, s8
	s_delay_alu instid0(VALU_DEP_1) | instskip(SKIP_1) | instid1(VALU_DEP_2)
	v_add_co_ci_u32_e64 v34, null, 0, s9, s0
	v_dual_mov_b32 v32, 0 :: v_dual_mov_b32 v31, 0
	v_cmp_gt_u64_e32 vcc_lo, s[6:7], v[33:34]
	v_mov_b32_e32 v33, 0
	s_and_saveexec_b32 s1, vcc_lo
	s_cbranch_execz .LBB124_11
; %bb.10:                               ;   in Loop: Header=BB124_9 Depth=1
	v_add_co_u32 v33, s0, v1, s8
	s_delay_alu instid0(VALU_DEP_1) | instskip(SKIP_1) | instid1(VALU_DEP_1)
	v_add_co_ci_u32_e64 v34, s0, s9, v2, s0
	v_add_co_u32 v35, s0, v3, s8
	v_add_co_ci_u32_e64 v36, s0, s9, v4, s0
	global_load_u8 v31, v[33:34], off
	global_load_u8 v33, v[35:36], off
.LBB124_11:                             ;   in Loop: Header=BB124_9 Depth=1
	s_or_b32 exec_lo, exec_lo, s1
	v_add_co_u32 v34, s0, v29, s8
	s_delay_alu instid0(VALU_DEP_1) | instskip(NEXT) | instid1(VALU_DEP_1)
	v_add_co_ci_u32_e64 v35, s0, s9, v30, s0
	v_cmp_gt_u64_e64 s0, s[6:7], v[34:35]
	s_delay_alu instid0(VALU_DEP_1)
	s_and_saveexec_b32 s2, s0
	s_cbranch_execz .LBB124_13
; %bb.12:                               ;   in Loop: Header=BB124_9 Depth=1
	v_add_co_u32 v34, s1, v23, s8
	s_delay_alu instid0(VALU_DEP_1) | instskip(SKIP_2) | instid1(VALU_DEP_1)
	v_add_co_ci_u32_e64 v35, s1, s9, v24, s1
	global_load_u8 v36, v[34:35], off
	v_add_co_u32 v34, s1, v25, s8
	v_add_co_ci_u32_e64 v35, s1, s9, v26, s1
	global_load_u8 v32, v[34:35], off
	s_waitcnt vmcnt(1)
	v_lshl_or_b32 v31, v36, 8, v31
.LBB124_13:                             ;   in Loop: Header=BB124_9 Depth=1
	s_or_b32 exec_lo, exec_lo, s2
	v_add_co_u32 v34, s1, v21, s8
	s_delay_alu instid0(VALU_DEP_1) | instskip(NEXT) | instid1(VALU_DEP_1)
	v_add_co_ci_u32_e64 v35, s1, s9, v22, s1
	v_cmp_gt_u64_e64 s1, s[6:7], v[34:35]
	v_dual_mov_b32 v34, 0 :: v_dual_mov_b32 v35, 0
	s_delay_alu instid0(VALU_DEP_2)
	s_and_saveexec_b32 s3, s1
	s_cbranch_execz .LBB124_15
; %bb.14:                               ;   in Loop: Header=BB124_9 Depth=1
	v_add_co_u32 v35, s2, v15, s8
	s_delay_alu instid0(VALU_DEP_1) | instskip(SKIP_2) | instid1(VALU_DEP_1)
	v_add_co_ci_u32_e64 v36, s2, s9, v16, s2
	global_load_u8 v37, v[35:36], off
	v_add_co_u32 v35, s2, v17, s8
	v_add_co_ci_u32_e64 v36, s2, s9, v18, s2
	global_load_u8 v35, v[35:36], off
	s_waitcnt vmcnt(1)
	v_lshl_or_b32 v31, v37, 16, v31
.LBB124_15:                             ;   in Loop: Header=BB124_9 Depth=1
	s_or_b32 exec_lo, exec_lo, s3
	v_add_co_u32 v36, s2, v13, s8
	s_delay_alu instid0(VALU_DEP_1) | instskip(NEXT) | instid1(VALU_DEP_1)
	v_add_co_ci_u32_e64 v37, s2, s9, v14, s2
	v_cmp_gt_u64_e64 s2, s[6:7], v[36:37]
	s_delay_alu instid0(VALU_DEP_1)
	s_and_saveexec_b32 s11, s2
	s_cbranch_execnz .LBB124_20
; %bb.16:                               ;   in Loop: Header=BB124_9 Depth=1
	s_or_b32 exec_lo, exec_lo, s11
	s_and_saveexec_b32 s3, vcc_lo
	s_cbranch_execnz .LBB124_21
.LBB124_17:                             ;   in Loop: Header=BB124_9 Depth=1
	s_or_b32 exec_lo, exec_lo, s3
	s_and_saveexec_b32 s3, s0
	s_cbranch_execnz .LBB124_22
.LBB124_18:                             ;   in Loop: Header=BB124_9 Depth=1
	s_or_b32 exec_lo, exec_lo, s3
	s_and_saveexec_b32 s0, s1
	s_cbranch_execnz .LBB124_23
.LBB124_19:                             ;   in Loop: Header=BB124_9 Depth=1
	s_or_b32 exec_lo, exec_lo, s0
	s_and_saveexec_b32 s0, s2
	s_cbranch_execz .LBB124_8
	s_branch .LBB124_24
.LBB124_20:                             ;   in Loop: Header=BB124_9 Depth=1
	v_add_co_u32 v36, s3, v7, s8
	s_delay_alu instid0(VALU_DEP_1) | instskip(SKIP_2) | instid1(VALU_DEP_1)
	v_add_co_ci_u32_e64 v37, s3, s9, v8, s3
	global_load_u8 v38, v[36:37], off
	v_add_co_u32 v36, s3, v9, s8
	v_add_co_ci_u32_e64 v37, s3, s9, v10, s3
	global_load_u8 v34, v[36:37], off
	s_waitcnt vmcnt(1)
	v_lshl_or_b32 v31, v38, 24, v31
	s_or_b32 exec_lo, exec_lo, s11
	s_and_saveexec_b32 s3, vcc_lo
	s_cbranch_execz .LBB124_17
.LBB124_21:                             ;   in Loop: Header=BB124_9 Depth=1
	s_waitcnt vmcnt(0)
	v_mul_lo_u16 v33, v33, s10
	v_bfe_i32 v36, v31, 0, 8
	s_delay_alu instid0(VALU_DEP_2) | instskip(NEXT) | instid1(VALU_DEP_1)
	v_bfe_i32 v33, v33, 0, 8
	v_max_i16 v33, v36, v33
	v_add_co_u32 v36, vcc_lo, v5, s8
	v_add_co_ci_u32_e32 v37, vcc_lo, s9, v6, vcc_lo
	global_store_b8 v[36:37], v33, off
	s_or_b32 exec_lo, exec_lo, s3
	s_and_saveexec_b32 s3, s0
	s_cbranch_execz .LBB124_18
.LBB124_22:                             ;   in Loop: Header=BB124_9 Depth=1
	s_waitcnt vmcnt(0)
	v_lshrrev_b32_e32 v33, 8, v31
	v_mul_lo_u16 v32, v32, s10
	s_delay_alu instid0(VALU_DEP_2) | instskip(NEXT) | instid1(VALU_DEP_2)
	v_bfe_i32 v33, v33, 0, 8
	v_bfe_i32 v32, v32, 0, 8
	s_delay_alu instid0(VALU_DEP_1)
	v_max_i16 v36, v33, v32
	v_add_co_u32 v32, vcc_lo, v27, s8
	v_add_co_ci_u32_e32 v33, vcc_lo, s9, v28, vcc_lo
	global_store_b8 v[32:33], v36, off
	s_or_b32 exec_lo, exec_lo, s3
	s_and_saveexec_b32 s0, s1
	s_cbranch_execz .LBB124_19
.LBB124_23:                             ;   in Loop: Header=BB124_9 Depth=1
	s_waitcnt vmcnt(0)
	v_lshrrev_b32_e32 v32, 16, v31
	v_mul_lo_u16 v33, v35, s10
	s_delay_alu instid0(VALU_DEP_2) | instskip(NEXT) | instid1(VALU_DEP_2)
	v_bfe_i32 v32, v32, 0, 8
	v_bfe_i32 v33, v33, 0, 8
	s_delay_alu instid0(VALU_DEP_1)
	v_max_i16 v35, v32, v33
	v_add_co_u32 v32, vcc_lo, v19, s8
	v_add_co_ci_u32_e32 v33, vcc_lo, s9, v20, vcc_lo
	global_store_b8 v[32:33], v35, off
	s_or_b32 exec_lo, exec_lo, s0
	s_and_saveexec_b32 s0, s2
	s_cbranch_execz .LBB124_8
.LBB124_24:                             ;   in Loop: Header=BB124_9 Depth=1
	s_waitcnt vmcnt(1)
	v_lshrrev_b32_e32 v31, 24, v31
	s_waitcnt vmcnt(0)
	v_mul_lo_u16 v32, v34, s10
	s_delay_alu instid0(VALU_DEP_2) | instskip(NEXT) | instid1(VALU_DEP_2)
	v_bfe_i32 v31, v31, 0, 8
	v_bfe_i32 v32, v32, 0, 8
	s_delay_alu instid0(VALU_DEP_1)
	v_max_i16 v33, v31, v32
	v_add_co_u32 v31, vcc_lo, v11, s8
	v_add_co_ci_u32_e32 v32, vcc_lo, s9, v12, vcc_lo
	global_store_b8 v[31:32], v33, off
	s_branch .LBB124_8
.LBB124_25:
	s_nop 0
	s_sendmsg sendmsg(MSG_DEALLOC_VGPRS)
	s_endpgm
	.section	.rodata,"a",@progbits
	.p2align	6, 0x0
	.amdhsa_kernel _ZN2at6native12_GLOBAL__N_125multi_tensor_apply_kernelINS1_18TensorListMetadataILi3EEENS1_24BinaryOpListAlphaFunctorIaLi3ELi2ELi2EEEJNS0_7maximumIaEEaEEEvT_T0_DpT1_
		.amdhsa_group_segment_fixed_size 0
		.amdhsa_private_segment_fixed_size 0
		.amdhsa_kernarg_size 3408
		.amdhsa_user_sgpr_count 15
		.amdhsa_user_sgpr_dispatch_ptr 0
		.amdhsa_user_sgpr_queue_ptr 0
		.amdhsa_user_sgpr_kernarg_segment_ptr 1
		.amdhsa_user_sgpr_dispatch_id 0
		.amdhsa_user_sgpr_private_segment_size 0
		.amdhsa_wavefront_size32 1
		.amdhsa_uses_dynamic_stack 0
		.amdhsa_enable_private_segment 0
		.amdhsa_system_sgpr_workgroup_id_x 1
		.amdhsa_system_sgpr_workgroup_id_y 0
		.amdhsa_system_sgpr_workgroup_id_z 0
		.amdhsa_system_sgpr_workgroup_info 0
		.amdhsa_system_vgpr_workitem_id 0
		.amdhsa_next_free_vgpr 39
		.amdhsa_next_free_sgpr 24
		.amdhsa_reserve_vcc 1
		.amdhsa_float_round_mode_32 0
		.amdhsa_float_round_mode_16_64 0
		.amdhsa_float_denorm_mode_32 3
		.amdhsa_float_denorm_mode_16_64 3
		.amdhsa_dx10_clamp 1
		.amdhsa_ieee_mode 1
		.amdhsa_fp16_overflow 0
		.amdhsa_workgroup_processor_mode 1
		.amdhsa_memory_ordered 1
		.amdhsa_forward_progress 0
		.amdhsa_shared_vgpr_count 0
		.amdhsa_exception_fp_ieee_invalid_op 0
		.amdhsa_exception_fp_denorm_src 0
		.amdhsa_exception_fp_ieee_div_zero 0
		.amdhsa_exception_fp_ieee_overflow 0
		.amdhsa_exception_fp_ieee_underflow 0
		.amdhsa_exception_fp_ieee_inexact 0
		.amdhsa_exception_int_div_zero 0
	.end_amdhsa_kernel
	.section	.text._ZN2at6native12_GLOBAL__N_125multi_tensor_apply_kernelINS1_18TensorListMetadataILi3EEENS1_24BinaryOpListAlphaFunctorIaLi3ELi2ELi2EEEJNS0_7maximumIaEEaEEEvT_T0_DpT1_,"axG",@progbits,_ZN2at6native12_GLOBAL__N_125multi_tensor_apply_kernelINS1_18TensorListMetadataILi3EEENS1_24BinaryOpListAlphaFunctorIaLi3ELi2ELi2EEEJNS0_7maximumIaEEaEEEvT_T0_DpT1_,comdat
.Lfunc_end124:
	.size	_ZN2at6native12_GLOBAL__N_125multi_tensor_apply_kernelINS1_18TensorListMetadataILi3EEENS1_24BinaryOpListAlphaFunctorIaLi3ELi2ELi2EEEJNS0_7maximumIaEEaEEEvT_T0_DpT1_, .Lfunc_end124-_ZN2at6native12_GLOBAL__N_125multi_tensor_apply_kernelINS1_18TensorListMetadataILi3EEENS1_24BinaryOpListAlphaFunctorIaLi3ELi2ELi2EEEJNS0_7maximumIaEEaEEEvT_T0_DpT1_
                                        ; -- End function
	.section	.AMDGPU.csdata,"",@progbits
; Kernel info:
; codeLenInByte = 1884
; NumSgprs: 26
; NumVgprs: 39
; ScratchSize: 0
; MemoryBound: 0
; FloatMode: 240
; IeeeMode: 1
; LDSByteSize: 0 bytes/workgroup (compile time only)
; SGPRBlocks: 3
; VGPRBlocks: 4
; NumSGPRsForWavesPerEU: 26
; NumVGPRsForWavesPerEU: 39
; Occupancy: 16
; WaveLimiterHint : 0
; COMPUTE_PGM_RSRC2:SCRATCH_EN: 0
; COMPUTE_PGM_RSRC2:USER_SGPR: 15
; COMPUTE_PGM_RSRC2:TRAP_HANDLER: 0
; COMPUTE_PGM_RSRC2:TGID_X_EN: 1
; COMPUTE_PGM_RSRC2:TGID_Y_EN: 0
; COMPUTE_PGM_RSRC2:TGID_Z_EN: 0
; COMPUTE_PGM_RSRC2:TIDIG_COMP_CNT: 0
	.section	.text._ZN2at6native12_GLOBAL__N_125multi_tensor_apply_kernelINS1_18TensorListMetadataILi3EEENS1_24BinaryOpListAlphaFunctorIiLi3ELi2ELi2EEEJNS0_7maximumIiEEiEEEvT_T0_DpT1_,"axG",@progbits,_ZN2at6native12_GLOBAL__N_125multi_tensor_apply_kernelINS1_18TensorListMetadataILi3EEENS1_24BinaryOpListAlphaFunctorIiLi3ELi2ELi2EEEJNS0_7maximumIiEEiEEEvT_T0_DpT1_,comdat
	.globl	_ZN2at6native12_GLOBAL__N_125multi_tensor_apply_kernelINS1_18TensorListMetadataILi3EEENS1_24BinaryOpListAlphaFunctorIiLi3ELi2ELi2EEEJNS0_7maximumIiEEiEEEvT_T0_DpT1_ ; -- Begin function _ZN2at6native12_GLOBAL__N_125multi_tensor_apply_kernelINS1_18TensorListMetadataILi3EEENS1_24BinaryOpListAlphaFunctorIiLi3ELi2ELi2EEEJNS0_7maximumIiEEiEEEvT_T0_DpT1_
	.p2align	8
	.type	_ZN2at6native12_GLOBAL__N_125multi_tensor_apply_kernelINS1_18TensorListMetadataILi3EEENS1_24BinaryOpListAlphaFunctorIiLi3ELi2ELi2EEEJNS0_7maximumIiEEiEEEvT_T0_DpT1_,@function
_ZN2at6native12_GLOBAL__N_125multi_tensor_apply_kernelINS1_18TensorListMetadataILi3EEENS1_24BinaryOpListAlphaFunctorIiLi3ELi2ELi2EEEJNS0_7maximumIiEEiEEEvT_T0_DpT1_: ; @_ZN2at6native12_GLOBAL__N_125multi_tensor_apply_kernelINS1_18TensorListMetadataILi3EEENS1_24BinaryOpListAlphaFunctorIiLi3ELi2ELi2EEEJNS0_7maximumIiEEiEEEvT_T0_DpT1_
; %bb.0:
	v_mov_b32_e32 v1, s15
	s_add_u32 s2, s0, s15
	s_mul_hi_u32 s3, s15, 3
	s_mul_i32 s15, s15, 3
	s_addc_u32 s4, s1, 0
	global_load_u8 v1, v1, s[0:1] offset:1536
	s_load_b32 s16, s[0:1], 0xc4c
	s_add_u32 s2, s2, s15
	s_addc_u32 s3, s4, s3
	s_mov_b32 s25, 0
	s_load_b32 s2, s[2:3], 0x740
	s_mov_b32 s27, s25
	s_waitcnt vmcnt(0)
	v_readfirstlane_b32 s3, v1
	s_delay_alu instid0(VALU_DEP_1)
	s_lshl_b32 s3, s3, 3
	s_clause 0x3
	s_load_b64 s[10:11], s[0:1], s3 offset:0x0
	s_load_b64 s[12:13], s[0:1], s3 offset:0x180
	;; [unrolled: 1-line block ×4, first 2 shown]
	s_waitcnt lgkmcnt(0)
	s_ashr_i32 s3, s2, 31
	s_delay_alu instid0(SALU_CYCLE_1) | instskip(NEXT) | instid1(SALU_CYCLE_1)
	s_lshl_b64 s[4:5], s[2:3], 18
	s_add_u32 s8, s10, s4
	s_addc_u32 s9, s11, s5
	s_and_b32 s24, s8, 15
	s_add_u32 s17, s12, s4
	s_addc_u32 s18, s13, s5
	s_add_u32 s19, s14, s4
	s_addc_u32 s20, s15, s5
	s_or_b32 s6, s19, s17
	s_delay_alu instid0(SALU_CYCLE_1) | instskip(NEXT) | instid1(SALU_CYCLE_1)
	s_and_b32 s6, s6, 15
	s_cmp_lg_u32 s6, 0
	s_cselect_b32 s21, -1, 0
	s_lshl_b64 s[2:3], s[2:3], 16
	s_delay_alu instid0(SALU_CYCLE_1) | instskip(SKIP_2) | instid1(SALU_CYCLE_1)
	s_sub_u32 s6, s22, s2
	s_subb_u32 s7, s23, s3
	s_and_b32 s26, s22, 3
	s_or_b64 s[2:3], s[24:25], s[26:27]
	s_delay_alu instid0(SALU_CYCLE_1) | instskip(SKIP_1) | instid1(SALU_CYCLE_1)
	s_cmp_lg_u64 s[2:3], 0
	s_cselect_b32 s2, -1, 0
	s_or_b32 s2, s21, s2
	s_delay_alu instid0(SALU_CYCLE_1)
	s_and_not1_b32 vcc_lo, exec_lo, s2
	s_mov_b32 s2, -1
	s_cbranch_vccz .LBB125_5
; %bb.1:
	v_dual_mov_b32 v2, 0 :: v_dual_lshlrev_b32 v1, 2, v0
	s_mov_b32 s21, exec_lo
	s_delay_alu instid0(VALU_DEP_1)
	v_cmpx_gt_i64_e64 s[6:7], v[1:2]
	s_cbranch_execz .LBB125_4
; %bb.2:
	s_load_b32 s2, s[0:1], 0xc5c
	v_lshlrev_b32_e32 v3, 4, v0
	s_mov_b32 s22, 0
	s_waitcnt lgkmcnt(0)
	s_and_b32 s2, s2, 0xffff
	s_delay_alu instid0(SALU_CYCLE_1)
	v_add_lshl_u32 v1, v0, s2, 2
	s_lshl_b32 s23, s2, 2
	s_lshl_b32 s24, s2, 4
.LBB125_3:                              ; =>This Inner Loop Header: Depth=1
	v_add_co_u32 v4, s2, s17, v3
	s_delay_alu instid0(VALU_DEP_1) | instskip(SKIP_1) | instid1(VALU_DEP_1)
	v_add_co_ci_u32_e64 v5, null, s18, 0, s2
	v_add_co_u32 v8, s2, s8, v3
	v_add_co_ci_u32_e64 v9, null, s9, 0, s2
	global_load_b128 v[4:7], v[4:5], off
	v_cmp_le_i64_e32 vcc_lo, s[6:7], v[1:2]
	v_cmp_lt_u64_e64 s2, 0xffff, v[1:2]
	global_load_b128 v[8:11], v[8:9], off
	v_add_co_u32 v12, s3, s19, v3
	s_delay_alu instid0(VALU_DEP_1)
	v_add_co_ci_u32_e64 v13, null, s20, 0, s3
	s_or_b32 s2, vcc_lo, s2
	s_add_u32 s8, s8, s24
	s_addc_u32 s9, s9, 0
	s_add_u32 s19, s19, s24
	v_add_co_u32 v1, s3, v1, s23
	s_addc_u32 s20, s20, 0
	s_add_u32 s17, s17, s24
	v_add_co_ci_u32_e64 v2, s3, 0, v2, s3
	s_addc_u32 s18, s18, 0
	s_and_b32 s2, exec_lo, s2
	s_delay_alu instid0(SALU_CYCLE_1)
	s_or_b32 s22, s2, s22
	s_waitcnt vmcnt(1)
	v_mul_lo_u32 v4, v4, s16
	v_mul_lo_u32 v5, v5, s16
	;; [unrolled: 1-line block ×4, first 2 shown]
	s_waitcnt vmcnt(0)
	s_delay_alu instid0(VALU_DEP_4) | instskip(NEXT) | instid1(VALU_DEP_4)
	v_max_i32_e32 v4, v8, v4
	v_max_i32_e32 v5, v9, v5
	s_delay_alu instid0(VALU_DEP_4) | instskip(NEXT) | instid1(VALU_DEP_4)
	v_max_i32_e32 v6, v10, v6
	v_max_i32_e32 v7, v11, v7
	global_store_b128 v[12:13], v[4:7], off
	s_and_not1_b32 exec_lo, exec_lo, s22
	s_cbranch_execnz .LBB125_3
.LBB125_4:
	s_or_b32 exec_lo, exec_lo, s21
	s_mov_b32 s2, 0
.LBB125_5:
	s_delay_alu instid0(SALU_CYCLE_1)
	s_and_not1_b32 vcc_lo, exec_lo, s2
	s_cbranch_vccnz .LBB125_25
; %bb.6:
	v_cmp_lt_i64_e64 s2, s[6:7], 1
	s_delay_alu instid0(VALU_DEP_1)
	s_and_b32 vcc_lo, exec_lo, s2
	s_cbranch_vccnz .LBB125_25
; %bb.7:
	s_load_b32 s0, s[0:1], 0xc5c
	v_dual_mov_b32 v14, 0 :: v_dual_lshlrev_b32 v13, 2, v0
	v_cmp_gt_u64_e64 s1, 0x10000, s[6:7]
	s_delay_alu instid0(VALU_DEP_2) | instskip(NEXT) | instid1(VALU_DEP_1)
	v_add_co_u32 v1, s2, s10, v13
	v_add_co_ci_u32_e64 v2, null, s11, 0, s2
	v_add_co_u32 v3, s2, s12, v13
	s_delay_alu instid0(VALU_DEP_1) | instskip(SKIP_1) | instid1(VALU_DEP_1)
	v_add_co_ci_u32_e64 v4, null, s13, 0, s2
	v_add_co_u32 v5, s2, s14, v13
	v_add_co_ci_u32_e64 v6, null, s15, 0, s2
	s_waitcnt lgkmcnt(0)
	s_and_b32 s0, s0, 0xffff
	s_and_b32 s1, s1, exec_lo
	v_mad_u64_u32 v[11:12], null, s0, 12, v[13:14]
	s_cselect_b32 s9, s7, 0
	s_cselect_b32 s8, s6, 0x10000
	s_mul_i32 s2, s0, 3
	s_lshl_b32 s3, s0, 3
	s_lshl_b32 s1, s0, 1
	v_add_co_u32 v20, s3, s3, v13
	v_add_co_u32 v13, s2, s2, v0
	v_add_co_u32 v7, vcc_lo, s10, v11
	v_add_co_ci_u32_e64 v14, null, 0, 0, s2
	v_add_co_u32 v19, s2, v0, s0
	v_add_co_ci_u32_e32 v8, vcc_lo, s11, v12, vcc_lo
	v_add_co_u32 v9, vcc_lo, s12, v11
	v_add_co_ci_u32_e32 v10, vcc_lo, s13, v12, vcc_lo
	v_add_co_u32 v11, vcc_lo, s14, v11
	v_add_co_ci_u32_e64 v21, null, 0, 0, s3
	v_lshlrev_b32_e32 v29, 2, v19
	v_add_co_ci_u32_e32 v12, vcc_lo, s15, v12, vcc_lo
	v_add_co_u32 v15, vcc_lo, s10, v20
	v_add_co_u32 v23, s1, s1, v0
	v_add_co_ci_u32_e32 v16, vcc_lo, s11, v21, vcc_lo
	v_add_co_ci_u32_e64 v24, null, 0, 0, s1
	v_add_co_u32 v25, s1, s10, v29
	v_add_co_u32 v17, vcc_lo, s12, v20
	v_add_co_ci_u32_e64 v26, null, s11, 0, s1
	v_add_co_u32 v27, s1, s12, v29
	v_add_co_ci_u32_e32 v18, vcc_lo, s13, v21, vcc_lo
	v_add_co_u32 v20, vcc_lo, s14, v20
	v_add_co_ci_u32_e64 v28, null, s13, 0, s1
	v_add_co_u32 v29, s1, s14, v29
	v_add_co_ci_u32_e32 v21, vcc_lo, s15, v21, vcc_lo
	v_add_co_ci_u32_e64 v22, null, 0, 0, s2
	v_add_co_ci_u32_e64 v30, null, s15, 0, s1
	s_lshl_b32 s12, s0, 2
	s_lshl_b32 s13, s0, 4
	s_mov_b64 s[10:11], 0
	s_branch .LBB125_9
.LBB125_8:                              ;   in Loop: Header=BB125_9 Depth=1
	s_or_b32 exec_lo, exec_lo, s0
	v_add_co_u32 v1, vcc_lo, v1, s13
	v_add_co_ci_u32_e32 v2, vcc_lo, 0, v2, vcc_lo
	v_add_co_u32 v3, vcc_lo, v3, s13
	v_add_co_ci_u32_e32 v4, vcc_lo, 0, v4, vcc_lo
	;; [unrolled: 2-line block ×9, first 2 shown]
	s_add_u32 s10, s10, s12
	v_add_co_u32 v25, vcc_lo, v25, s13
	s_addc_u32 s11, s11, 0
	v_add_co_ci_u32_e32 v26, vcc_lo, 0, v26, vcc_lo
	v_cmp_ge_i64_e64 s0, s[10:11], s[6:7]
	v_cmp_lt_u64_e64 s1, 0xffff, s[10:11]
	v_add_co_u32 v27, vcc_lo, v27, s13
	v_add_co_ci_u32_e32 v28, vcc_lo, 0, v28, vcc_lo
	v_add_co_u32 v29, vcc_lo, v29, s13
	v_add_co_ci_u32_e32 v30, vcc_lo, 0, v30, vcc_lo
	s_or_b32 s0, s0, s1
	s_delay_alu instid0(SALU_CYCLE_1)
	s_and_b32 vcc_lo, exec_lo, s0
	s_cbranch_vccnz .LBB125_25
.LBB125_9:                              ; =>This Inner Loop Header: Depth=1
	s_waitcnt vmcnt(1)
	v_add_co_u32 v31, s0, v0, s10
	s_waitcnt vmcnt(0)
	v_add_co_ci_u32_e64 v32, null, 0, s11, s0
	s_delay_alu instid0(VALU_DEP_1)
	v_cmp_gt_u64_e32 vcc_lo, s[8:9], v[31:32]
	v_dual_mov_b32 v31, 0 :: v_dual_mov_b32 v32, 0
	s_and_saveexec_b32 s1, vcc_lo
	s_cbranch_execz .LBB125_11
; %bb.10:                               ;   in Loop: Header=BB125_9 Depth=1
	v_add_co_u32 v31, s0, v1, s4
	s_delay_alu instid0(VALU_DEP_1) | instskip(SKIP_1) | instid1(VALU_DEP_1)
	v_add_co_ci_u32_e64 v32, s0, s5, v2, s0
	v_add_co_u32 v33, s0, v3, s4
	v_add_co_ci_u32_e64 v34, s0, s5, v4, s0
	global_load_b32 v31, v[31:32], off
	global_load_b32 v32, v[33:34], off
.LBB125_11:                             ;   in Loop: Header=BB125_9 Depth=1
	s_or_b32 exec_lo, exec_lo, s1
	v_add_co_u32 v34, s0, v19, s10
	s_delay_alu instid0(VALU_DEP_1) | instskip(SKIP_1) | instid1(VALU_DEP_2)
	v_add_co_ci_u32_e64 v35, s0, s11, v22, s0
	v_mov_b32_e32 v33, 0
	v_cmp_gt_u64_e64 s0, s[8:9], v[34:35]
	v_dual_mov_b32 v34, 0 :: v_dual_mov_b32 v35, 0
	s_delay_alu instid0(VALU_DEP_2)
	s_and_saveexec_b32 s2, s0
	s_cbranch_execz .LBB125_13
; %bb.12:                               ;   in Loop: Header=BB125_9 Depth=1
	v_add_co_u32 v34, s1, v25, s4
	s_delay_alu instid0(VALU_DEP_1) | instskip(SKIP_1) | instid1(VALU_DEP_1)
	v_add_co_ci_u32_e64 v35, s1, s5, v26, s1
	v_add_co_u32 v36, s1, v27, s4
	v_add_co_ci_u32_e64 v37, s1, s5, v28, s1
	global_load_b32 v34, v[34:35], off
	global_load_b32 v35, v[36:37], off
.LBB125_13:                             ;   in Loop: Header=BB125_9 Depth=1
	s_or_b32 exec_lo, exec_lo, s2
	v_add_co_u32 v36, s1, v23, s10
	s_delay_alu instid0(VALU_DEP_1) | instskip(NEXT) | instid1(VALU_DEP_1)
	v_add_co_ci_u32_e64 v37, s1, s11, v24, s1
	v_cmp_gt_u64_e64 s1, s[8:9], v[36:37]
	v_mov_b32_e32 v36, 0
	s_delay_alu instid0(VALU_DEP_2)
	s_and_saveexec_b32 s3, s1
	s_cbranch_execz .LBB125_15
; %bb.14:                               ;   in Loop: Header=BB125_9 Depth=1
	v_add_co_u32 v36, s2, v15, s4
	s_delay_alu instid0(VALU_DEP_1) | instskip(SKIP_1) | instid1(VALU_DEP_1)
	v_add_co_ci_u32_e64 v37, s2, s5, v16, s2
	v_add_co_u32 v38, s2, v17, s4
	v_add_co_ci_u32_e64 v39, s2, s5, v18, s2
	global_load_b32 v33, v[36:37], off
	global_load_b32 v36, v[38:39], off
.LBB125_15:                             ;   in Loop: Header=BB125_9 Depth=1
	s_or_b32 exec_lo, exec_lo, s3
	v_add_co_u32 v37, s2, v13, s10
	s_delay_alu instid0(VALU_DEP_1) | instskip(NEXT) | instid1(VALU_DEP_1)
	v_add_co_ci_u32_e64 v38, s2, s11, v14, s2
	v_cmp_gt_u64_e64 s2, s[8:9], v[37:38]
	v_dual_mov_b32 v37, 0 :: v_dual_mov_b32 v38, 0
	s_delay_alu instid0(VALU_DEP_2)
	s_and_saveexec_b32 s14, s2
	s_cbranch_execnz .LBB125_20
; %bb.16:                               ;   in Loop: Header=BB125_9 Depth=1
	s_or_b32 exec_lo, exec_lo, s14
	s_and_saveexec_b32 s3, vcc_lo
	s_cbranch_execnz .LBB125_21
.LBB125_17:                             ;   in Loop: Header=BB125_9 Depth=1
	s_or_b32 exec_lo, exec_lo, s3
	s_and_saveexec_b32 s3, s0
	s_cbranch_execnz .LBB125_22
.LBB125_18:                             ;   in Loop: Header=BB125_9 Depth=1
	s_or_b32 exec_lo, exec_lo, s3
	s_and_saveexec_b32 s0, s1
	s_cbranch_execnz .LBB125_23
.LBB125_19:                             ;   in Loop: Header=BB125_9 Depth=1
	s_or_b32 exec_lo, exec_lo, s0
	s_and_saveexec_b32 s0, s2
	s_cbranch_execz .LBB125_8
	s_branch .LBB125_24
.LBB125_20:                             ;   in Loop: Header=BB125_9 Depth=1
	v_add_co_u32 v37, s3, v7, s4
	s_delay_alu instid0(VALU_DEP_1) | instskip(SKIP_1) | instid1(VALU_DEP_1)
	v_add_co_ci_u32_e64 v38, s3, s5, v8, s3
	v_add_co_u32 v39, s3, v9, s4
	v_add_co_ci_u32_e64 v40, s3, s5, v10, s3
	global_load_b32 v37, v[37:38], off
	global_load_b32 v38, v[39:40], off
	s_or_b32 exec_lo, exec_lo, s14
	s_and_saveexec_b32 s3, vcc_lo
	s_cbranch_execz .LBB125_17
.LBB125_21:                             ;   in Loop: Header=BB125_9 Depth=1
	s_waitcnt vmcnt(0)
	v_mul_lo_u32 v32, v32, s16
	v_add_co_u32 v39, vcc_lo, v5, s4
	v_add_co_ci_u32_e32 v40, vcc_lo, s5, v6, vcc_lo
	s_delay_alu instid0(VALU_DEP_3)
	v_max_i32_e32 v31, v31, v32
	global_store_b32 v[39:40], v31, off
	s_or_b32 exec_lo, exec_lo, s3
	s_and_saveexec_b32 s3, s0
	s_cbranch_execz .LBB125_18
.LBB125_22:                             ;   in Loop: Header=BB125_9 Depth=1
	s_waitcnt vmcnt(0)
	v_mul_lo_u32 v31, v35, s16
	s_delay_alu instid0(VALU_DEP_1)
	v_max_i32_e32 v34, v34, v31
	v_add_co_u32 v31, vcc_lo, v29, s4
	v_add_co_ci_u32_e32 v32, vcc_lo, s5, v30, vcc_lo
	global_store_b32 v[31:32], v34, off
	s_or_b32 exec_lo, exec_lo, s3
	s_and_saveexec_b32 s0, s1
	s_cbranch_execz .LBB125_19
.LBB125_23:                             ;   in Loop: Header=BB125_9 Depth=1
	s_waitcnt vmcnt(0)
	v_mul_lo_u32 v31, v36, s16
	s_delay_alu instid0(VALU_DEP_1)
	v_max_i32_e32 v33, v33, v31
	v_add_co_u32 v31, vcc_lo, v20, s4
	v_add_co_ci_u32_e32 v32, vcc_lo, s5, v21, vcc_lo
	global_store_b32 v[31:32], v33, off
	s_or_b32 exec_lo, exec_lo, s0
	s_and_saveexec_b32 s0, s2
	s_cbranch_execz .LBB125_8
.LBB125_24:                             ;   in Loop: Header=BB125_9 Depth=1
	s_waitcnt vmcnt(0)
	v_mul_lo_u32 v31, v38, s16
	s_delay_alu instid0(VALU_DEP_1)
	v_max_i32_e32 v33, v37, v31
	v_add_co_u32 v31, vcc_lo, v11, s4
	v_add_co_ci_u32_e32 v32, vcc_lo, s5, v12, vcc_lo
	global_store_b32 v[31:32], v33, off
	s_branch .LBB125_8
.LBB125_25:
	s_nop 0
	s_sendmsg sendmsg(MSG_DEALLOC_VGPRS)
	s_endpgm
	.section	.rodata,"a",@progbits
	.p2align	6, 0x0
	.amdhsa_kernel _ZN2at6native12_GLOBAL__N_125multi_tensor_apply_kernelINS1_18TensorListMetadataILi3EEENS1_24BinaryOpListAlphaFunctorIiLi3ELi2ELi2EEEJNS0_7maximumIiEEiEEEvT_T0_DpT1_
		.amdhsa_group_segment_fixed_size 0
		.amdhsa_private_segment_fixed_size 0
		.amdhsa_kernarg_size 3408
		.amdhsa_user_sgpr_count 15
		.amdhsa_user_sgpr_dispatch_ptr 0
		.amdhsa_user_sgpr_queue_ptr 0
		.amdhsa_user_sgpr_kernarg_segment_ptr 1
		.amdhsa_user_sgpr_dispatch_id 0
		.amdhsa_user_sgpr_private_segment_size 0
		.amdhsa_wavefront_size32 1
		.amdhsa_uses_dynamic_stack 0
		.amdhsa_enable_private_segment 0
		.amdhsa_system_sgpr_workgroup_id_x 1
		.amdhsa_system_sgpr_workgroup_id_y 0
		.amdhsa_system_sgpr_workgroup_id_z 0
		.amdhsa_system_sgpr_workgroup_info 0
		.amdhsa_system_vgpr_workitem_id 0
		.amdhsa_next_free_vgpr 41
		.amdhsa_next_free_sgpr 28
		.amdhsa_reserve_vcc 1
		.amdhsa_float_round_mode_32 0
		.amdhsa_float_round_mode_16_64 0
		.amdhsa_float_denorm_mode_32 3
		.amdhsa_float_denorm_mode_16_64 3
		.amdhsa_dx10_clamp 1
		.amdhsa_ieee_mode 1
		.amdhsa_fp16_overflow 0
		.amdhsa_workgroup_processor_mode 1
		.amdhsa_memory_ordered 1
		.amdhsa_forward_progress 0
		.amdhsa_shared_vgpr_count 0
		.amdhsa_exception_fp_ieee_invalid_op 0
		.amdhsa_exception_fp_denorm_src 0
		.amdhsa_exception_fp_ieee_div_zero 0
		.amdhsa_exception_fp_ieee_overflow 0
		.amdhsa_exception_fp_ieee_underflow 0
		.amdhsa_exception_fp_ieee_inexact 0
		.amdhsa_exception_int_div_zero 0
	.end_amdhsa_kernel
	.section	.text._ZN2at6native12_GLOBAL__N_125multi_tensor_apply_kernelINS1_18TensorListMetadataILi3EEENS1_24BinaryOpListAlphaFunctorIiLi3ELi2ELi2EEEJNS0_7maximumIiEEiEEEvT_T0_DpT1_,"axG",@progbits,_ZN2at6native12_GLOBAL__N_125multi_tensor_apply_kernelINS1_18TensorListMetadataILi3EEENS1_24BinaryOpListAlphaFunctorIiLi3ELi2ELi2EEEJNS0_7maximumIiEEiEEEvT_T0_DpT1_,comdat
.Lfunc_end125:
	.size	_ZN2at6native12_GLOBAL__N_125multi_tensor_apply_kernelINS1_18TensorListMetadataILi3EEENS1_24BinaryOpListAlphaFunctorIiLi3ELi2ELi2EEEJNS0_7maximumIiEEiEEEvT_T0_DpT1_, .Lfunc_end125-_ZN2at6native12_GLOBAL__N_125multi_tensor_apply_kernelINS1_18TensorListMetadataILi3EEENS1_24BinaryOpListAlphaFunctorIiLi3ELi2ELi2EEEJNS0_7maximumIiEEiEEEvT_T0_DpT1_
                                        ; -- End function
	.section	.AMDGPU.csdata,"",@progbits
; Kernel info:
; codeLenInByte = 1788
; NumSgprs: 30
; NumVgprs: 41
; ScratchSize: 0
; MemoryBound: 0
; FloatMode: 240
; IeeeMode: 1
; LDSByteSize: 0 bytes/workgroup (compile time only)
; SGPRBlocks: 3
; VGPRBlocks: 5
; NumSGPRsForWavesPerEU: 30
; NumVGPRsForWavesPerEU: 41
; Occupancy: 16
; WaveLimiterHint : 0
; COMPUTE_PGM_RSRC2:SCRATCH_EN: 0
; COMPUTE_PGM_RSRC2:USER_SGPR: 15
; COMPUTE_PGM_RSRC2:TRAP_HANDLER: 0
; COMPUTE_PGM_RSRC2:TGID_X_EN: 1
; COMPUTE_PGM_RSRC2:TGID_Y_EN: 0
; COMPUTE_PGM_RSRC2:TGID_Z_EN: 0
; COMPUTE_PGM_RSRC2:TIDIG_COMP_CNT: 0
	.section	.text._ZN2at6native12_GLOBAL__N_125multi_tensor_apply_kernelINS1_18TensorListMetadataILi3EEENS1_24BinaryOpListAlphaFunctorIlLi3ELi2ELi2EEEJNS0_7maximumIlEElEEEvT_T0_DpT1_,"axG",@progbits,_ZN2at6native12_GLOBAL__N_125multi_tensor_apply_kernelINS1_18TensorListMetadataILi3EEENS1_24BinaryOpListAlphaFunctorIlLi3ELi2ELi2EEEJNS0_7maximumIlEElEEEvT_T0_DpT1_,comdat
	.globl	_ZN2at6native12_GLOBAL__N_125multi_tensor_apply_kernelINS1_18TensorListMetadataILi3EEENS1_24BinaryOpListAlphaFunctorIlLi3ELi2ELi2EEEJNS0_7maximumIlEElEEEvT_T0_DpT1_ ; -- Begin function _ZN2at6native12_GLOBAL__N_125multi_tensor_apply_kernelINS1_18TensorListMetadataILi3EEENS1_24BinaryOpListAlphaFunctorIlLi3ELi2ELi2EEEJNS0_7maximumIlEElEEEvT_T0_DpT1_
	.p2align	8
	.type	_ZN2at6native12_GLOBAL__N_125multi_tensor_apply_kernelINS1_18TensorListMetadataILi3EEENS1_24BinaryOpListAlphaFunctorIlLi3ELi2ELi2EEEJNS0_7maximumIlEElEEEvT_T0_DpT1_,@function
_ZN2at6native12_GLOBAL__N_125multi_tensor_apply_kernelINS1_18TensorListMetadataILi3EEENS1_24BinaryOpListAlphaFunctorIlLi3ELi2ELi2EEEJNS0_7maximumIlEElEEEvT_T0_DpT1_: ; @_ZN2at6native12_GLOBAL__N_125multi_tensor_apply_kernelINS1_18TensorListMetadataILi3EEENS1_24BinaryOpListAlphaFunctorIlLi3ELi2ELi2EEEJNS0_7maximumIlEElEEEvT_T0_DpT1_
; %bb.0:
	v_mov_b32_e32 v1, s15
	s_add_u32 s2, s0, s15
	s_mul_hi_u32 s3, s15, 3
	s_mul_i32 s15, s15, 3
	s_addc_u32 s4, s1, 0
	global_load_u8 v1, v1, s[0:1] offset:1536
	s_add_u32 s2, s2, s15
	s_addc_u32 s3, s4, s3
	s_mov_b32 s25, 0
	s_load_b32 s2, s[2:3], 0x740
	s_mov_b32 s27, s25
	s_waitcnt vmcnt(0)
	v_readfirstlane_b32 s3, v1
	s_delay_alu instid0(VALU_DEP_1)
	s_lshl_b32 s3, s3, 3
	s_clause 0x3
	s_load_b64 s[12:13], s[0:1], s3 offset:0x0
	s_load_b64 s[14:15], s[0:1], s3 offset:0x180
	s_load_b64 s[16:17], s[0:1], s3 offset:0x300
	s_load_b64 s[10:11], s[0:1], s3 offset:0x480
	s_waitcnt lgkmcnt(0)
	s_ashr_i32 s3, s2, 31
	s_delay_alu instid0(SALU_CYCLE_1) | instskip(NEXT) | instid1(SALU_CYCLE_1)
	s_lshl_b64 s[6:7], s[2:3], 19
	s_add_u32 s5, s12, s6
	s_addc_u32 s18, s13, s7
	s_and_b32 s24, s5, 31
	s_add_u32 s19, s14, s6
	s_addc_u32 s20, s15, s7
	s_add_u32 s21, s16, s6
	s_addc_u32 s22, s17, s7
	s_or_b32 s4, s21, s19
	s_delay_alu instid0(SALU_CYCLE_1) | instskip(NEXT) | instid1(SALU_CYCLE_1)
	s_and_b32 s4, s4, 31
	s_cmp_lg_u32 s4, 0
	s_cselect_b32 s4, -1, 0
	s_lshl_b64 s[2:3], s[2:3], 16
	s_delay_alu instid0(SALU_CYCLE_1) | instskip(SKIP_4) | instid1(SALU_CYCLE_1)
	s_sub_u32 s8, s10, s2
	s_subb_u32 s9, s11, s3
	s_and_b32 s26, s10, 3
	s_load_b64 s[10:11], s[0:1], 0xc50
	s_or_b64 s[2:3], s[24:25], s[26:27]
	s_cmp_lg_u64 s[2:3], 0
	s_cselect_b32 s2, -1, 0
	s_delay_alu instid0(SALU_CYCLE_1) | instskip(NEXT) | instid1(SALU_CYCLE_1)
	s_or_b32 s2, s4, s2
	s_and_not1_b32 vcc_lo, exec_lo, s2
	s_mov_b32 s2, -1
	s_cbranch_vccz .LBB126_5
; %bb.1:
	v_dual_mov_b32 v2, 0 :: v_dual_lshlrev_b32 v1, 2, v0
	s_mov_b32 s23, exec_lo
	s_delay_alu instid0(VALU_DEP_1)
	v_cmpx_gt_i64_e64 s[8:9], v[1:2]
	s_cbranch_execz .LBB126_4
; %bb.2:
	s_load_b32 s2, s[0:1], 0xc64
	v_lshlrev_b32_e32 v3, 5, v0
	s_mov_b32 s24, 0
	s_waitcnt lgkmcnt(0)
	s_and_b32 s2, s2, 0xffff
	s_delay_alu instid0(SALU_CYCLE_1)
	v_add_lshl_u32 v1, v0, s2, 2
	s_lshl_b32 s25, s2, 2
	s_lshl_b32 s26, s2, 5
.LBB126_3:                              ; =>This Inner Loop Header: Depth=1
	v_add_co_u32 v8, s2, s19, v3
	s_delay_alu instid0(VALU_DEP_1) | instskip(SKIP_1) | instid1(VALU_DEP_1)
	v_add_co_ci_u32_e64 v9, null, s20, 0, s2
	v_add_co_u32 v16, s2, s5, v3
	v_add_co_ci_u32_e64 v17, null, s18, 0, s2
	s_clause 0x1
	global_load_b128 v[4:7], v[8:9], off
	global_load_b128 v[8:11], v[8:9], off offset:16
	s_clause 0x1
	global_load_b128 v[12:15], v[16:17], off
	global_load_b128 v[16:19], v[16:17], off offset:16
	v_cmp_le_i64_e32 vcc_lo, s[8:9], v[1:2]
	v_cmp_lt_u64_e64 s2, 0xffff, v[1:2]
	v_add_co_u32 v20, s3, s21, v3
	s_delay_alu instid0(VALU_DEP_1) | instskip(SKIP_1) | instid1(VALU_DEP_1)
	v_add_co_ci_u32_e64 v21, null, s22, 0, s3
	v_add_co_u32 v1, s3, v1, s25
	v_add_co_ci_u32_e64 v2, s3, 0, v2, s3
	s_or_b32 s27, vcc_lo, s2
	s_add_u32 s5, s5, s26
	s_addc_u32 s18, s18, 0
	s_add_u32 s21, s21, s26
	s_addc_u32 s22, s22, 0
	;; [unrolled: 2-line block ×3, first 2 shown]
	s_waitcnt vmcnt(3)
	v_mul_lo_u32 v5, v5, s10
	v_mul_lo_u32 v30, v4, s11
	v_mad_u64_u32 v[22:23], null, v4, s10, 0
	v_mul_lo_u32 v4, v7, s10
	v_mul_lo_u32 v7, v6, s11
	v_mad_u64_u32 v[24:25], null, v6, s10, 0
	s_waitcnt vmcnt(2)
	v_mul_lo_u32 v6, v9, s10
	v_mul_lo_u32 v9, v8, s11
	v_mad_u64_u32 v[26:27], null, v8, s10, 0
	v_mul_lo_u32 v8, v11, s10
	v_mul_lo_u32 v11, v10, s11
	v_mad_u64_u32 v[28:29], null, v10, s10, 0
	v_add3_u32 v23, v23, v30, v5
	v_add3_u32 v25, v25, v7, v4
	;; [unrolled: 1-line block ×3, first 2 shown]
	s_waitcnt vmcnt(1)
	s_delay_alu instid0(VALU_DEP_3) | instskip(SKIP_4) | instid1(VALU_DEP_3)
	v_cmp_gt_i64_e32 vcc_lo, v[12:13], v[22:23]
	v_add3_u32 v29, v29, v11, v8
	v_cmp_gt_i64_e64 s2, v[14:15], v[24:25]
	s_waitcnt vmcnt(0)
	v_cmp_gt_i64_e64 s3, v[16:17], v[26:27]
	v_cmp_gt_i64_e64 s4, v[18:19], v[28:29]
	v_dual_cndmask_b32 v5, v23, v13 :: v_dual_cndmask_b32 v4, v22, v12
	s_delay_alu instid0(VALU_DEP_4)
	v_cndmask_b32_e64 v7, v25, v15, s2
	v_cndmask_b32_e64 v6, v24, v14, s2
	;; [unrolled: 1-line block ×6, first 2 shown]
	s_and_b32 s2, exec_lo, s27
	s_clause 0x1
	global_store_b128 v[20:21], v[4:7], off
	global_store_b128 v[20:21], v[8:11], off offset:16
	s_or_b32 s24, s2, s24
	s_delay_alu instid0(SALU_CYCLE_1)
	s_and_not1_b32 exec_lo, exec_lo, s24
	s_cbranch_execnz .LBB126_3
.LBB126_4:
	s_or_b32 exec_lo, exec_lo, s23
	s_mov_b32 s2, 0
.LBB126_5:
	s_delay_alu instid0(SALU_CYCLE_1)
	s_and_not1_b32 vcc_lo, exec_lo, s2
	s_cbranch_vccnz .LBB126_25
; %bb.6:
	v_cmp_lt_i64_e64 s2, s[8:9], 1
	s_delay_alu instid0(VALU_DEP_1)
	s_and_b32 vcc_lo, exec_lo, s2
	s_cbranch_vccnz .LBB126_25
; %bb.7:
	s_load_b32 s0, s[0:1], 0xc64
	v_dual_mov_b32 v2, 0 :: v_dual_lshlrev_b32 v1, 3, v0
	v_cmp_gt_u64_e64 s1, 0x10000, s[8:9]
	s_delay_alu instid0(VALU_DEP_2) | instskip(NEXT) | instid1(VALU_DEP_1)
	v_add_co_u32 v17, s2, s12, v1
	v_add_co_ci_u32_e64 v18, null, s13, 0, s2
	v_add_co_u32 v19, s2, s14, v1
	s_delay_alu instid0(VALU_DEP_1) | instskip(SKIP_1) | instid1(VALU_DEP_1)
	v_add_co_ci_u32_e64 v20, null, s15, 0, s2
	v_add_co_u32 v21, s2, s16, v1
	v_add_co_ci_u32_e64 v22, null, s17, 0, s2
	s_waitcnt lgkmcnt(0)
	s_and_b32 s0, s0, 0xffff
	s_and_b32 s1, s1, exec_lo
	v_mad_u64_u32 v[3:4], null, s0, 24, v[1:2]
	s_cselect_b32 s5, s9, 0
	s_cselect_b32 s4, s8, 0x10000
	s_lshl_b32 s3, s0, 4
	s_mul_i32 s2, s0, 3
	v_add_co_u32 v1, s3, s3, v1
	s_delay_alu instid0(VALU_DEP_2) | instskip(NEXT) | instid1(VALU_DEP_3)
	v_add_co_u32 v23, vcc_lo, s12, v3
	v_add_co_ci_u32_e32 v24, vcc_lo, s13, v4, vcc_lo
	v_add_co_u32 v25, vcc_lo, s14, v3
	v_add_co_ci_u32_e32 v26, vcc_lo, s15, v4, vcc_lo
	v_add_co_u32 v27, vcc_lo, s16, v3
	v_add_co_ci_u32_e64 v2, null, 0, 0, s3
	v_add_co_ci_u32_e32 v28, vcc_lo, s17, v4, vcc_lo
	v_add_co_u32 v29, s2, s2, v0
	v_add_co_u32 v31, vcc_lo, s12, v1
	v_add_co_ci_u32_e64 v30, null, 0, 0, s2
	v_add_co_u32 v35, s2, v0, s0
	v_add_co_ci_u32_e32 v32, vcc_lo, s13, v2, vcc_lo
	v_add_co_u32 v33, vcc_lo, s14, v1
	v_add_co_ci_u32_e32 v34, vcc_lo, s15, v2, vcc_lo
	v_add_co_u32 v36, vcc_lo, s16, v1
	v_lshlrev_b32_e32 v1, 3, v35
	s_lshl_b32 s1, s0, 1
	v_add_co_ci_u32_e32 v37, vcc_lo, s17, v2, vcc_lo
	v_add_co_u32 v39, s1, s1, v0
	s_delay_alu instid0(VALU_DEP_1) | instskip(SKIP_1) | instid1(VALU_DEP_1)
	v_add_co_ci_u32_e64 v40, null, 0, 0, s1
	v_add_co_u32 v41, s1, s12, v1
	v_add_co_ci_u32_e64 v42, null, s13, 0, s1
	v_add_co_u32 v43, s1, s14, v1
	s_delay_alu instid0(VALU_DEP_1)
	v_add_co_ci_u32_e64 v44, null, s15, 0, s1
	v_add_co_u32 v45, s1, s16, v1
	v_add_co_ci_u32_e64 v38, null, 0, 0, s2
	v_add_co_ci_u32_e64 v46, null, s17, 0, s1
	s_lshl_b32 s14, s0, 2
	s_lshl_b32 s15, s0, 5
	s_mov_b64 s[12:13], 0
	s_branch .LBB126_9
.LBB126_8:                              ;   in Loop: Header=BB126_9 Depth=1
	s_or_b32 exec_lo, exec_lo, s0
	v_add_co_u32 v17, vcc_lo, v17, s15
	v_add_co_ci_u32_e32 v18, vcc_lo, 0, v18, vcc_lo
	v_add_co_u32 v19, vcc_lo, v19, s15
	v_add_co_ci_u32_e32 v20, vcc_lo, 0, v20, vcc_lo
	;; [unrolled: 2-line block ×9, first 2 shown]
	s_add_u32 s12, s12, s14
	v_add_co_u32 v41, vcc_lo, v41, s15
	s_addc_u32 s13, s13, 0
	v_add_co_ci_u32_e32 v42, vcc_lo, 0, v42, vcc_lo
	v_cmp_ge_i64_e64 s0, s[12:13], s[8:9]
	v_cmp_lt_u64_e64 s1, 0xffff, s[12:13]
	v_add_co_u32 v43, vcc_lo, v43, s15
	v_add_co_ci_u32_e32 v44, vcc_lo, 0, v44, vcc_lo
	v_add_co_u32 v45, vcc_lo, v45, s15
	v_add_co_ci_u32_e32 v46, vcc_lo, 0, v46, vcc_lo
	s_or_b32 s0, s0, s1
	s_delay_alu instid0(SALU_CYCLE_1)
	s_and_b32 vcc_lo, exec_lo, s0
	s_cbranch_vccnz .LBB126_25
.LBB126_9:                              ; =>This Inner Loop Header: Depth=1
	s_waitcnt vmcnt(1)
	v_add_co_u32 v3, s0, v0, s12
	s_delay_alu instid0(VALU_DEP_1) | instskip(SKIP_2) | instid1(VALU_DEP_3)
	v_add_co_ci_u32_e64 v4, null, 0, s13, s0
	v_mov_b32_e32 v1, 0
	v_mov_b32_e32 v2, 0
	v_cmp_gt_u64_e32 vcc_lo, s[4:5], v[3:4]
	s_delay_alu instid0(VALU_DEP_2)
	v_dual_mov_b32 v6, v2 :: v_dual_mov_b32 v5, v1
	s_waitcnt vmcnt(0)
	v_dual_mov_b32 v8, v2 :: v_dual_mov_b32 v7, v1
	s_and_saveexec_b32 s1, vcc_lo
	s_cbranch_execz .LBB126_11
; %bb.10:                               ;   in Loop: Header=BB126_9 Depth=1
	v_add_co_u32 v3, s0, v17, s6
	s_delay_alu instid0(VALU_DEP_1) | instskip(SKIP_1) | instid1(VALU_DEP_1)
	v_add_co_ci_u32_e64 v4, s0, s7, v18, s0
	v_add_co_u32 v7, s0, v19, s6
	v_add_co_ci_u32_e64 v8, s0, s7, v20, s0
	global_load_b64 v[5:6], v[3:4], off
	global_load_b64 v[7:8], v[7:8], off
.LBB126_11:                             ;   in Loop: Header=BB126_9 Depth=1
	s_or_b32 exec_lo, exec_lo, s1
	v_add_co_u32 v3, s0, v35, s12
	s_delay_alu instid0(VALU_DEP_1) | instskip(SKIP_1) | instid1(VALU_DEP_2)
	v_add_co_ci_u32_e64 v4, s0, s13, v38, s0
	v_dual_mov_b32 v10, v2 :: v_dual_mov_b32 v9, v1
	v_cmp_gt_u64_e64 s0, s[4:5], v[3:4]
	s_delay_alu instid0(VALU_DEP_1)
	s_and_saveexec_b32 s2, s0
	s_cbranch_execz .LBB126_13
; %bb.12:                               ;   in Loop: Header=BB126_9 Depth=1
	v_add_co_u32 v1, s1, v41, s6
	s_delay_alu instid0(VALU_DEP_1) | instskip(SKIP_1) | instid1(VALU_DEP_1)
	v_add_co_ci_u32_e64 v2, s1, s7, v42, s1
	v_add_co_u32 v3, s1, v43, s6
	v_add_co_ci_u32_e64 v4, s1, s7, v44, s1
	global_load_b64 v[1:2], v[1:2], off
	global_load_b64 v[9:10], v[3:4], off
.LBB126_13:                             ;   in Loop: Header=BB126_9 Depth=1
	s_or_b32 exec_lo, exec_lo, s2
	v_add_co_u32 v11, s1, v39, s12
	s_delay_alu instid0(VALU_DEP_1) | instskip(SKIP_2) | instid1(VALU_DEP_3)
	v_add_co_ci_u32_e64 v12, s1, s13, v40, s1
	v_mov_b32_e32 v3, 0
	v_mov_b32_e32 v4, 0
	v_cmp_gt_u64_e64 s1, s[4:5], v[11:12]
	s_delay_alu instid0(VALU_DEP_2) | instskip(SKIP_1) | instid1(VALU_DEP_3)
	v_dual_mov_b32 v12, v4 :: v_dual_mov_b32 v11, v3
	v_dual_mov_b32 v14, v4 :: v_dual_mov_b32 v13, v3
	s_and_saveexec_b32 s3, s1
	s_cbranch_execz .LBB126_15
; %bb.14:                               ;   in Loop: Header=BB126_9 Depth=1
	v_add_co_u32 v11, s2, v31, s6
	s_delay_alu instid0(VALU_DEP_1) | instskip(SKIP_1) | instid1(VALU_DEP_1)
	v_add_co_ci_u32_e64 v12, s2, s7, v32, s2
	v_add_co_u32 v13, s2, v33, s6
	v_add_co_ci_u32_e64 v14, s2, s7, v34, s2
	global_load_b64 v[11:12], v[11:12], off
	global_load_b64 v[13:14], v[13:14], off
.LBB126_15:                             ;   in Loop: Header=BB126_9 Depth=1
	s_or_b32 exec_lo, exec_lo, s3
	v_add_co_u32 v15, s2, v29, s12
	s_delay_alu instid0(VALU_DEP_1) | instskip(NEXT) | instid1(VALU_DEP_1)
	v_add_co_ci_u32_e64 v16, s2, s13, v30, s2
	v_cmp_gt_u64_e64 s2, s[4:5], v[15:16]
	v_dual_mov_b32 v16, v4 :: v_dual_mov_b32 v15, v3
	s_delay_alu instid0(VALU_DEP_2)
	s_and_saveexec_b32 s16, s2
	s_cbranch_execnz .LBB126_20
; %bb.16:                               ;   in Loop: Header=BB126_9 Depth=1
	s_or_b32 exec_lo, exec_lo, s16
	s_and_saveexec_b32 s3, vcc_lo
	s_cbranch_execnz .LBB126_21
.LBB126_17:                             ;   in Loop: Header=BB126_9 Depth=1
	s_or_b32 exec_lo, exec_lo, s3
	s_and_saveexec_b32 s3, s0
	s_cbranch_execnz .LBB126_22
.LBB126_18:                             ;   in Loop: Header=BB126_9 Depth=1
	s_or_b32 exec_lo, exec_lo, s3
	s_and_saveexec_b32 s0, s1
	s_cbranch_execnz .LBB126_23
.LBB126_19:                             ;   in Loop: Header=BB126_9 Depth=1
	s_or_b32 exec_lo, exec_lo, s0
	s_and_saveexec_b32 s0, s2
	s_cbranch_execz .LBB126_8
	s_branch .LBB126_24
.LBB126_20:                             ;   in Loop: Header=BB126_9 Depth=1
	v_add_co_u32 v3, s3, v23, s6
	s_delay_alu instid0(VALU_DEP_1) | instskip(SKIP_1) | instid1(VALU_DEP_1)
	v_add_co_ci_u32_e64 v4, s3, s7, v24, s3
	v_add_co_u32 v15, s3, v25, s6
	v_add_co_ci_u32_e64 v16, s3, s7, v26, s3
	global_load_b64 v[3:4], v[3:4], off
	global_load_b64 v[15:16], v[15:16], off
	s_or_b32 exec_lo, exec_lo, s16
	s_and_saveexec_b32 s3, vcc_lo
	s_cbranch_execz .LBB126_17
.LBB126_21:                             ;   in Loop: Header=BB126_9 Depth=1
	s_waitcnt vmcnt(0)
	v_mul_lo_u32 v8, v8, s10
	v_mul_lo_u32 v49, v7, s11
	v_mad_u64_u32 v[47:48], null, v7, s10, 0
	s_delay_alu instid0(VALU_DEP_1) | instskip(NEXT) | instid1(VALU_DEP_1)
	v_add3_u32 v48, v48, v49, v8
	v_cmp_gt_i64_e32 vcc_lo, v[5:6], v[47:48]
	v_dual_cndmask_b32 v6, v48, v6 :: v_dual_cndmask_b32 v5, v47, v5
	v_add_co_u32 v7, vcc_lo, v21, s6
	v_add_co_ci_u32_e32 v8, vcc_lo, s7, v22, vcc_lo
	global_store_b64 v[7:8], v[5:6], off
	s_or_b32 exec_lo, exec_lo, s3
	s_and_saveexec_b32 s3, s0
	s_cbranch_execz .LBB126_18
.LBB126_22:                             ;   in Loop: Header=BB126_9 Depth=1
	s_waitcnt vmcnt(0)
	v_mul_lo_u32 v7, v10, s10
	v_mul_lo_u32 v8, v9, s11
	v_mad_u64_u32 v[5:6], null, v9, s10, 0
	s_delay_alu instid0(VALU_DEP_1) | instskip(NEXT) | instid1(VALU_DEP_1)
	v_add3_u32 v6, v6, v8, v7
	v_cmp_gt_i64_e32 vcc_lo, v[1:2], v[5:6]
	v_dual_cndmask_b32 v2, v6, v2 :: v_dual_cndmask_b32 v1, v5, v1
	v_add_co_u32 v5, vcc_lo, v45, s6
	v_add_co_ci_u32_e32 v6, vcc_lo, s7, v46, vcc_lo
	global_store_b64 v[5:6], v[1:2], off
	s_or_b32 exec_lo, exec_lo, s3
	s_and_saveexec_b32 s0, s1
	s_cbranch_execz .LBB126_19
.LBB126_23:                             ;   in Loop: Header=BB126_9 Depth=1
	s_waitcnt vmcnt(0)
	v_mul_lo_u32 v5, v14, s10
	v_mul_lo_u32 v6, v13, s11
	v_mad_u64_u32 v[1:2], null, v13, s10, 0
	s_delay_alu instid0(VALU_DEP_1) | instskip(NEXT) | instid1(VALU_DEP_1)
	v_add3_u32 v2, v2, v6, v5
	v_cmp_gt_i64_e32 vcc_lo, v[11:12], v[1:2]
	v_dual_cndmask_b32 v2, v2, v12 :: v_dual_cndmask_b32 v1, v1, v11
	v_add_co_u32 v5, vcc_lo, v36, s6
	v_add_co_ci_u32_e32 v6, vcc_lo, s7, v37, vcc_lo
	global_store_b64 v[5:6], v[1:2], off
	s_or_b32 exec_lo, exec_lo, s0
	s_and_saveexec_b32 s0, s2
	s_cbranch_execz .LBB126_8
.LBB126_24:                             ;   in Loop: Header=BB126_9 Depth=1
	s_waitcnt vmcnt(0)
	v_mul_lo_u32 v5, v16, s10
	v_mul_lo_u32 v6, v15, s11
	v_mad_u64_u32 v[1:2], null, v15, s10, 0
	s_delay_alu instid0(VALU_DEP_1) | instskip(NEXT) | instid1(VALU_DEP_1)
	v_add3_u32 v2, v2, v6, v5
	v_cmp_gt_i64_e32 vcc_lo, v[3:4], v[1:2]
	v_dual_cndmask_b32 v2, v2, v4 :: v_dual_cndmask_b32 v1, v1, v3
	v_add_co_u32 v3, vcc_lo, v27, s6
	v_add_co_ci_u32_e32 v4, vcc_lo, s7, v28, vcc_lo
	global_store_b64 v[3:4], v[1:2], off
	s_branch .LBB126_8
.LBB126_25:
	s_nop 0
	s_sendmsg sendmsg(MSG_DEALLOC_VGPRS)
	s_endpgm
	.section	.rodata,"a",@progbits
	.p2align	6, 0x0
	.amdhsa_kernel _ZN2at6native12_GLOBAL__N_125multi_tensor_apply_kernelINS1_18TensorListMetadataILi3EEENS1_24BinaryOpListAlphaFunctorIlLi3ELi2ELi2EEEJNS0_7maximumIlEElEEEvT_T0_DpT1_
		.amdhsa_group_segment_fixed_size 0
		.amdhsa_private_segment_fixed_size 0
		.amdhsa_kernarg_size 3416
		.amdhsa_user_sgpr_count 15
		.amdhsa_user_sgpr_dispatch_ptr 0
		.amdhsa_user_sgpr_queue_ptr 0
		.amdhsa_user_sgpr_kernarg_segment_ptr 1
		.amdhsa_user_sgpr_dispatch_id 0
		.amdhsa_user_sgpr_private_segment_size 0
		.amdhsa_wavefront_size32 1
		.amdhsa_uses_dynamic_stack 0
		.amdhsa_enable_private_segment 0
		.amdhsa_system_sgpr_workgroup_id_x 1
		.amdhsa_system_sgpr_workgroup_id_y 0
		.amdhsa_system_sgpr_workgroup_id_z 0
		.amdhsa_system_sgpr_workgroup_info 0
		.amdhsa_system_vgpr_workitem_id 0
		.amdhsa_next_free_vgpr 50
		.amdhsa_next_free_sgpr 28
		.amdhsa_reserve_vcc 1
		.amdhsa_float_round_mode_32 0
		.amdhsa_float_round_mode_16_64 0
		.amdhsa_float_denorm_mode_32 3
		.amdhsa_float_denorm_mode_16_64 3
		.amdhsa_dx10_clamp 1
		.amdhsa_ieee_mode 1
		.amdhsa_fp16_overflow 0
		.amdhsa_workgroup_processor_mode 1
		.amdhsa_memory_ordered 1
		.amdhsa_forward_progress 0
		.amdhsa_shared_vgpr_count 0
		.amdhsa_exception_fp_ieee_invalid_op 0
		.amdhsa_exception_fp_denorm_src 0
		.amdhsa_exception_fp_ieee_div_zero 0
		.amdhsa_exception_fp_ieee_overflow 0
		.amdhsa_exception_fp_ieee_underflow 0
		.amdhsa_exception_fp_ieee_inexact 0
		.amdhsa_exception_int_div_zero 0
	.end_amdhsa_kernel
	.section	.text._ZN2at6native12_GLOBAL__N_125multi_tensor_apply_kernelINS1_18TensorListMetadataILi3EEENS1_24BinaryOpListAlphaFunctorIlLi3ELi2ELi2EEEJNS0_7maximumIlEElEEEvT_T0_DpT1_,"axG",@progbits,_ZN2at6native12_GLOBAL__N_125multi_tensor_apply_kernelINS1_18TensorListMetadataILi3EEENS1_24BinaryOpListAlphaFunctorIlLi3ELi2ELi2EEEJNS0_7maximumIlEElEEEvT_T0_DpT1_,comdat
.Lfunc_end126:
	.size	_ZN2at6native12_GLOBAL__N_125multi_tensor_apply_kernelINS1_18TensorListMetadataILi3EEENS1_24BinaryOpListAlphaFunctorIlLi3ELi2ELi2EEEJNS0_7maximumIlEElEEEvT_T0_DpT1_, .Lfunc_end126-_ZN2at6native12_GLOBAL__N_125multi_tensor_apply_kernelINS1_18TensorListMetadataILi3EEENS1_24BinaryOpListAlphaFunctorIlLi3ELi2ELi2EEEJNS0_7maximumIlEElEEEvT_T0_DpT1_
                                        ; -- End function
	.section	.AMDGPU.csdata,"",@progbits
; Kernel info:
; codeLenInByte = 2168
; NumSgprs: 30
; NumVgprs: 50
; ScratchSize: 0
; MemoryBound: 0
; FloatMode: 240
; IeeeMode: 1
; LDSByteSize: 0 bytes/workgroup (compile time only)
; SGPRBlocks: 3
; VGPRBlocks: 6
; NumSGPRsForWavesPerEU: 30
; NumVGPRsForWavesPerEU: 50
; Occupancy: 16
; WaveLimiterHint : 0
; COMPUTE_PGM_RSRC2:SCRATCH_EN: 0
; COMPUTE_PGM_RSRC2:USER_SGPR: 15
; COMPUTE_PGM_RSRC2:TRAP_HANDLER: 0
; COMPUTE_PGM_RSRC2:TGID_X_EN: 1
; COMPUTE_PGM_RSRC2:TGID_Y_EN: 0
; COMPUTE_PGM_RSRC2:TGID_Z_EN: 0
; COMPUTE_PGM_RSRC2:TIDIG_COMP_CNT: 0
	.section	.text._ZN2at6native12_GLOBAL__N_125multi_tensor_apply_kernelINS1_18TensorListMetadataILi3EEENS1_24BinaryOpListAlphaFunctorIsLi3ELi2ELi2EEEJNS0_7maximumIsEEsEEEvT_T0_DpT1_,"axG",@progbits,_ZN2at6native12_GLOBAL__N_125multi_tensor_apply_kernelINS1_18TensorListMetadataILi3EEENS1_24BinaryOpListAlphaFunctorIsLi3ELi2ELi2EEEJNS0_7maximumIsEEsEEEvT_T0_DpT1_,comdat
	.globl	_ZN2at6native12_GLOBAL__N_125multi_tensor_apply_kernelINS1_18TensorListMetadataILi3EEENS1_24BinaryOpListAlphaFunctorIsLi3ELi2ELi2EEEJNS0_7maximumIsEEsEEEvT_T0_DpT1_ ; -- Begin function _ZN2at6native12_GLOBAL__N_125multi_tensor_apply_kernelINS1_18TensorListMetadataILi3EEENS1_24BinaryOpListAlphaFunctorIsLi3ELi2ELi2EEEJNS0_7maximumIsEEsEEEvT_T0_DpT1_
	.p2align	8
	.type	_ZN2at6native12_GLOBAL__N_125multi_tensor_apply_kernelINS1_18TensorListMetadataILi3EEENS1_24BinaryOpListAlphaFunctorIsLi3ELi2ELi2EEEJNS0_7maximumIsEEsEEEvT_T0_DpT1_,@function
_ZN2at6native12_GLOBAL__N_125multi_tensor_apply_kernelINS1_18TensorListMetadataILi3EEENS1_24BinaryOpListAlphaFunctorIsLi3ELi2ELi2EEEJNS0_7maximumIsEEsEEEvT_T0_DpT1_: ; @_ZN2at6native12_GLOBAL__N_125multi_tensor_apply_kernelINS1_18TensorListMetadataILi3EEENS1_24BinaryOpListAlphaFunctorIsLi3ELi2ELi2EEEJNS0_7maximumIsEEsEEEvT_T0_DpT1_
; %bb.0:
	v_mov_b32_e32 v1, s15
	s_mul_i32 s4, s15, 3
	s_mul_hi_u32 s3, s15, 3
	s_mov_b32 s19, 0
	s_load_b32 s2, s[0:1], 0xc48
	global_load_u8 v1, v1, s[0:1] offset:1536
	s_mov_b32 s21, s19
	s_waitcnt lgkmcnt(0)
	s_lshr_b32 s16, s2, 16
	s_add_u32 s2, s0, s15
	s_addc_u32 s5, s1, 0
	s_add_u32 s2, s2, s4
	s_addc_u32 s3, s5, s3
	s_load_b32 s2, s[2:3], 0x740
	s_waitcnt vmcnt(0)
	v_readfirstlane_b32 s4, v1
	s_delay_alu instid0(VALU_DEP_1)
	s_lshl_b32 s3, s4, 3
	s_clause 0x3
	s_load_b64 s[12:13], s[0:1], s3 offset:0x180
	s_load_b64 s[10:11], s[0:1], s3 offset:0x300
	;; [unrolled: 1-line block ×4, first 2 shown]
	s_waitcnt lgkmcnt(0)
	s_ashr_i32 s3, s2, 31
	s_delay_alu instid0(SALU_CYCLE_1) | instskip(NEXT) | instid1(SALU_CYCLE_1)
	s_lshl_b64 s[4:5], s[2:3], 17
	s_add_u32 s6, s12, s4
	s_delay_alu instid0(SALU_CYCLE_1) | instskip(SKIP_2) | instid1(SALU_CYCLE_1)
	s_or_b32 s6, s10, s6
	s_and_b32 s18, s14, 7
	s_and_b32 s6, s6, 7
	s_cmp_lg_u32 s6, 0
	s_cselect_b32 s17, -1, 0
	s_lshl_b64 s[2:3], s[2:3], 16
	s_delay_alu instid0(SALU_CYCLE_1) | instskip(SKIP_2) | instid1(SALU_CYCLE_1)
	s_sub_u32 s6, s8, s2
	s_subb_u32 s7, s9, s3
	s_and_b32 s20, s8, 3
	s_or_b64 s[2:3], s[18:19], s[20:21]
	s_delay_alu instid0(SALU_CYCLE_1) | instskip(SKIP_1) | instid1(SALU_CYCLE_1)
	s_cmp_lg_u64 s[2:3], 0
	s_cselect_b32 s2, -1, 0
	s_or_b32 s2, s17, s2
	s_delay_alu instid0(SALU_CYCLE_1)
	s_and_not1_b32 vcc_lo, exec_lo, s2
	s_mov_b32 s2, -1
	s_cbranch_vccz .LBB127_5
; %bb.1:
	v_dual_mov_b32 v2, 0 :: v_dual_lshlrev_b32 v1, 2, v0
	s_mov_b32 s8, exec_lo
	s_delay_alu instid0(VALU_DEP_1)
	v_cmpx_gt_i64_e64 s[6:7], v[1:2]
	s_cbranch_execz .LBB127_4
; %bb.2:
	s_load_b32 s2, s[0:1], 0xc5c
	v_lshlrev_b32_e32 v1, 3, v0
	s_mov_b32 s9, 0
	s_delay_alu instid0(VALU_DEP_1) | instskip(NEXT) | instid1(VALU_DEP_1)
	v_add_co_u32 v3, s3, s4, v1
	v_add_co_ci_u32_e64 v4, null, s5, 0, s3
	s_waitcnt lgkmcnt(0)
	s_and_b32 s2, s2, 0xffff
	s_delay_alu instid0(SALU_CYCLE_1)
	v_add_lshl_u32 v1, v0, s2, 2
	s_lshl_b32 s17, s2, 3
	s_lshl_b32 s18, s2, 2
.LBB127_3:                              ; =>This Inner Loop Header: Depth=1
	v_add_co_u32 v5, vcc_lo, s12, v3
	v_add_co_ci_u32_e32 v6, vcc_lo, s13, v4, vcc_lo
	v_add_co_u32 v7, vcc_lo, s14, v3
	v_add_co_ci_u32_e32 v8, vcc_lo, s15, v4, vcc_lo
	v_add_co_u32 v9, vcc_lo, s10, v3
	global_load_b64 v[5:6], v[5:6], off
	global_load_b64 v[7:8], v[7:8], off
	v_add_co_ci_u32_e32 v10, vcc_lo, s11, v4, vcc_lo
	v_cmp_le_i64_e32 vcc_lo, s[6:7], v[1:2]
	v_cmp_lt_u64_e64 s2, 0xffff, v[1:2]
	v_add_co_u32 v3, s3, v3, s17
	s_delay_alu instid0(VALU_DEP_1) | instskip(SKIP_1) | instid1(VALU_DEP_4)
	v_add_co_ci_u32_e64 v4, s3, 0, v4, s3
	v_add_co_u32 v1, s3, v1, s18
	s_or_b32 s2, vcc_lo, s2
	v_add_co_ci_u32_e64 v2, s3, 0, v2, s3
	s_and_b32 s2, exec_lo, s2
	s_delay_alu instid0(SALU_CYCLE_1)
	s_or_b32 s9, s2, s9
	s_waitcnt vmcnt(1)
	v_lshrrev_b32_e32 v11, 16, v5
	v_mul_lo_u16 v5, v5, s16
	s_waitcnt vmcnt(0)
	v_lshrrev_b32_e32 v12, 16, v7
	v_mul_lo_u16 v13, v6, s16
	v_lshrrev_b32_e32 v6, 16, v6
	v_mul_lo_u16 v11, v11, s16
	v_lshrrev_b32_e32 v14, 16, v8
	v_max_i16 v5, v7, v5
	v_max_i16 v8, v8, v13
	v_mul_lo_u16 v6, v6, s16
	v_max_i16 v7, v12, v11
	s_delay_alu instid0(VALU_DEP_4) | instskip(NEXT) | instid1(VALU_DEP_4)
	v_and_b32_e32 v5, 0xffff, v5
	v_and_b32_e32 v8, 0xffff, v8
	s_delay_alu instid0(VALU_DEP_4) | instskip(NEXT) | instid1(VALU_DEP_4)
	v_max_i16 v6, v14, v6
	v_lshlrev_b32_e32 v7, 16, v7
	s_delay_alu instid0(VALU_DEP_2) | instskip(NEXT) | instid1(VALU_DEP_2)
	v_lshlrev_b32_e32 v6, 16, v6
	v_or_b32_e32 v5, v7, v5
	s_delay_alu instid0(VALU_DEP_2) | instskip(NEXT) | instid1(VALU_DEP_2)
	v_or3_b32 v6, 0, v8, v6
	v_or3_b32 v5, v5, 0, 0
	global_store_b64 v[9:10], v[5:6], off
	s_and_not1_b32 exec_lo, exec_lo, s9
	s_cbranch_execnz .LBB127_3
.LBB127_4:
	s_or_b32 exec_lo, exec_lo, s8
	s_mov_b32 s2, 0
.LBB127_5:
	s_delay_alu instid0(SALU_CYCLE_1)
	s_and_not1_b32 vcc_lo, exec_lo, s2
	s_cbranch_vccnz .LBB127_25
; %bb.6:
	v_cmp_lt_i64_e64 s2, s[6:7], 1
	s_delay_alu instid0(VALU_DEP_1)
	s_and_b32 vcc_lo, exec_lo, s2
	s_cbranch_vccnz .LBB127_25
; %bb.7:
	s_load_b32 s0, s[0:1], 0xc5c
	v_dual_mov_b32 v2, 0 :: v_dual_lshlrev_b32 v1, 1, v0
	v_cmp_gt_u64_e64 s1, 0x10000, s[6:7]
	s_delay_alu instid0(VALU_DEP_2) | instskip(NEXT) | instid1(VALU_DEP_1)
	v_add_co_u32 v3, s2, s14, v1
	v_add_co_ci_u32_e64 v4, null, s15, 0, s2
	v_add_co_u32 v5, s2, s12, v1
	s_delay_alu instid0(VALU_DEP_1) | instskip(SKIP_1) | instid1(VALU_DEP_1)
	v_add_co_ci_u32_e64 v6, null, s13, 0, s2
	v_add_co_u32 v7, s2, s10, v1
	v_add_co_ci_u32_e64 v8, null, s11, 0, s2
	s_waitcnt lgkmcnt(0)
	s_and_b32 s0, s0, 0xffff
	s_and_b32 s1, s1, exec_lo
	v_mad_u64_u32 v[13:14], null, s0, 6, v[1:2]
	s_cselect_b32 s9, s7, 0
	s_cselect_b32 s8, s6, 0x10000
	s_lshl_b32 s17, s0, 2
	s_mul_i32 s2, s0, 3
	v_add_co_u32 v1, s3, s17, v1
	s_delay_alu instid0(VALU_DEP_2) | instskip(NEXT) | instid1(VALU_DEP_3)
	v_add_co_u32 v9, vcc_lo, s14, v13
	v_add_co_ci_u32_e32 v10, vcc_lo, s15, v14, vcc_lo
	v_add_co_u32 v11, vcc_lo, s12, v13
	v_add_co_ci_u32_e32 v12, vcc_lo, s13, v14, vcc_lo
	v_add_co_u32 v13, vcc_lo, s10, v13
	v_add_co_ci_u32_e64 v2, null, 0, 0, s3
	v_add_co_ci_u32_e32 v14, vcc_lo, s11, v14, vcc_lo
	v_add_co_u32 v15, s2, s2, v0
	v_add_co_u32 v17, vcc_lo, s14, v1
	v_add_co_ci_u32_e64 v16, null, 0, 0, s2
	v_add_co_u32 v21, s2, v0, s0
	v_add_co_ci_u32_e32 v18, vcc_lo, s15, v2, vcc_lo
	v_add_co_u32 v19, vcc_lo, s12, v1
	v_add_co_ci_u32_e32 v20, vcc_lo, s13, v2, vcc_lo
	v_add_co_u32 v22, vcc_lo, s10, v1
	v_lshlrev_b32_e32 v1, 1, v21
	s_lshl_b32 s1, s0, 1
	v_add_co_ci_u32_e32 v23, vcc_lo, s11, v2, vcc_lo
	v_add_co_u32 v25, s1, s1, v0
	s_delay_alu instid0(VALU_DEP_1) | instskip(SKIP_1) | instid1(VALU_DEP_1)
	v_add_co_ci_u32_e64 v26, null, 0, 0, s1
	v_add_co_u32 v27, s1, s14, v1
	v_add_co_ci_u32_e64 v28, null, s15, 0, s1
	v_add_co_u32 v29, s1, s12, v1
	s_delay_alu instid0(VALU_DEP_1)
	v_add_co_ci_u32_e64 v30, null, s13, 0, s1
	v_add_co_u32 v31, s1, s10, v1
	v_add_co_ci_u32_e64 v24, null, 0, 0, s2
	v_add_co_ci_u32_e64 v32, null, s11, 0, s1
	s_mov_b32 s12, 0
	s_lshl_b32 s13, s0, 3
	s_mov_b64 s[10:11], 0
	s_branch .LBB127_9
.LBB127_8:                              ;   in Loop: Header=BB127_9 Depth=1
	s_or_b32 exec_lo, exec_lo, s0
	v_add_co_u32 v3, vcc_lo, v3, s13
	v_add_co_ci_u32_e32 v4, vcc_lo, 0, v4, vcc_lo
	v_add_co_u32 v5, vcc_lo, v5, s13
	v_add_co_ci_u32_e32 v6, vcc_lo, 0, v6, vcc_lo
	;; [unrolled: 2-line block ×9, first 2 shown]
	s_add_u32 s10, s10, s17
	v_add_co_u32 v27, vcc_lo, v27, s13
	s_addc_u32 s11, s11, 0
	v_add_co_ci_u32_e32 v28, vcc_lo, 0, v28, vcc_lo
	v_cmp_ge_i64_e64 s0, s[10:11], s[6:7]
	v_cmp_lt_u64_e64 s1, 0xffff, s[10:11]
	v_add_co_u32 v29, vcc_lo, v29, s13
	v_add_co_ci_u32_e32 v30, vcc_lo, 0, v30, vcc_lo
	v_add_co_u32 v31, vcc_lo, v31, s13
	v_add_co_ci_u32_e32 v32, vcc_lo, 0, v32, vcc_lo
	s_or_b32 s0, s0, s1
	s_delay_alu instid0(SALU_CYCLE_1)
	s_and_b32 vcc_lo, exec_lo, s0
	s_cbranch_vccnz .LBB127_25
.LBB127_9:                              ; =>This Inner Loop Header: Depth=1
	v_add_co_u32 v1, s0, v0, s10
	s_delay_alu instid0(VALU_DEP_1) | instskip(SKIP_2) | instid1(VALU_DEP_2)
	v_add_co_ci_u32_e64 v2, null, 0, s11, s0
	s_waitcnt vmcnt(0)
	v_mov_b32_e32 v33, 0
	v_cmp_gt_u64_e32 vcc_lo, s[8:9], v[1:2]
	v_mov_b32_e32 v1, 0
	v_mov_b32_e32 v2, 0
	s_and_saveexec_b32 s1, vcc_lo
	s_cbranch_execz .LBB127_11
; %bb.10:                               ;   in Loop: Header=BB127_9 Depth=1
	v_add_co_u32 v1, s0, v3, s4
	s_delay_alu instid0(VALU_DEP_1) | instskip(SKIP_2) | instid1(VALU_DEP_1)
	v_add_co_ci_u32_e64 v2, s0, s5, v4, s0
	global_load_u16 v34, v[1:2], off
	v_add_co_u32 v1, s0, v5, s4
	v_add_co_ci_u32_e64 v2, s0, s5, v6, s0
	global_load_u16 v33, v[1:2], off
	s_waitcnt vmcnt(1)
	v_dual_mov_b32 v2, s12 :: v_dual_and_b32 v1, 0xffff, v34
.LBB127_11:                             ;   in Loop: Header=BB127_9 Depth=1
	s_or_b32 exec_lo, exec_lo, s1
	v_add_co_u32 v34, s0, v21, s10
	s_delay_alu instid0(VALU_DEP_1) | instskip(NEXT) | instid1(VALU_DEP_1)
	v_add_co_ci_u32_e64 v35, s0, s11, v24, s0
	v_cmp_gt_u64_e64 s0, s[8:9], v[34:35]
	v_dual_mov_b32 v34, 0 :: v_dual_mov_b32 v35, 0
	s_delay_alu instid0(VALU_DEP_2)
	s_and_saveexec_b32 s2, s0
	s_cbranch_execz .LBB127_13
; %bb.12:                               ;   in Loop: Header=BB127_9 Depth=1
	v_add_co_u32 v35, s1, v27, s4
	s_delay_alu instid0(VALU_DEP_1) | instskip(SKIP_2) | instid1(VALU_DEP_1)
	v_add_co_ci_u32_e64 v36, s1, s5, v28, s1
	global_load_u16 v37, v[35:36], off
	v_add_co_u32 v35, s1, v29, s4
	v_add_co_ci_u32_e64 v36, s1, s5, v30, s1
	global_load_u16 v35, v[35:36], off
	s_waitcnt vmcnt(1)
	v_lshl_or_b32 v1, v37, 16, v1
.LBB127_13:                             ;   in Loop: Header=BB127_9 Depth=1
	s_or_b32 exec_lo, exec_lo, s2
	v_add_co_u32 v36, s1, v25, s10
	s_delay_alu instid0(VALU_DEP_1) | instskip(NEXT) | instid1(VALU_DEP_1)
	v_add_co_ci_u32_e64 v37, s1, s11, v26, s1
	v_cmp_gt_u64_e64 s1, s[8:9], v[36:37]
	s_delay_alu instid0(VALU_DEP_1)
	s_and_saveexec_b32 s3, s1
	s_cbranch_execz .LBB127_15
; %bb.14:                               ;   in Loop: Header=BB127_9 Depth=1
	v_add_co_u32 v36, s2, v17, s4
	s_delay_alu instid0(VALU_DEP_1) | instskip(SKIP_2) | instid1(VALU_DEP_1)
	v_add_co_ci_u32_e64 v37, s2, s5, v18, s2
	global_load_u16 v38, v[36:37], off
	v_add_co_u32 v36, s2, v19, s4
	v_add_co_ci_u32_e64 v37, s2, s5, v20, s2
	global_load_u16 v34, v[36:37], off
	s_waitcnt vmcnt(1)
	v_or_b32_e32 v2, v38, v2
.LBB127_15:                             ;   in Loop: Header=BB127_9 Depth=1
	s_or_b32 exec_lo, exec_lo, s3
	v_add_co_u32 v36, s2, v15, s10
	s_delay_alu instid0(VALU_DEP_1) | instskip(NEXT) | instid1(VALU_DEP_1)
	v_add_co_ci_u32_e64 v37, s2, s11, v16, s2
	v_cmp_gt_u64_e64 s2, s[8:9], v[36:37]
	v_mov_b32_e32 v36, 0
	s_delay_alu instid0(VALU_DEP_2)
	s_and_saveexec_b32 s14, s2
	s_cbranch_execnz .LBB127_20
; %bb.16:                               ;   in Loop: Header=BB127_9 Depth=1
	s_or_b32 exec_lo, exec_lo, s14
	s_and_saveexec_b32 s3, vcc_lo
	s_cbranch_execnz .LBB127_21
.LBB127_17:                             ;   in Loop: Header=BB127_9 Depth=1
	s_or_b32 exec_lo, exec_lo, s3
	s_and_saveexec_b32 s3, s0
	s_cbranch_execnz .LBB127_22
.LBB127_18:                             ;   in Loop: Header=BB127_9 Depth=1
	s_or_b32 exec_lo, exec_lo, s3
	s_and_saveexec_b32 s0, s1
	s_cbranch_execnz .LBB127_23
.LBB127_19:                             ;   in Loop: Header=BB127_9 Depth=1
	s_or_b32 exec_lo, exec_lo, s0
	s_and_saveexec_b32 s0, s2
	s_cbranch_execz .LBB127_8
	s_branch .LBB127_24
.LBB127_20:                             ;   in Loop: Header=BB127_9 Depth=1
	v_add_co_u32 v36, s3, v9, s4
	s_delay_alu instid0(VALU_DEP_1) | instskip(SKIP_3) | instid1(VALU_DEP_1)
	v_add_co_ci_u32_e64 v37, s3, s5, v10, s3
	v_mov_b32_e32 v38, 0
	global_load_d16_hi_b16 v38, v[36:37], off
	v_add_co_u32 v36, s3, v11, s4
	v_add_co_ci_u32_e64 v37, s3, s5, v12, s3
	global_load_u16 v36, v[36:37], off
	s_waitcnt vmcnt(1)
	v_or_b32_e32 v2, v38, v2
	s_or_b32 exec_lo, exec_lo, s14
	s_and_saveexec_b32 s3, vcc_lo
	s_cbranch_execz .LBB127_17
.LBB127_21:                             ;   in Loop: Header=BB127_9 Depth=1
	s_waitcnt vmcnt(0)
	v_mul_lo_u16 v33, v33, s16
	v_add_co_u32 v37, vcc_lo, v7, s4
	v_add_co_ci_u32_e32 v38, vcc_lo, s5, v8, vcc_lo
	s_delay_alu instid0(VALU_DEP_3)
	v_max_i16 v33, v1, v33
	global_store_b16 v[37:38], v33, off
	s_or_b32 exec_lo, exec_lo, s3
	s_and_saveexec_b32 s3, s0
	s_cbranch_execz .LBB127_18
.LBB127_22:                             ;   in Loop: Header=BB127_9 Depth=1
	v_lshrrev_b32_e32 v1, 16, v1
	s_waitcnt vmcnt(0)
	v_mul_lo_u16 v33, v35, s16
	v_add_co_u32 v37, vcc_lo, v31, s4
	v_add_co_ci_u32_e32 v38, vcc_lo, s5, v32, vcc_lo
	s_delay_alu instid0(VALU_DEP_3)
	v_max_i16 v1, v1, v33
	global_store_b16 v[37:38], v1, off
	s_or_b32 exec_lo, exec_lo, s3
	s_and_saveexec_b32 s0, s1
	s_cbranch_execz .LBB127_19
.LBB127_23:                             ;   in Loop: Header=BB127_9 Depth=1
	s_waitcnt vmcnt(0)
	v_mul_lo_u16 v1, v34, s16
	v_add_co_u32 v33, vcc_lo, v22, s4
	v_add_co_ci_u32_e32 v34, vcc_lo, s5, v23, vcc_lo
	s_delay_alu instid0(VALU_DEP_3)
	v_max_i16 v1, v2, v1
	global_store_b16 v[33:34], v1, off
	s_or_b32 exec_lo, exec_lo, s0
	s_and_saveexec_b32 s0, s2
	s_cbranch_execz .LBB127_8
.LBB127_24:                             ;   in Loop: Header=BB127_9 Depth=1
	v_lshrrev_b32_e32 v1, 16, v2
	s_waitcnt vmcnt(0)
	v_mul_lo_u16 v2, v36, s16
	s_delay_alu instid0(VALU_DEP_1)
	v_max_i16 v33, v1, v2
	v_add_co_u32 v1, vcc_lo, v13, s4
	v_add_co_ci_u32_e32 v2, vcc_lo, s5, v14, vcc_lo
	global_store_b16 v[1:2], v33, off
	s_branch .LBB127_8
.LBB127_25:
	s_nop 0
	s_sendmsg sendmsg(MSG_DEALLOC_VGPRS)
	s_endpgm
	.section	.rodata,"a",@progbits
	.p2align	6, 0x0
	.amdhsa_kernel _ZN2at6native12_GLOBAL__N_125multi_tensor_apply_kernelINS1_18TensorListMetadataILi3EEENS1_24BinaryOpListAlphaFunctorIsLi3ELi2ELi2EEEJNS0_7maximumIsEEsEEEvT_T0_DpT1_
		.amdhsa_group_segment_fixed_size 0
		.amdhsa_private_segment_fixed_size 0
		.amdhsa_kernarg_size 3408
		.amdhsa_user_sgpr_count 15
		.amdhsa_user_sgpr_dispatch_ptr 0
		.amdhsa_user_sgpr_queue_ptr 0
		.amdhsa_user_sgpr_kernarg_segment_ptr 1
		.amdhsa_user_sgpr_dispatch_id 0
		.amdhsa_user_sgpr_private_segment_size 0
		.amdhsa_wavefront_size32 1
		.amdhsa_uses_dynamic_stack 0
		.amdhsa_enable_private_segment 0
		.amdhsa_system_sgpr_workgroup_id_x 1
		.amdhsa_system_sgpr_workgroup_id_y 0
		.amdhsa_system_sgpr_workgroup_id_z 0
		.amdhsa_system_sgpr_workgroup_info 0
		.amdhsa_system_vgpr_workitem_id 0
		.amdhsa_next_free_vgpr 39
		.amdhsa_next_free_sgpr 22
		.amdhsa_reserve_vcc 1
		.amdhsa_float_round_mode_32 0
		.amdhsa_float_round_mode_16_64 0
		.amdhsa_float_denorm_mode_32 3
		.amdhsa_float_denorm_mode_16_64 3
		.amdhsa_dx10_clamp 1
		.amdhsa_ieee_mode 1
		.amdhsa_fp16_overflow 0
		.amdhsa_workgroup_processor_mode 1
		.amdhsa_memory_ordered 1
		.amdhsa_forward_progress 0
		.amdhsa_shared_vgpr_count 0
		.amdhsa_exception_fp_ieee_invalid_op 0
		.amdhsa_exception_fp_denorm_src 0
		.amdhsa_exception_fp_ieee_div_zero 0
		.amdhsa_exception_fp_ieee_overflow 0
		.amdhsa_exception_fp_ieee_underflow 0
		.amdhsa_exception_fp_ieee_inexact 0
		.amdhsa_exception_int_div_zero 0
	.end_amdhsa_kernel
	.section	.text._ZN2at6native12_GLOBAL__N_125multi_tensor_apply_kernelINS1_18TensorListMetadataILi3EEENS1_24BinaryOpListAlphaFunctorIsLi3ELi2ELi2EEEJNS0_7maximumIsEEsEEEvT_T0_DpT1_,"axG",@progbits,_ZN2at6native12_GLOBAL__N_125multi_tensor_apply_kernelINS1_18TensorListMetadataILi3EEENS1_24BinaryOpListAlphaFunctorIsLi3ELi2ELi2EEEJNS0_7maximumIsEEsEEEvT_T0_DpT1_,comdat
.Lfunc_end127:
	.size	_ZN2at6native12_GLOBAL__N_125multi_tensor_apply_kernelINS1_18TensorListMetadataILi3EEENS1_24BinaryOpListAlphaFunctorIsLi3ELi2ELi2EEEJNS0_7maximumIsEEsEEEvT_T0_DpT1_, .Lfunc_end127-_ZN2at6native12_GLOBAL__N_125multi_tensor_apply_kernelINS1_18TensorListMetadataILi3EEENS1_24BinaryOpListAlphaFunctorIsLi3ELi2ELi2EEEJNS0_7maximumIsEEsEEEvT_T0_DpT1_
                                        ; -- End function
	.section	.AMDGPU.csdata,"",@progbits
; Kernel info:
; codeLenInByte = 1928
; NumSgprs: 24
; NumVgprs: 39
; ScratchSize: 0
; MemoryBound: 0
; FloatMode: 240
; IeeeMode: 1
; LDSByteSize: 0 bytes/workgroup (compile time only)
; SGPRBlocks: 2
; VGPRBlocks: 4
; NumSGPRsForWavesPerEU: 24
; NumVGPRsForWavesPerEU: 39
; Occupancy: 16
; WaveLimiterHint : 0
; COMPUTE_PGM_RSRC2:SCRATCH_EN: 0
; COMPUTE_PGM_RSRC2:USER_SGPR: 15
; COMPUTE_PGM_RSRC2:TRAP_HANDLER: 0
; COMPUTE_PGM_RSRC2:TGID_X_EN: 1
; COMPUTE_PGM_RSRC2:TGID_Y_EN: 0
; COMPUTE_PGM_RSRC2:TGID_Z_EN: 0
; COMPUTE_PGM_RSRC2:TIDIG_COMP_CNT: 0
	.section	.text._ZN2at6native12_GLOBAL__N_125multi_tensor_apply_kernelINS1_18TensorListMetadataILi3EEENS1_24BinaryOpListAlphaFunctorIdLi3ELi2ELi2EEEJNS0_7maximumIdEEdEEEvT_T0_DpT1_,"axG",@progbits,_ZN2at6native12_GLOBAL__N_125multi_tensor_apply_kernelINS1_18TensorListMetadataILi3EEENS1_24BinaryOpListAlphaFunctorIdLi3ELi2ELi2EEEJNS0_7maximumIdEEdEEEvT_T0_DpT1_,comdat
	.globl	_ZN2at6native12_GLOBAL__N_125multi_tensor_apply_kernelINS1_18TensorListMetadataILi3EEENS1_24BinaryOpListAlphaFunctorIdLi3ELi2ELi2EEEJNS0_7maximumIdEEdEEEvT_T0_DpT1_ ; -- Begin function _ZN2at6native12_GLOBAL__N_125multi_tensor_apply_kernelINS1_18TensorListMetadataILi3EEENS1_24BinaryOpListAlphaFunctorIdLi3ELi2ELi2EEEJNS0_7maximumIdEEdEEEvT_T0_DpT1_
	.p2align	8
	.type	_ZN2at6native12_GLOBAL__N_125multi_tensor_apply_kernelINS1_18TensorListMetadataILi3EEENS1_24BinaryOpListAlphaFunctorIdLi3ELi2ELi2EEEJNS0_7maximumIdEEdEEEvT_T0_DpT1_,@function
_ZN2at6native12_GLOBAL__N_125multi_tensor_apply_kernelINS1_18TensorListMetadataILi3EEENS1_24BinaryOpListAlphaFunctorIdLi3ELi2ELi2EEEJNS0_7maximumIdEEdEEEvT_T0_DpT1_: ; @_ZN2at6native12_GLOBAL__N_125multi_tensor_apply_kernelINS1_18TensorListMetadataILi3EEENS1_24BinaryOpListAlphaFunctorIdLi3ELi2ELi2EEEJNS0_7maximumIdEEdEEEvT_T0_DpT1_
; %bb.0:
	v_mov_b32_e32 v1, s15
	s_add_u32 s2, s0, s15
	s_mul_hi_u32 s3, s15, 3
	s_mul_i32 s15, s15, 3
	s_addc_u32 s4, s1, 0
	global_load_u8 v1, v1, s[0:1] offset:1536
	s_load_b64 s[16:17], s[0:1], 0xc50
	s_add_u32 s2, s2, s15
	s_addc_u32 s3, s4, s3
	s_load_b32 s2, s[2:3], 0x740
	s_waitcnt vmcnt(0)
	v_readfirstlane_b32 s3, v1
	s_delay_alu instid0(VALU_DEP_1)
	s_lshl_b32 s3, s3, 3
	s_clause 0x3
	s_load_b64 s[18:19], s[0:1], s3 offset:0x0
	s_load_b64 s[20:21], s[0:1], s3 offset:0x180
	;; [unrolled: 1-line block ×4, first 2 shown]
	s_waitcnt lgkmcnt(0)
	s_ashr_i32 s3, s2, 31
	s_delay_alu instid0(SALU_CYCLE_1) | instskip(NEXT) | instid1(SALU_CYCLE_1)
	s_lshl_b64 s[12:13], s[2:3], 19
	s_add_u32 s24, s18, s12
	s_addc_u32 s25, s19, s13
	s_and_b32 s6, s24, 31
	s_add_u32 s26, s20, s12
	s_addc_u32 s27, s21, s13
	s_add_u32 s28, s22, s12
	s_addc_u32 s29, s23, s13
	s_or_b32 s7, s28, s26
	s_delay_alu instid0(SALU_CYCLE_1) | instskip(NEXT) | instid1(SALU_CYCLE_1)
	s_and_b32 s7, s7, 31
	s_cmp_lg_u32 s7, 0
	s_mov_b32 s7, 0
	s_cselect_b32 s10, -1, 0
	s_lshl_b64 s[2:3], s[2:3], 16
	s_mov_b32 s9, s7
	s_sub_u32 s14, s4, s2
	s_subb_u32 s15, s5, s3
	s_and_b32 s8, s4, 3
	s_delay_alu instid0(SALU_CYCLE_1) | instskip(NEXT) | instid1(SALU_CYCLE_1)
	s_or_b64 s[2:3], s[6:7], s[8:9]
	s_cmp_lg_u64 s[2:3], 0
	s_cselect_b32 s2, -1, 0
	s_delay_alu instid0(SALU_CYCLE_1) | instskip(NEXT) | instid1(SALU_CYCLE_1)
	s_or_b32 s2, s10, s2
	s_and_not1_b32 vcc_lo, exec_lo, s2
	s_mov_b32 s2, -1
	s_cbranch_vccz .LBB128_5
; %bb.1:
	v_dual_mov_b32 v2, 0 :: v_dual_lshlrev_b32 v1, 2, v0
	s_mov_b32 s30, exec_lo
	s_delay_alu instid0(VALU_DEP_1)
	v_cmpx_gt_i64_e64 s[14:15], v[1:2]
	s_cbranch_execz .LBB128_4
; %bb.2:
	s_load_b32 s2, s[0:1], 0xc64
	v_lshlrev_b32_e32 v3, 5, v0
	s_mov_b32 s31, 0
	s_waitcnt lgkmcnt(0)
	s_and_b32 s2, s2, 0xffff
	s_delay_alu instid0(SALU_CYCLE_1)
	v_add_lshl_u32 v1, v0, s2, 2
	s_lshl_b32 s33, s2, 2
	s_lshl_b32 s34, s2, 5
.LBB128_3:                              ; =>This Inner Loop Header: Depth=1
	v_add_co_u32 v8, s2, s26, v3
	s_delay_alu instid0(VALU_DEP_1) | instskip(SKIP_1) | instid1(VALU_DEP_1)
	v_add_co_ci_u32_e64 v9, null, s27, 0, s2
	v_add_co_u32 v16, s2, s24, v3
	v_add_co_ci_u32_e64 v17, null, s25, 0, s2
	s_clause 0x1
	global_load_b128 v[4:7], v[8:9], off
	global_load_b128 v[8:11], v[8:9], off offset:16
	s_clause 0x1
	global_load_b128 v[12:15], v[16:17], off
	global_load_b128 v[16:19], v[16:17], off offset:16
	v_cmp_le_i64_e64 s9, s[14:15], v[1:2]
	v_cmp_lt_u64_e64 s10, 0xffff, v[1:2]
	v_add_co_u32 v20, s11, s28, v3
	s_delay_alu instid0(VALU_DEP_1) | instskip(SKIP_1) | instid1(VALU_DEP_4)
	v_add_co_ci_u32_e64 v21, null, s29, 0, s11
	v_add_co_u32 v1, s11, v1, s33
	s_or_b32 s9, s9, s10
	v_add_co_ci_u32_e64 v2, s11, 0, v2, s11
	s_waitcnt vmcnt(3)
	v_mul_f64 v[4:5], v[4:5], s[16:17]
	v_mul_f64 v[6:7], v[6:7], s[16:17]
	s_waitcnt vmcnt(2)
	v_mul_f64 v[8:9], v[8:9], s[16:17]
	v_mul_f64 v[10:11], v[10:11], s[16:17]
	s_waitcnt vmcnt(1)
	v_cmp_u_f64_e32 vcc_lo, v[12:13], v[12:13]
	v_cmp_u_f64_e64 s2, v[14:15], v[14:15]
	s_waitcnt vmcnt(0)
	v_cmp_u_f64_e64 s3, v[16:17], v[16:17]
	v_cmp_u_f64_e64 s4, v[18:19], v[18:19]
	v_cmp_gt_f64_e64 s5, v[12:13], v[4:5]
	v_cmp_gt_f64_e64 s6, v[14:15], v[6:7]
	;; [unrolled: 1-line block ×4, first 2 shown]
	s_delay_alu instid0(VALU_DEP_4) | instskip(NEXT) | instid1(VALU_DEP_3)
	s_or_b32 vcc_lo, vcc_lo, s5
	s_or_b32 s2, s2, s6
	s_delay_alu instid0(VALU_DEP_2) | instskip(NEXT) | instid1(VALU_DEP_1)
	s_or_b32 s3, s3, s7
	s_or_b32 s4, s4, s8
	s_add_u32 s24, s24, s34
	s_addc_u32 s25, s25, 0
	s_add_u32 s28, s28, s34
	s_addc_u32 s29, s29, 0
	s_add_u32 s26, s26, s34
	v_dual_cndmask_b32 v5, v5, v13 :: v_dual_cndmask_b32 v4, v4, v12
	v_cndmask_b32_e64 v7, v7, v15, s2
	v_cndmask_b32_e64 v6, v6, v14, s2
	s_addc_u32 s27, s27, 0
	v_cndmask_b32_e64 v9, v9, v17, s3
	v_cndmask_b32_e64 v11, v11, v19, s4
	;; [unrolled: 1-line block ×4, first 2 shown]
	s_and_b32 s2, exec_lo, s9
	s_clause 0x1
	global_store_b128 v[20:21], v[4:7], off
	global_store_b128 v[20:21], v[8:11], off offset:16
	s_or_b32 s31, s2, s31
	s_delay_alu instid0(SALU_CYCLE_1)
	s_and_not1_b32 exec_lo, exec_lo, s31
	s_cbranch_execnz .LBB128_3
.LBB128_4:
	s_or_b32 exec_lo, exec_lo, s30
	s_mov_b32 s2, 0
.LBB128_5:
	s_delay_alu instid0(SALU_CYCLE_1)
	s_and_not1_b32 vcc_lo, exec_lo, s2
	s_cbranch_vccnz .LBB128_25
; %bb.6:
	v_cmp_lt_i64_e64 s2, s[14:15], 1
	s_delay_alu instid0(VALU_DEP_1)
	s_and_b32 vcc_lo, exec_lo, s2
	s_cbranch_vccnz .LBB128_25
; %bb.7:
	s_load_b32 s0, s[0:1], 0xc64
	v_dual_mov_b32 v2, 0 :: v_dual_lshlrev_b32 v1, 3, v0
	v_cmp_gt_u64_e64 s1, 0x10000, s[14:15]
	s_mov_b64 s[6:7], 0
	s_delay_alu instid0(VALU_DEP_2) | instskip(NEXT) | instid1(VALU_DEP_1)
	v_add_co_u32 v17, s2, s18, v1
	v_add_co_ci_u32_e64 v18, null, s19, 0, s2
	v_add_co_u32 v19, s2, s20, v1
	s_delay_alu instid0(VALU_DEP_1) | instskip(SKIP_1) | instid1(VALU_DEP_1)
	v_add_co_ci_u32_e64 v20, null, s21, 0, s2
	v_add_co_u32 v21, s2, s22, v1
	v_add_co_ci_u32_e64 v22, null, s23, 0, s2
	s_waitcnt lgkmcnt(0)
	s_and_b32 s0, s0, 0xffff
	s_and_b32 s1, s1, exec_lo
	v_mad_u64_u32 v[3:4], null, s0, 24, v[1:2]
	s_cselect_b32 s5, s15, 0
	s_cselect_b32 s4, s14, 0x10000
	s_lshl_b32 s3, s0, 4
	s_mul_i32 s2, s0, 3
	v_add_co_u32 v1, s3, s3, v1
	s_delay_alu instid0(VALU_DEP_2) | instskip(NEXT) | instid1(VALU_DEP_3)
	v_add_co_u32 v23, vcc_lo, s18, v3
	v_add_co_ci_u32_e32 v24, vcc_lo, s19, v4, vcc_lo
	v_add_co_u32 v25, vcc_lo, s20, v3
	v_add_co_ci_u32_e32 v26, vcc_lo, s21, v4, vcc_lo
	v_add_co_u32 v27, vcc_lo, s22, v3
	v_add_co_ci_u32_e64 v2, null, 0, 0, s3
	v_add_co_ci_u32_e32 v28, vcc_lo, s23, v4, vcc_lo
	v_add_co_u32 v29, s2, s2, v0
	v_add_co_u32 v31, vcc_lo, s18, v1
	v_add_co_ci_u32_e64 v30, null, 0, 0, s2
	v_add_co_u32 v35, s2, v0, s0
	v_add_co_ci_u32_e32 v32, vcc_lo, s19, v2, vcc_lo
	v_add_co_u32 v33, vcc_lo, s20, v1
	v_add_co_ci_u32_e32 v34, vcc_lo, s21, v2, vcc_lo
	v_add_co_u32 v36, vcc_lo, s22, v1
	v_lshlrev_b32_e32 v1, 3, v35
	s_lshl_b32 s1, s0, 1
	v_add_co_ci_u32_e32 v37, vcc_lo, s23, v2, vcc_lo
	v_add_co_u32 v39, s1, s1, v0
	s_delay_alu instid0(VALU_DEP_1) | instskip(SKIP_1) | instid1(VALU_DEP_1)
	v_add_co_ci_u32_e64 v40, null, 0, 0, s1
	v_add_co_u32 v41, s1, s18, v1
	v_add_co_ci_u32_e64 v42, null, s19, 0, s1
	v_add_co_u32 v43, s1, s20, v1
	s_delay_alu instid0(VALU_DEP_1)
	v_add_co_ci_u32_e64 v44, null, s21, 0, s1
	v_add_co_u32 v45, s1, s22, v1
	v_add_co_ci_u32_e64 v38, null, 0, 0, s2
	v_add_co_ci_u32_e64 v46, null, s23, 0, s1
	s_lshl_b32 s8, s0, 2
	s_lshl_b32 s9, s0, 5
	s_branch .LBB128_9
.LBB128_8:                              ;   in Loop: Header=BB128_9 Depth=1
	s_or_b32 exec_lo, exec_lo, s1
	v_add_co_u32 v17, vcc_lo, v17, s9
	v_add_co_ci_u32_e32 v18, vcc_lo, 0, v18, vcc_lo
	v_add_co_u32 v19, vcc_lo, v19, s9
	v_add_co_ci_u32_e32 v20, vcc_lo, 0, v20, vcc_lo
	;; [unrolled: 2-line block ×9, first 2 shown]
	s_add_u32 s6, s6, s8
	v_add_co_u32 v41, vcc_lo, v41, s9
	s_addc_u32 s7, s7, 0
	v_add_co_ci_u32_e32 v42, vcc_lo, 0, v42, vcc_lo
	v_cmp_ge_i64_e64 s0, s[6:7], s[14:15]
	v_cmp_lt_u64_e64 s1, 0xffff, s[6:7]
	v_add_co_u32 v43, vcc_lo, v43, s9
	v_add_co_ci_u32_e32 v44, vcc_lo, 0, v44, vcc_lo
	v_add_co_u32 v45, vcc_lo, v45, s9
	v_add_co_ci_u32_e32 v46, vcc_lo, 0, v46, vcc_lo
	s_or_b32 s0, s0, s1
	s_delay_alu instid0(SALU_CYCLE_1)
	s_and_b32 vcc_lo, exec_lo, s0
	s_cbranch_vccnz .LBB128_25
.LBB128_9:                              ; =>This Inner Loop Header: Depth=1
	s_waitcnt vmcnt(1)
	v_add_co_u32 v3, s0, v0, s6
	s_delay_alu instid0(VALU_DEP_1) | instskip(SKIP_2) | instid1(VALU_DEP_3)
	v_add_co_ci_u32_e64 v4, null, 0, s7, s0
	v_mov_b32_e32 v1, 0
	v_mov_b32_e32 v2, 0
	v_cmp_gt_u64_e32 vcc_lo, s[4:5], v[3:4]
	s_delay_alu instid0(VALU_DEP_2)
	v_dual_mov_b32 v6, v2 :: v_dual_mov_b32 v5, v1
	s_waitcnt vmcnt(0)
	v_dual_mov_b32 v8, v2 :: v_dual_mov_b32 v7, v1
	s_and_saveexec_b32 s1, vcc_lo
	s_cbranch_execz .LBB128_11
; %bb.10:                               ;   in Loop: Header=BB128_9 Depth=1
	v_add_co_u32 v3, s0, v17, s12
	s_delay_alu instid0(VALU_DEP_1) | instskip(SKIP_1) | instid1(VALU_DEP_1)
	v_add_co_ci_u32_e64 v4, s0, s13, v18, s0
	v_add_co_u32 v7, s0, v19, s12
	v_add_co_ci_u32_e64 v8, s0, s13, v20, s0
	global_load_b64 v[5:6], v[3:4], off
	global_load_b64 v[7:8], v[7:8], off
.LBB128_11:                             ;   in Loop: Header=BB128_9 Depth=1
	s_or_b32 exec_lo, exec_lo, s1
	v_add_co_u32 v3, s0, v35, s6
	s_delay_alu instid0(VALU_DEP_1) | instskip(SKIP_1) | instid1(VALU_DEP_2)
	v_add_co_ci_u32_e64 v4, s0, s7, v38, s0
	v_dual_mov_b32 v10, v2 :: v_dual_mov_b32 v9, v1
	v_cmp_gt_u64_e64 s0, s[4:5], v[3:4]
	s_delay_alu instid0(VALU_DEP_1)
	s_and_saveexec_b32 s2, s0
	s_cbranch_execz .LBB128_13
; %bb.12:                               ;   in Loop: Header=BB128_9 Depth=1
	v_add_co_u32 v1, s1, v41, s12
	s_delay_alu instid0(VALU_DEP_1) | instskip(SKIP_1) | instid1(VALU_DEP_1)
	v_add_co_ci_u32_e64 v2, s1, s13, v42, s1
	v_add_co_u32 v3, s1, v43, s12
	v_add_co_ci_u32_e64 v4, s1, s13, v44, s1
	global_load_b64 v[1:2], v[1:2], off
	global_load_b64 v[9:10], v[3:4], off
.LBB128_13:                             ;   in Loop: Header=BB128_9 Depth=1
	s_or_b32 exec_lo, exec_lo, s2
	v_add_co_u32 v11, s1, v39, s6
	s_delay_alu instid0(VALU_DEP_1) | instskip(SKIP_2) | instid1(VALU_DEP_3)
	v_add_co_ci_u32_e64 v12, s1, s7, v40, s1
	v_mov_b32_e32 v3, 0
	v_mov_b32_e32 v4, 0
	v_cmp_gt_u64_e64 s1, s[4:5], v[11:12]
	s_delay_alu instid0(VALU_DEP_2) | instskip(SKIP_1) | instid1(VALU_DEP_3)
	v_dual_mov_b32 v12, v4 :: v_dual_mov_b32 v11, v3
	v_dual_mov_b32 v14, v4 :: v_dual_mov_b32 v13, v3
	s_and_saveexec_b32 s3, s1
	s_cbranch_execz .LBB128_15
; %bb.14:                               ;   in Loop: Header=BB128_9 Depth=1
	v_add_co_u32 v11, s2, v31, s12
	s_delay_alu instid0(VALU_DEP_1) | instskip(SKIP_1) | instid1(VALU_DEP_1)
	v_add_co_ci_u32_e64 v12, s2, s13, v32, s2
	v_add_co_u32 v13, s2, v33, s12
	v_add_co_ci_u32_e64 v14, s2, s13, v34, s2
	global_load_b64 v[11:12], v[11:12], off
	global_load_b64 v[13:14], v[13:14], off
.LBB128_15:                             ;   in Loop: Header=BB128_9 Depth=1
	s_or_b32 exec_lo, exec_lo, s3
	v_add_co_u32 v15, s2, v29, s6
	s_delay_alu instid0(VALU_DEP_1) | instskip(NEXT) | instid1(VALU_DEP_1)
	v_add_co_ci_u32_e64 v16, s2, s7, v30, s2
	v_cmp_gt_u64_e64 s2, s[4:5], v[15:16]
	v_dual_mov_b32 v16, v4 :: v_dual_mov_b32 v15, v3
	s_delay_alu instid0(VALU_DEP_2)
	s_and_saveexec_b32 s10, s2
	s_cbranch_execnz .LBB128_20
; %bb.16:                               ;   in Loop: Header=BB128_9 Depth=1
	s_or_b32 exec_lo, exec_lo, s10
	s_and_saveexec_b32 s10, vcc_lo
	s_cbranch_execnz .LBB128_21
.LBB128_17:                             ;   in Loop: Header=BB128_9 Depth=1
	s_or_b32 exec_lo, exec_lo, s10
	s_and_saveexec_b32 s3, s0
	s_cbranch_execnz .LBB128_22
.LBB128_18:                             ;   in Loop: Header=BB128_9 Depth=1
	s_or_b32 exec_lo, exec_lo, s3
	s_and_saveexec_b32 s3, s1
	s_cbranch_execnz .LBB128_23
.LBB128_19:                             ;   in Loop: Header=BB128_9 Depth=1
	s_or_b32 exec_lo, exec_lo, s3
	s_and_saveexec_b32 s1, s2
	s_cbranch_execz .LBB128_8
	s_branch .LBB128_24
.LBB128_20:                             ;   in Loop: Header=BB128_9 Depth=1
	v_add_co_u32 v3, s3, v23, s12
	s_delay_alu instid0(VALU_DEP_1) | instskip(SKIP_1) | instid1(VALU_DEP_1)
	v_add_co_ci_u32_e64 v4, s3, s13, v24, s3
	v_add_co_u32 v15, s3, v25, s12
	v_add_co_ci_u32_e64 v16, s3, s13, v26, s3
	global_load_b64 v[3:4], v[3:4], off
	global_load_b64 v[15:16], v[15:16], off
	s_or_b32 exec_lo, exec_lo, s10
	s_and_saveexec_b32 s10, vcc_lo
	s_cbranch_execz .LBB128_17
.LBB128_21:                             ;   in Loop: Header=BB128_9 Depth=1
	s_waitcnt vmcnt(0)
	v_mul_f64 v[7:8], v[7:8], s[16:17]
	v_cmp_u_f64_e32 vcc_lo, v[5:6], v[5:6]
	s_delay_alu instid0(VALU_DEP_2) | instskip(NEXT) | instid1(VALU_DEP_1)
	v_cmp_gt_f64_e64 s3, v[5:6], v[7:8]
	s_or_b32 vcc_lo, vcc_lo, s3
	v_dual_cndmask_b32 v6, v8, v6 :: v_dual_cndmask_b32 v5, v7, v5
	v_add_co_u32 v7, vcc_lo, v21, s12
	v_add_co_ci_u32_e32 v8, vcc_lo, s13, v22, vcc_lo
	global_store_b64 v[7:8], v[5:6], off
	s_or_b32 exec_lo, exec_lo, s10
	s_and_saveexec_b32 s3, s0
	s_cbranch_execz .LBB128_18
.LBB128_22:                             ;   in Loop: Header=BB128_9 Depth=1
	s_waitcnt vmcnt(0)
	v_mul_f64 v[5:6], v[9:10], s[16:17]
	v_cmp_u_f64_e32 vcc_lo, v[1:2], v[1:2]
	s_delay_alu instid0(VALU_DEP_2) | instskip(NEXT) | instid1(VALU_DEP_1)
	v_cmp_gt_f64_e64 s0, v[1:2], v[5:6]
	s_or_b32 vcc_lo, vcc_lo, s0
	v_dual_cndmask_b32 v2, v6, v2 :: v_dual_cndmask_b32 v1, v5, v1
	v_add_co_u32 v5, vcc_lo, v45, s12
	v_add_co_ci_u32_e32 v6, vcc_lo, s13, v46, vcc_lo
	global_store_b64 v[5:6], v[1:2], off
	s_or_b32 exec_lo, exec_lo, s3
	s_and_saveexec_b32 s3, s1
	s_cbranch_execz .LBB128_19
.LBB128_23:                             ;   in Loop: Header=BB128_9 Depth=1
	s_waitcnt vmcnt(0)
	v_mul_f64 v[1:2], v[13:14], s[16:17]
	v_cmp_u_f64_e32 vcc_lo, v[11:12], v[11:12]
	s_delay_alu instid0(VALU_DEP_2) | instskip(NEXT) | instid1(VALU_DEP_1)
	v_cmp_gt_f64_e64 s0, v[11:12], v[1:2]
	s_or_b32 vcc_lo, vcc_lo, s0
	v_dual_cndmask_b32 v2, v2, v12 :: v_dual_cndmask_b32 v1, v1, v11
	v_add_co_u32 v5, vcc_lo, v36, s12
	v_add_co_ci_u32_e32 v6, vcc_lo, s13, v37, vcc_lo
	global_store_b64 v[5:6], v[1:2], off
	s_or_b32 exec_lo, exec_lo, s3
	s_and_saveexec_b32 s1, s2
	s_cbranch_execz .LBB128_8
.LBB128_24:                             ;   in Loop: Header=BB128_9 Depth=1
	s_waitcnt vmcnt(0)
	v_mul_f64 v[1:2], v[15:16], s[16:17]
	v_cmp_u_f64_e32 vcc_lo, v[3:4], v[3:4]
	s_delay_alu instid0(VALU_DEP_2) | instskip(NEXT) | instid1(VALU_DEP_1)
	v_cmp_gt_f64_e64 s0, v[3:4], v[1:2]
	s_or_b32 vcc_lo, vcc_lo, s0
	v_dual_cndmask_b32 v2, v2, v4 :: v_dual_cndmask_b32 v1, v1, v3
	v_add_co_u32 v3, vcc_lo, v27, s12
	v_add_co_ci_u32_e32 v4, vcc_lo, s13, v28, vcc_lo
	global_store_b64 v[3:4], v[1:2], off
	s_branch .LBB128_8
.LBB128_25:
	s_nop 0
	s_sendmsg sendmsg(MSG_DEALLOC_VGPRS)
	s_endpgm
	.section	.rodata,"a",@progbits
	.p2align	6, 0x0
	.amdhsa_kernel _ZN2at6native12_GLOBAL__N_125multi_tensor_apply_kernelINS1_18TensorListMetadataILi3EEENS1_24BinaryOpListAlphaFunctorIdLi3ELi2ELi2EEEJNS0_7maximumIdEEdEEEvT_T0_DpT1_
		.amdhsa_group_segment_fixed_size 0
		.amdhsa_private_segment_fixed_size 0
		.amdhsa_kernarg_size 3416
		.amdhsa_user_sgpr_count 15
		.amdhsa_user_sgpr_dispatch_ptr 0
		.amdhsa_user_sgpr_queue_ptr 0
		.amdhsa_user_sgpr_kernarg_segment_ptr 1
		.amdhsa_user_sgpr_dispatch_id 0
		.amdhsa_user_sgpr_private_segment_size 0
		.amdhsa_wavefront_size32 1
		.amdhsa_uses_dynamic_stack 0
		.amdhsa_enable_private_segment 0
		.amdhsa_system_sgpr_workgroup_id_x 1
		.amdhsa_system_sgpr_workgroup_id_y 0
		.amdhsa_system_sgpr_workgroup_id_z 0
		.amdhsa_system_sgpr_workgroup_info 0
		.amdhsa_system_vgpr_workitem_id 0
		.amdhsa_next_free_vgpr 47
		.amdhsa_next_free_sgpr 35
		.amdhsa_reserve_vcc 1
		.amdhsa_float_round_mode_32 0
		.amdhsa_float_round_mode_16_64 0
		.amdhsa_float_denorm_mode_32 3
		.amdhsa_float_denorm_mode_16_64 3
		.amdhsa_dx10_clamp 1
		.amdhsa_ieee_mode 1
		.amdhsa_fp16_overflow 0
		.amdhsa_workgroup_processor_mode 1
		.amdhsa_memory_ordered 1
		.amdhsa_forward_progress 0
		.amdhsa_shared_vgpr_count 0
		.amdhsa_exception_fp_ieee_invalid_op 0
		.amdhsa_exception_fp_denorm_src 0
		.amdhsa_exception_fp_ieee_div_zero 0
		.amdhsa_exception_fp_ieee_overflow 0
		.amdhsa_exception_fp_ieee_underflow 0
		.amdhsa_exception_fp_ieee_inexact 0
		.amdhsa_exception_int_div_zero 0
	.end_amdhsa_kernel
	.section	.text._ZN2at6native12_GLOBAL__N_125multi_tensor_apply_kernelINS1_18TensorListMetadataILi3EEENS1_24BinaryOpListAlphaFunctorIdLi3ELi2ELi2EEEJNS0_7maximumIdEEdEEEvT_T0_DpT1_,"axG",@progbits,_ZN2at6native12_GLOBAL__N_125multi_tensor_apply_kernelINS1_18TensorListMetadataILi3EEENS1_24BinaryOpListAlphaFunctorIdLi3ELi2ELi2EEEJNS0_7maximumIdEEdEEEvT_T0_DpT1_,comdat
.Lfunc_end128:
	.size	_ZN2at6native12_GLOBAL__N_125multi_tensor_apply_kernelINS1_18TensorListMetadataILi3EEENS1_24BinaryOpListAlphaFunctorIdLi3ELi2ELi2EEEJNS0_7maximumIdEEdEEEvT_T0_DpT1_, .Lfunc_end128-_ZN2at6native12_GLOBAL__N_125multi_tensor_apply_kernelINS1_18TensorListMetadataILi3EEENS1_24BinaryOpListAlphaFunctorIdLi3ELi2ELi2EEEJNS0_7maximumIdEEdEEEvT_T0_DpT1_
                                        ; -- End function
	.section	.AMDGPU.csdata,"",@progbits
; Kernel info:
; codeLenInByte = 2076
; NumSgprs: 37
; NumVgprs: 47
; ScratchSize: 0
; MemoryBound: 0
; FloatMode: 240
; IeeeMode: 1
; LDSByteSize: 0 bytes/workgroup (compile time only)
; SGPRBlocks: 4
; VGPRBlocks: 5
; NumSGPRsForWavesPerEU: 37
; NumVGPRsForWavesPerEU: 47
; Occupancy: 16
; WaveLimiterHint : 0
; COMPUTE_PGM_RSRC2:SCRATCH_EN: 0
; COMPUTE_PGM_RSRC2:USER_SGPR: 15
; COMPUTE_PGM_RSRC2:TRAP_HANDLER: 0
; COMPUTE_PGM_RSRC2:TGID_X_EN: 1
; COMPUTE_PGM_RSRC2:TGID_Y_EN: 0
; COMPUTE_PGM_RSRC2:TGID_Z_EN: 0
; COMPUTE_PGM_RSRC2:TIDIG_COMP_CNT: 0
	.section	.text._ZN2at6native12_GLOBAL__N_125multi_tensor_apply_kernelINS1_18TensorListMetadataILi3EEENS1_24BinaryOpListAlphaFunctorIfLi3ELi2ELi2EEEJNS0_7maximumIfEEfEEEvT_T0_DpT1_,"axG",@progbits,_ZN2at6native12_GLOBAL__N_125multi_tensor_apply_kernelINS1_18TensorListMetadataILi3EEENS1_24BinaryOpListAlphaFunctorIfLi3ELi2ELi2EEEJNS0_7maximumIfEEfEEEvT_T0_DpT1_,comdat
	.globl	_ZN2at6native12_GLOBAL__N_125multi_tensor_apply_kernelINS1_18TensorListMetadataILi3EEENS1_24BinaryOpListAlphaFunctorIfLi3ELi2ELi2EEEJNS0_7maximumIfEEfEEEvT_T0_DpT1_ ; -- Begin function _ZN2at6native12_GLOBAL__N_125multi_tensor_apply_kernelINS1_18TensorListMetadataILi3EEENS1_24BinaryOpListAlphaFunctorIfLi3ELi2ELi2EEEJNS0_7maximumIfEEfEEEvT_T0_DpT1_
	.p2align	8
	.type	_ZN2at6native12_GLOBAL__N_125multi_tensor_apply_kernelINS1_18TensorListMetadataILi3EEENS1_24BinaryOpListAlphaFunctorIfLi3ELi2ELi2EEEJNS0_7maximumIfEEfEEEvT_T0_DpT1_,@function
_ZN2at6native12_GLOBAL__N_125multi_tensor_apply_kernelINS1_18TensorListMetadataILi3EEENS1_24BinaryOpListAlphaFunctorIfLi3ELi2ELi2EEEJNS0_7maximumIfEEfEEEvT_T0_DpT1_: ; @_ZN2at6native12_GLOBAL__N_125multi_tensor_apply_kernelINS1_18TensorListMetadataILi3EEENS1_24BinaryOpListAlphaFunctorIfLi3ELi2ELi2EEEJNS0_7maximumIfEEfEEEvT_T0_DpT1_
; %bb.0:
	v_mov_b32_e32 v1, s15
	s_add_u32 s2, s0, s15
	s_mul_hi_u32 s3, s15, 3
	s_mul_i32 s15, s15, 3
	s_addc_u32 s4, s1, 0
	global_load_u8 v1, v1, s[0:1] offset:1536
	s_load_b32 s20, s[0:1], 0xc4c
	s_add_u32 s2, s2, s15
	s_addc_u32 s3, s4, s3
	s_load_b32 s2, s[2:3], 0x740
	s_waitcnt vmcnt(0)
	v_readfirstlane_b32 s3, v1
	s_delay_alu instid0(VALU_DEP_1)
	s_lshl_b32 s3, s3, 3
	s_clause 0x3
	s_load_b64 s[14:15], s[0:1], s3 offset:0x0
	s_load_b64 s[16:17], s[0:1], s3 offset:0x180
	;; [unrolled: 1-line block ×4, first 2 shown]
	s_waitcnt lgkmcnt(0)
	s_ashr_i32 s3, s2, 31
	s_delay_alu instid0(SALU_CYCLE_1) | instskip(NEXT) | instid1(SALU_CYCLE_1)
	s_lshl_b64 s[10:11], s[2:3], 18
	s_add_u32 s9, s14, s10
	s_addc_u32 s21, s15, s11
	s_and_b32 s6, s9, 15
	s_add_u32 s22, s16, s10
	s_addc_u32 s23, s17, s11
	s_add_u32 s24, s18, s10
	s_addc_u32 s25, s19, s11
	s_or_b32 s7, s24, s22
	s_delay_alu instid0(SALU_CYCLE_1) | instskip(NEXT) | instid1(SALU_CYCLE_1)
	s_and_b32 s7, s7, 15
	s_cmp_lg_u32 s7, 0
	s_mov_b32 s7, 0
	s_cselect_b32 s8, -1, 0
	s_lshl_b64 s[2:3], s[2:3], 16
	s_mov_b32 s27, s7
	s_sub_u32 s12, s4, s2
	s_subb_u32 s13, s5, s3
	s_and_b32 s26, s4, 3
	s_delay_alu instid0(SALU_CYCLE_1) | instskip(NEXT) | instid1(SALU_CYCLE_1)
	s_or_b64 s[2:3], s[6:7], s[26:27]
	s_cmp_lg_u64 s[2:3], 0
	s_cselect_b32 s2, -1, 0
	s_delay_alu instid0(SALU_CYCLE_1) | instskip(NEXT) | instid1(SALU_CYCLE_1)
	s_or_b32 s2, s8, s2
	s_and_not1_b32 vcc_lo, exec_lo, s2
	s_mov_b32 s2, -1
	s_cbranch_vccz .LBB129_5
; %bb.1:
	v_dual_mov_b32 v2, 0 :: v_dual_lshlrev_b32 v1, 2, v0
	s_mov_b32 s26, exec_lo
	s_delay_alu instid0(VALU_DEP_1)
	v_cmpx_gt_i64_e64 s[12:13], v[1:2]
	s_cbranch_execz .LBB129_4
; %bb.2:
	s_load_b32 s2, s[0:1], 0xc5c
	v_lshlrev_b32_e32 v3, 4, v0
	s_mov_b32 s27, 0
	s_waitcnt lgkmcnt(0)
	s_and_b32 s2, s2, 0xffff
	s_delay_alu instid0(SALU_CYCLE_1)
	v_add_lshl_u32 v1, v0, s2, 2
	s_lshl_b32 s28, s2, 2
	s_lshl_b32 s29, s2, 4
.LBB129_3:                              ; =>This Inner Loop Header: Depth=1
	v_add_co_u32 v4, s2, s22, v3
	s_delay_alu instid0(VALU_DEP_1) | instskip(SKIP_1) | instid1(VALU_DEP_1)
	v_add_co_ci_u32_e64 v5, null, s23, 0, s2
	v_add_co_u32 v8, s2, s9, v3
	v_add_co_ci_u32_e64 v9, null, s21, 0, s2
	global_load_b128 v[4:7], v[4:5], off
	global_load_b128 v[8:11], v[8:9], off
	v_cmp_le_i64_e32 vcc_lo, s[12:13], v[1:2]
	v_cmp_lt_u64_e64 s2, 0xffff, v[1:2]
	v_add_co_u32 v12, s3, s24, v3
	s_delay_alu instid0(VALU_DEP_1) | instskip(SKIP_1) | instid1(VALU_DEP_4)
	v_add_co_ci_u32_e64 v13, null, s25, 0, s3
	v_add_co_u32 v1, s3, v1, s28
	s_or_b32 s30, vcc_lo, s2
	v_add_co_ci_u32_e64 v2, s3, 0, v2, s3
	s_waitcnt vmcnt(1)
	v_dual_mul_f32 v4, s20, v4 :: v_dual_mul_f32 v5, s20, v5
	v_dual_mul_f32 v6, s20, v6 :: v_dual_mul_f32 v7, s20, v7
	s_waitcnt vmcnt(0)
	v_cmp_u_f32_e32 vcc_lo, v8, v8
	s_delay_alu instid0(VALU_DEP_3)
	v_cmp_gt_f32_e64 s5, v8, v4
	v_cmp_u_f32_e64 s2, v9, v9
	v_cmp_gt_f32_e64 s6, v9, v5
	v_cmp_u_f32_e64 s3, v10, v10
	v_cmp_gt_f32_e64 s7, v10, v6
	s_or_b32 vcc_lo, vcc_lo, s5
	v_cmp_u_f32_e64 s4, v11, v11
	v_cmp_gt_f32_e64 s8, v11, v7
	v_cndmask_b32_e32 v4, v4, v8, vcc_lo
	s_or_b32 vcc_lo, s2, s6
	v_cndmask_b32_e32 v5, v5, v9, vcc_lo
	s_or_b32 vcc_lo, s3, s7
	;; [unrolled: 2-line block ×3, first 2 shown]
	s_add_u32 s9, s9, s29
	v_cndmask_b32_e32 v7, v7, v11, vcc_lo
	s_addc_u32 s21, s21, 0
	s_add_u32 s24, s24, s29
	s_addc_u32 s25, s25, 0
	s_add_u32 s22, s22, s29
	s_addc_u32 s23, s23, 0
	s_and_b32 s2, exec_lo, s30
	global_store_b128 v[12:13], v[4:7], off
	s_or_b32 s27, s2, s27
	s_delay_alu instid0(SALU_CYCLE_1)
	s_and_not1_b32 exec_lo, exec_lo, s27
	s_cbranch_execnz .LBB129_3
.LBB129_4:
	s_or_b32 exec_lo, exec_lo, s26
	s_mov_b32 s2, 0
.LBB129_5:
	s_delay_alu instid0(SALU_CYCLE_1)
	s_and_not1_b32 vcc_lo, exec_lo, s2
	s_cbranch_vccnz .LBB129_25
; %bb.6:
	v_cmp_lt_i64_e64 s2, s[12:13], 1
	s_delay_alu instid0(VALU_DEP_1)
	s_and_b32 vcc_lo, exec_lo, s2
	s_cbranch_vccnz .LBB129_25
; %bb.7:
	s_load_b32 s0, s[0:1], 0xc5c
	v_dual_mov_b32 v14, 0 :: v_dual_lshlrev_b32 v13, 2, v0
	v_cmp_gt_u64_e64 s1, 0x10000, s[12:13]
	s_mov_b64 s[8:9], 0
	s_delay_alu instid0(VALU_DEP_2) | instskip(NEXT) | instid1(VALU_DEP_1)
	v_add_co_u32 v1, s2, s14, v13
	v_add_co_ci_u32_e64 v2, null, s15, 0, s2
	v_add_co_u32 v3, s2, s16, v13
	s_delay_alu instid0(VALU_DEP_1) | instskip(SKIP_1) | instid1(VALU_DEP_1)
	v_add_co_ci_u32_e64 v4, null, s17, 0, s2
	v_add_co_u32 v5, s2, s18, v13
	v_add_co_ci_u32_e64 v6, null, s19, 0, s2
	s_waitcnt lgkmcnt(0)
	s_and_b32 s0, s0, 0xffff
	s_and_b32 s1, s1, exec_lo
	v_mad_u64_u32 v[11:12], null, s0, 12, v[13:14]
	s_cselect_b32 s7, s13, 0
	s_cselect_b32 s6, s12, 0x10000
	s_mul_i32 s2, s0, 3
	s_lshl_b32 s3, s0, 3
	s_lshl_b32 s1, s0, 1
	v_add_co_u32 v20, s3, s3, v13
	v_add_co_u32 v13, s2, s2, v0
	v_add_co_u32 v7, vcc_lo, s14, v11
	v_add_co_ci_u32_e64 v14, null, 0, 0, s2
	v_add_co_u32 v19, s2, v0, s0
	v_add_co_ci_u32_e32 v8, vcc_lo, s15, v12, vcc_lo
	v_add_co_u32 v9, vcc_lo, s16, v11
	v_add_co_ci_u32_e32 v10, vcc_lo, s17, v12, vcc_lo
	v_add_co_u32 v11, vcc_lo, s18, v11
	v_add_co_ci_u32_e64 v21, null, 0, 0, s3
	v_lshlrev_b32_e32 v29, 2, v19
	v_add_co_ci_u32_e32 v12, vcc_lo, s19, v12, vcc_lo
	v_add_co_u32 v15, vcc_lo, s14, v20
	v_add_co_u32 v23, s1, s1, v0
	v_add_co_ci_u32_e32 v16, vcc_lo, s15, v21, vcc_lo
	v_add_co_ci_u32_e64 v24, null, 0, 0, s1
	v_add_co_u32 v25, s1, s14, v29
	v_add_co_u32 v17, vcc_lo, s16, v20
	v_add_co_ci_u32_e64 v26, null, s15, 0, s1
	v_add_co_u32 v27, s1, s16, v29
	v_add_co_ci_u32_e32 v18, vcc_lo, s17, v21, vcc_lo
	v_add_co_u32 v20, vcc_lo, s18, v20
	v_add_co_ci_u32_e64 v28, null, s17, 0, s1
	v_add_co_u32 v29, s1, s18, v29
	v_add_co_ci_u32_e32 v21, vcc_lo, s19, v21, vcc_lo
	v_add_co_ci_u32_e64 v22, null, 0, 0, s2
	v_add_co_ci_u32_e64 v30, null, s19, 0, s1
	s_lshl_b32 s5, s0, 2
	s_lshl_b32 s14, s0, 4
	s_branch .LBB129_9
.LBB129_8:                              ;   in Loop: Header=BB129_9 Depth=1
	s_or_b32 exec_lo, exec_lo, s1
	v_add_co_u32 v1, vcc_lo, v1, s14
	v_add_co_ci_u32_e32 v2, vcc_lo, 0, v2, vcc_lo
	v_add_co_u32 v3, vcc_lo, v3, s14
	v_add_co_ci_u32_e32 v4, vcc_lo, 0, v4, vcc_lo
	;; [unrolled: 2-line block ×9, first 2 shown]
	s_add_u32 s8, s8, s5
	v_add_co_u32 v25, vcc_lo, v25, s14
	s_addc_u32 s9, s9, 0
	v_add_co_ci_u32_e32 v26, vcc_lo, 0, v26, vcc_lo
	v_cmp_ge_i64_e64 s0, s[8:9], s[12:13]
	v_cmp_lt_u64_e64 s1, 0xffff, s[8:9]
	v_add_co_u32 v27, vcc_lo, v27, s14
	v_add_co_ci_u32_e32 v28, vcc_lo, 0, v28, vcc_lo
	v_add_co_u32 v29, vcc_lo, v29, s14
	v_add_co_ci_u32_e32 v30, vcc_lo, 0, v30, vcc_lo
	s_or_b32 s0, s0, s1
	s_delay_alu instid0(SALU_CYCLE_1)
	s_and_b32 vcc_lo, exec_lo, s0
	s_cbranch_vccnz .LBB129_25
.LBB129_9:                              ; =>This Inner Loop Header: Depth=1
	s_waitcnt vmcnt(1)
	v_add_co_u32 v31, s0, v0, s8
	s_delay_alu instid0(VALU_DEP_1) | instskip(SKIP_2) | instid1(VALU_DEP_2)
	v_add_co_ci_u32_e64 v32, null, 0, s9, s0
	s_waitcnt vmcnt(0)
	v_mov_b32_e32 v33, 0
	v_cmp_gt_u64_e32 vcc_lo, s[6:7], v[31:32]
	v_mov_b32_e32 v32, 0
	s_and_saveexec_b32 s1, vcc_lo
	s_cbranch_execz .LBB129_11
; %bb.10:                               ;   in Loop: Header=BB129_9 Depth=1
	v_add_co_u32 v31, s0, v1, s10
	s_delay_alu instid0(VALU_DEP_1) | instskip(SKIP_1) | instid1(VALU_DEP_1)
	v_add_co_ci_u32_e64 v32, s0, s11, v2, s0
	v_add_co_u32 v33, s0, v3, s10
	v_add_co_ci_u32_e64 v34, s0, s11, v4, s0
	global_load_b32 v32, v[31:32], off
	global_load_b32 v33, v[33:34], off
.LBB129_11:                             ;   in Loop: Header=BB129_9 Depth=1
	s_or_b32 exec_lo, exec_lo, s1
	v_add_co_u32 v34, s0, v19, s8
	s_delay_alu instid0(VALU_DEP_1) | instskip(SKIP_1) | instid1(VALU_DEP_2)
	v_add_co_ci_u32_e64 v35, s0, s9, v22, s0
	v_mov_b32_e32 v31, 0
	v_cmp_gt_u64_e64 s0, s[6:7], v[34:35]
	v_dual_mov_b32 v34, 0 :: v_dual_mov_b32 v35, 0
	s_delay_alu instid0(VALU_DEP_2)
	s_and_saveexec_b32 s2, s0
	s_cbranch_execz .LBB129_13
; %bb.12:                               ;   in Loop: Header=BB129_9 Depth=1
	v_add_co_u32 v34, s1, v25, s10
	s_delay_alu instid0(VALU_DEP_1) | instskip(SKIP_1) | instid1(VALU_DEP_1)
	v_add_co_ci_u32_e64 v35, s1, s11, v26, s1
	v_add_co_u32 v36, s1, v27, s10
	v_add_co_ci_u32_e64 v37, s1, s11, v28, s1
	global_load_b32 v34, v[34:35], off
	global_load_b32 v35, v[36:37], off
.LBB129_13:                             ;   in Loop: Header=BB129_9 Depth=1
	s_or_b32 exec_lo, exec_lo, s2
	v_add_co_u32 v36, s1, v23, s8
	s_delay_alu instid0(VALU_DEP_1) | instskip(NEXT) | instid1(VALU_DEP_1)
	v_add_co_ci_u32_e64 v37, s1, s9, v24, s1
	v_cmp_gt_u64_e64 s1, s[6:7], v[36:37]
	v_mov_b32_e32 v36, 0
	s_delay_alu instid0(VALU_DEP_2)
	s_and_saveexec_b32 s3, s1
	s_cbranch_execz .LBB129_15
; %bb.14:                               ;   in Loop: Header=BB129_9 Depth=1
	v_add_co_u32 v36, s2, v15, s10
	s_delay_alu instid0(VALU_DEP_1) | instskip(SKIP_1) | instid1(VALU_DEP_1)
	v_add_co_ci_u32_e64 v37, s2, s11, v16, s2
	v_add_co_u32 v38, s2, v17, s10
	v_add_co_ci_u32_e64 v39, s2, s11, v18, s2
	global_load_b32 v31, v[36:37], off
	global_load_b32 v36, v[38:39], off
.LBB129_15:                             ;   in Loop: Header=BB129_9 Depth=1
	s_or_b32 exec_lo, exec_lo, s3
	v_add_co_u32 v37, s2, v13, s8
	s_delay_alu instid0(VALU_DEP_1) | instskip(NEXT) | instid1(VALU_DEP_1)
	v_add_co_ci_u32_e64 v38, s2, s9, v14, s2
	v_cmp_gt_u64_e64 s2, s[6:7], v[37:38]
	v_dual_mov_b32 v37, 0 :: v_dual_mov_b32 v38, 0
	s_delay_alu instid0(VALU_DEP_2)
	s_and_saveexec_b32 s4, s2
	s_cbranch_execnz .LBB129_20
; %bb.16:                               ;   in Loop: Header=BB129_9 Depth=1
	s_or_b32 exec_lo, exec_lo, s4
	s_and_saveexec_b32 s15, vcc_lo
	s_cbranch_execnz .LBB129_21
.LBB129_17:                             ;   in Loop: Header=BB129_9 Depth=1
	s_or_b32 exec_lo, exec_lo, s15
	s_and_saveexec_b32 s3, s0
	s_cbranch_execnz .LBB129_22
.LBB129_18:                             ;   in Loop: Header=BB129_9 Depth=1
	s_or_b32 exec_lo, exec_lo, s3
	s_and_saveexec_b32 s3, s1
	s_cbranch_execnz .LBB129_23
.LBB129_19:                             ;   in Loop: Header=BB129_9 Depth=1
	s_or_b32 exec_lo, exec_lo, s3
	s_and_saveexec_b32 s1, s2
	s_cbranch_execz .LBB129_8
	s_branch .LBB129_24
.LBB129_20:                             ;   in Loop: Header=BB129_9 Depth=1
	v_add_co_u32 v37, s3, v7, s10
	s_delay_alu instid0(VALU_DEP_1) | instskip(SKIP_1) | instid1(VALU_DEP_1)
	v_add_co_ci_u32_e64 v38, s3, s11, v8, s3
	v_add_co_u32 v39, s3, v9, s10
	v_add_co_ci_u32_e64 v40, s3, s11, v10, s3
	global_load_b32 v37, v[37:38], off
	global_load_b32 v38, v[39:40], off
	s_or_b32 exec_lo, exec_lo, s4
	s_and_saveexec_b32 s15, vcc_lo
	s_cbranch_execz .LBB129_17
.LBB129_21:                             ;   in Loop: Header=BB129_9 Depth=1
	s_waitcnt vmcnt(0)
	v_mul_f32_e32 v33, s20, v33
	v_cmp_u_f32_e32 vcc_lo, v32, v32
	v_add_co_u32 v39, s4, v5, s10
	s_delay_alu instid0(VALU_DEP_1) | instskip(NEXT) | instid1(VALU_DEP_4)
	v_add_co_ci_u32_e64 v40, s4, s11, v6, s4
	v_cmp_gt_f32_e64 s3, v32, v33
	s_delay_alu instid0(VALU_DEP_1)
	s_or_b32 vcc_lo, vcc_lo, s3
	v_cndmask_b32_e32 v32, v33, v32, vcc_lo
	global_store_b32 v[39:40], v32, off
	s_or_b32 exec_lo, exec_lo, s15
	s_and_saveexec_b32 s3, s0
	s_cbranch_execz .LBB129_18
.LBB129_22:                             ;   in Loop: Header=BB129_9 Depth=1
	s_waitcnt vmcnt(0)
	v_mul_f32_e32 v32, s20, v35
	v_cmp_u_f32_e32 vcc_lo, v34, v34
	s_delay_alu instid0(VALU_DEP_2) | instskip(NEXT) | instid1(VALU_DEP_1)
	v_cmp_gt_f32_e64 s0, v34, v32
	s_or_b32 vcc_lo, vcc_lo, s0
	v_cndmask_b32_e32 v34, v32, v34, vcc_lo
	v_add_co_u32 v32, vcc_lo, v29, s10
	v_add_co_ci_u32_e32 v33, vcc_lo, s11, v30, vcc_lo
	global_store_b32 v[32:33], v34, off
	s_or_b32 exec_lo, exec_lo, s3
	s_and_saveexec_b32 s3, s1
	s_cbranch_execz .LBB129_19
.LBB129_23:                             ;   in Loop: Header=BB129_9 Depth=1
	s_waitcnt vmcnt(0)
	v_mul_f32_e32 v32, s20, v36
	v_cmp_u_f32_e32 vcc_lo, v31, v31
	s_delay_alu instid0(VALU_DEP_2) | instskip(NEXT) | instid1(VALU_DEP_1)
	v_cmp_gt_f32_e64 s0, v31, v32
	s_or_b32 vcc_lo, vcc_lo, s0
	v_cndmask_b32_e32 v33, v32, v31, vcc_lo
	v_add_co_u32 v31, vcc_lo, v20, s10
	v_add_co_ci_u32_e32 v32, vcc_lo, s11, v21, vcc_lo
	global_store_b32 v[31:32], v33, off
	s_or_b32 exec_lo, exec_lo, s3
	s_and_saveexec_b32 s1, s2
	s_cbranch_execz .LBB129_8
.LBB129_24:                             ;   in Loop: Header=BB129_9 Depth=1
	s_waitcnt vmcnt(0)
	v_mul_f32_e32 v31, s20, v38
	v_cmp_u_f32_e32 vcc_lo, v37, v37
	s_delay_alu instid0(VALU_DEP_2) | instskip(NEXT) | instid1(VALU_DEP_1)
	v_cmp_gt_f32_e64 s0, v37, v31
	s_or_b32 vcc_lo, vcc_lo, s0
	v_cndmask_b32_e32 v33, v31, v37, vcc_lo
	v_add_co_u32 v31, vcc_lo, v11, s10
	v_add_co_ci_u32_e32 v32, vcc_lo, s11, v12, vcc_lo
	global_store_b32 v[31:32], v33, off
	s_branch .LBB129_8
.LBB129_25:
	s_nop 0
	s_sendmsg sendmsg(MSG_DEALLOC_VGPRS)
	s_endpgm
	.section	.rodata,"a",@progbits
	.p2align	6, 0x0
	.amdhsa_kernel _ZN2at6native12_GLOBAL__N_125multi_tensor_apply_kernelINS1_18TensorListMetadataILi3EEENS1_24BinaryOpListAlphaFunctorIfLi3ELi2ELi2EEEJNS0_7maximumIfEEfEEEvT_T0_DpT1_
		.amdhsa_group_segment_fixed_size 0
		.amdhsa_private_segment_fixed_size 0
		.amdhsa_kernarg_size 3408
		.amdhsa_user_sgpr_count 15
		.amdhsa_user_sgpr_dispatch_ptr 0
		.amdhsa_user_sgpr_queue_ptr 0
		.amdhsa_user_sgpr_kernarg_segment_ptr 1
		.amdhsa_user_sgpr_dispatch_id 0
		.amdhsa_user_sgpr_private_segment_size 0
		.amdhsa_wavefront_size32 1
		.amdhsa_uses_dynamic_stack 0
		.amdhsa_enable_private_segment 0
		.amdhsa_system_sgpr_workgroup_id_x 1
		.amdhsa_system_sgpr_workgroup_id_y 0
		.amdhsa_system_sgpr_workgroup_id_z 0
		.amdhsa_system_sgpr_workgroup_info 0
		.amdhsa_system_vgpr_workitem_id 0
		.amdhsa_next_free_vgpr 41
		.amdhsa_next_free_sgpr 31
		.amdhsa_reserve_vcc 1
		.amdhsa_float_round_mode_32 0
		.amdhsa_float_round_mode_16_64 0
		.amdhsa_float_denorm_mode_32 3
		.amdhsa_float_denorm_mode_16_64 3
		.amdhsa_dx10_clamp 1
		.amdhsa_ieee_mode 1
		.amdhsa_fp16_overflow 0
		.amdhsa_workgroup_processor_mode 1
		.amdhsa_memory_ordered 1
		.amdhsa_forward_progress 0
		.amdhsa_shared_vgpr_count 0
		.amdhsa_exception_fp_ieee_invalid_op 0
		.amdhsa_exception_fp_denorm_src 0
		.amdhsa_exception_fp_ieee_div_zero 0
		.amdhsa_exception_fp_ieee_overflow 0
		.amdhsa_exception_fp_ieee_underflow 0
		.amdhsa_exception_fp_ieee_inexact 0
		.amdhsa_exception_int_div_zero 0
	.end_amdhsa_kernel
	.section	.text._ZN2at6native12_GLOBAL__N_125multi_tensor_apply_kernelINS1_18TensorListMetadataILi3EEENS1_24BinaryOpListAlphaFunctorIfLi3ELi2ELi2EEEJNS0_7maximumIfEEfEEEvT_T0_DpT1_,"axG",@progbits,_ZN2at6native12_GLOBAL__N_125multi_tensor_apply_kernelINS1_18TensorListMetadataILi3EEENS1_24BinaryOpListAlphaFunctorIfLi3ELi2ELi2EEEJNS0_7maximumIfEEfEEEvT_T0_DpT1_,comdat
.Lfunc_end129:
	.size	_ZN2at6native12_GLOBAL__N_125multi_tensor_apply_kernelINS1_18TensorListMetadataILi3EEENS1_24BinaryOpListAlphaFunctorIfLi3ELi2ELi2EEEJNS0_7maximumIfEEfEEEvT_T0_DpT1_, .Lfunc_end129-_ZN2at6native12_GLOBAL__N_125multi_tensor_apply_kernelINS1_18TensorListMetadataILi3EEENS1_24BinaryOpListAlphaFunctorIfLi3ELi2ELi2EEEJNS0_7maximumIfEEfEEEvT_T0_DpT1_
                                        ; -- End function
	.section	.AMDGPU.csdata,"",@progbits
; Kernel info:
; codeLenInByte = 1896
; NumSgprs: 33
; NumVgprs: 41
; ScratchSize: 0
; MemoryBound: 0
; FloatMode: 240
; IeeeMode: 1
; LDSByteSize: 0 bytes/workgroup (compile time only)
; SGPRBlocks: 4
; VGPRBlocks: 5
; NumSGPRsForWavesPerEU: 33
; NumVGPRsForWavesPerEU: 41
; Occupancy: 16
; WaveLimiterHint : 0
; COMPUTE_PGM_RSRC2:SCRATCH_EN: 0
; COMPUTE_PGM_RSRC2:USER_SGPR: 15
; COMPUTE_PGM_RSRC2:TRAP_HANDLER: 0
; COMPUTE_PGM_RSRC2:TGID_X_EN: 1
; COMPUTE_PGM_RSRC2:TGID_Y_EN: 0
; COMPUTE_PGM_RSRC2:TGID_Z_EN: 0
; COMPUTE_PGM_RSRC2:TIDIG_COMP_CNT: 0
	.section	.text._ZN2at6native12_GLOBAL__N_125multi_tensor_apply_kernelINS1_18TensorListMetadataILi3EEENS1_24BinaryOpListAlphaFunctorIN3c108BFloat16ELi3ELi2ELi2EEEJNS0_7maximumIfEEfEEEvT_T0_DpT1_,"axG",@progbits,_ZN2at6native12_GLOBAL__N_125multi_tensor_apply_kernelINS1_18TensorListMetadataILi3EEENS1_24BinaryOpListAlphaFunctorIN3c108BFloat16ELi3ELi2ELi2EEEJNS0_7maximumIfEEfEEEvT_T0_DpT1_,comdat
	.globl	_ZN2at6native12_GLOBAL__N_125multi_tensor_apply_kernelINS1_18TensorListMetadataILi3EEENS1_24BinaryOpListAlphaFunctorIN3c108BFloat16ELi3ELi2ELi2EEEJNS0_7maximumIfEEfEEEvT_T0_DpT1_ ; -- Begin function _ZN2at6native12_GLOBAL__N_125multi_tensor_apply_kernelINS1_18TensorListMetadataILi3EEENS1_24BinaryOpListAlphaFunctorIN3c108BFloat16ELi3ELi2ELi2EEEJNS0_7maximumIfEEfEEEvT_T0_DpT1_
	.p2align	8
	.type	_ZN2at6native12_GLOBAL__N_125multi_tensor_apply_kernelINS1_18TensorListMetadataILi3EEENS1_24BinaryOpListAlphaFunctorIN3c108BFloat16ELi3ELi2ELi2EEEJNS0_7maximumIfEEfEEEvT_T0_DpT1_,@function
_ZN2at6native12_GLOBAL__N_125multi_tensor_apply_kernelINS1_18TensorListMetadataILi3EEENS1_24BinaryOpListAlphaFunctorIN3c108BFloat16ELi3ELi2ELi2EEEJNS0_7maximumIfEEfEEEvT_T0_DpT1_: ; @_ZN2at6native12_GLOBAL__N_125multi_tensor_apply_kernelINS1_18TensorListMetadataILi3EEENS1_24BinaryOpListAlphaFunctorIN3c108BFloat16ELi3ELi2ELi2EEEJNS0_7maximumIfEEfEEEvT_T0_DpT1_
; %bb.0:
	v_mov_b32_e32 v1, s15
	s_add_u32 s2, s0, s15
	s_mul_hi_u32 s3, s15, 3
	s_mul_i32 s15, s15, 3
	s_addc_u32 s4, s1, 0
	global_load_u8 v1, v1, s[0:1] offset:1536
	s_load_b32 s11, s[0:1], 0xc4c
	s_add_u32 s2, s2, s15
	s_addc_u32 s3, s4, s3
	s_load_b32 s2, s[2:3], 0x740
	s_waitcnt vmcnt(0)
	v_readfirstlane_b32 s3, v1
	s_delay_alu instid0(VALU_DEP_1)
	s_lshl_b32 s3, s3, 3
	s_clause 0x3
	s_load_b64 s[18:19], s[0:1], s3 offset:0x180
	s_load_b64 s[16:17], s[0:1], s3 offset:0x300
	;; [unrolled: 1-line block ×4, first 2 shown]
	s_waitcnt lgkmcnt(0)
	s_ashr_i32 s3, s2, 31
	s_delay_alu instid0(SALU_CYCLE_1) | instskip(NEXT) | instid1(SALU_CYCLE_1)
	s_lshl_b64 s[12:13], s[2:3], 17
	s_add_u32 s6, s18, s12
	s_delay_alu instid0(SALU_CYCLE_1) | instskip(NEXT) | instid1(SALU_CYCLE_1)
	s_or_b32 s6, s16, s6
	s_and_b32 s7, s6, 7
	s_and_b32 s6, s20, 7
	s_cmp_lg_u32 s7, 0
	s_mov_b32 s7, 0
	s_cselect_b32 s10, -1, 0
	s_lshl_b64 s[2:3], s[2:3], 16
	s_mov_b32 s9, s7
	s_sub_u32 s14, s4, s2
	s_subb_u32 s15, s5, s3
	s_and_b32 s8, s4, 3
	s_delay_alu instid0(SALU_CYCLE_1) | instskip(NEXT) | instid1(SALU_CYCLE_1)
	s_or_b64 s[2:3], s[6:7], s[8:9]
	s_cmp_lg_u64 s[2:3], 0
	s_cselect_b32 s2, -1, 0
	s_delay_alu instid0(SALU_CYCLE_1) | instskip(NEXT) | instid1(SALU_CYCLE_1)
	s_or_b32 s2, s10, s2
	s_and_not1_b32 vcc_lo, exec_lo, s2
	s_mov_b32 s2, -1
	s_cbranch_vccz .LBB130_5
; %bb.1:
	v_dual_mov_b32 v2, 0 :: v_dual_lshlrev_b32 v1, 2, v0
	s_mov_b32 s22, exec_lo
	s_delay_alu instid0(VALU_DEP_1)
	v_cmpx_gt_i64_e64 s[14:15], v[1:2]
	s_cbranch_execz .LBB130_4
; %bb.2:
	s_load_b32 s2, s[0:1], 0xc5c
	v_lshlrev_b32_e32 v1, 3, v0
	s_mov_b32 s23, 0
	s_delay_alu instid0(VALU_DEP_1) | instskip(NEXT) | instid1(VALU_DEP_1)
	v_add_co_u32 v3, s3, s12, v1
	v_add_co_ci_u32_e64 v4, null, s13, 0, s3
	s_waitcnt lgkmcnt(0)
	s_and_b32 s2, s2, 0xffff
	s_delay_alu instid0(SALU_CYCLE_1)
	v_add_lshl_u32 v1, v0, s2, 2
	s_lshl_b32 s24, s2, 3
	s_lshl_b32 s25, s2, 2
.LBB130_3:                              ; =>This Inner Loop Header: Depth=1
	v_add_co_u32 v5, vcc_lo, s18, v3
	v_add_co_ci_u32_e32 v6, vcc_lo, s19, v4, vcc_lo
	v_add_co_u32 v7, vcc_lo, s20, v3
	v_add_co_ci_u32_e32 v8, vcc_lo, s21, v4, vcc_lo
	v_add_co_u32 v9, vcc_lo, s16, v3
	global_load_b64 v[5:6], v[5:6], off
	global_load_b64 v[7:8], v[7:8], off
	v_add_co_ci_u32_e32 v10, vcc_lo, s17, v4, vcc_lo
	v_cmp_le_i64_e32 vcc_lo, s[14:15], v[1:2]
	v_cmp_lt_u64_e64 s2, 0xffff, v[1:2]
	v_add_co_u32 v3, s3, v3, s24
	s_delay_alu instid0(VALU_DEP_1) | instskip(SKIP_1) | instid1(VALU_DEP_4)
	v_add_co_ci_u32_e64 v4, s3, 0, v4, s3
	v_add_co_u32 v1, s3, v1, s25
	s_or_b32 s2, vcc_lo, s2
	v_add_co_ci_u32_e64 v2, s3, 0, v2, s3
	s_waitcnt vmcnt(1)
	v_lshlrev_b32_e32 v12, 16, v5
	v_and_b32_e32 v14, 0xffff0000, v5
	s_waitcnt vmcnt(0)
	v_lshlrev_b32_e32 v11, 16, v7
	v_and_b32_e32 v13, 0xffff0000, v7
	v_alignbit_b32 v7, v8, v7, 16
	v_mul_f32_e32 v12, s11, v12
	v_mul_f32_e32 v14, s11, v14
	v_alignbit_b32 v5, v6, v5, 16
	v_and_b32_e32 v6, 0xffff0000, v6
	v_cmp_u_f32_e64 s4, v11, v11
	v_cmp_lt_f32_e64 s7, v12, v11
	v_cmp_u_f32_e64 s5, v13, v13
	s_delay_alu instid0(VALU_DEP_4)
	v_dual_mul_f32 v6, s11, v6 :: v_dual_and_b32 v7, 0xffff0000, v7
	v_and_b32_e32 v5, 0xffff0000, v5
	v_and_b32_e32 v8, 0xffff0000, v8
	v_cmp_lt_f32_e64 s8, v14, v13
	s_or_b32 s4, s4, s7
	v_cmp_u_f32_e64 s9, v7, v7
	v_mul_f32_e32 v5, s11, v5
	v_cmp_u_f32_e64 s6, v8, v8
	v_cmp_lt_f32_e64 s10, v6, v8
	v_cndmask_b32_e64 v11, v12, v11, s4
	s_or_b32 s4, s5, s8
	s_delay_alu instid0(SALU_CYCLE_1) | instskip(SKIP_2) | instid1(SALU_CYCLE_1)
	v_cndmask_b32_e64 v12, v14, v13, s4
	v_cmp_lt_f32_e64 s4, v5, v7
	s_or_b32 s5, s6, s10
	v_cndmask_b32_e64 v6, v6, v8, s5
	s_delay_alu instid0(VALU_DEP_3) | instskip(NEXT) | instid1(VALU_DEP_3)
	v_bfe_u32 v13, v12, 16, 1
	s_or_b32 s4, s9, s4
	v_bfe_u32 v8, v11, 16, 1
	v_cndmask_b32_e64 v5, v5, v7, s4
	v_bfe_u32 v7, v6, 16, 1
	v_add3_u32 v13, v12, v13, 0x7fff
	v_cmp_o_f32_e64 s4, v12, v12
	v_add3_u32 v8, v11, v8, 0x7fff
	v_bfe_u32 v14, v5, 16, 1
	v_add3_u32 v7, v6, v7, 0x7fff
	v_and_b32_e32 v13, 0xffff0000, v13
	v_cmp_o_f32_e64 s5, v11, v11
	v_lshrrev_b32_e32 v8, 16, v8
	v_add3_u32 v14, v5, v14, 0x7fff
	v_and_b32_e32 v7, 0xffff0000, v7
	v_cndmask_b32_e64 v12, 0x7fc00000, v13, s4
	v_cmp_o_f32_e64 s4, v6, v6
	v_cndmask_b32_e64 v8, 0x7fc0, v8, s5
	v_lshrrev_b32_e32 v11, 16, v14
	s_and_b32 s2, exec_lo, s2
	s_delay_alu instid0(VALU_DEP_3) | instskip(SKIP_3) | instid1(VALU_DEP_2)
	v_cndmask_b32_e64 v6, 0x7fc00000, v7, s4
	v_cmp_o_f32_e64 s4, v5, v5
	v_or_b32_e32 v7, v8, v12
	s_or_b32 s23, s2, s23
	v_cndmask_b32_e64 v5, 0x7fc0, v11, s4
	s_delay_alu instid0(VALU_DEP_1) | instskip(NEXT) | instid1(VALU_DEP_3)
	v_or3_b32 v6, 0, v5, v6
	v_or3_b32 v5, v7, 0, 0
	global_store_b64 v[9:10], v[5:6], off
	s_and_not1_b32 exec_lo, exec_lo, s23
	s_cbranch_execnz .LBB130_3
.LBB130_4:
	s_or_b32 exec_lo, exec_lo, s22
	s_mov_b32 s2, 0
.LBB130_5:
	s_delay_alu instid0(SALU_CYCLE_1)
	s_and_not1_b32 vcc_lo, exec_lo, s2
	s_cbranch_vccnz .LBB130_25
; %bb.6:
	v_cmp_lt_i64_e64 s2, s[14:15], 1
	s_delay_alu instid0(VALU_DEP_1)
	s_and_b32 vcc_lo, exec_lo, s2
	s_cbranch_vccnz .LBB130_25
; %bb.7:
	s_load_b32 s0, s[0:1], 0xc5c
	v_dual_mov_b32 v2, 0 :: v_dual_lshlrev_b32 v1, 1, v0
	v_cmp_gt_u64_e64 s1, 0x10000, s[14:15]
	s_mov_b32 s9, 0
	s_mov_b64 s[6:7], 0
	s_delay_alu instid0(VALU_DEP_2) | instskip(NEXT) | instid1(VALU_DEP_1)
	v_add_co_u32 v3, s2, s20, v1
	v_add_co_ci_u32_e64 v4, null, s21, 0, s2
	v_add_co_u32 v5, s2, s18, v1
	s_delay_alu instid0(VALU_DEP_1) | instskip(SKIP_1) | instid1(VALU_DEP_1)
	v_add_co_ci_u32_e64 v6, null, s19, 0, s2
	v_add_co_u32 v7, s2, s16, v1
	v_add_co_ci_u32_e64 v8, null, s17, 0, s2
	s_waitcnt lgkmcnt(0)
	s_and_b32 s0, s0, 0xffff
	s_and_b32 s1, s1, exec_lo
	v_mad_u64_u32 v[13:14], null, s0, 6, v[1:2]
	s_cselect_b32 s5, s15, 0
	s_cselect_b32 s4, s14, 0x10000
	s_lshl_b32 s8, s0, 2
	s_mul_i32 s2, s0, 3
	v_add_co_u32 v1, s3, s8, v1
	s_delay_alu instid0(VALU_DEP_2) | instskip(NEXT) | instid1(VALU_DEP_3)
	v_add_co_u32 v9, vcc_lo, s20, v13
	v_add_co_ci_u32_e32 v10, vcc_lo, s21, v14, vcc_lo
	v_add_co_u32 v11, vcc_lo, s18, v13
	v_add_co_ci_u32_e32 v12, vcc_lo, s19, v14, vcc_lo
	v_add_co_u32 v13, vcc_lo, s16, v13
	v_add_co_ci_u32_e64 v2, null, 0, 0, s3
	v_add_co_ci_u32_e32 v14, vcc_lo, s17, v14, vcc_lo
	v_add_co_u32 v15, s2, s2, v0
	v_add_co_u32 v17, vcc_lo, s20, v1
	v_add_co_ci_u32_e64 v16, null, 0, 0, s2
	v_add_co_u32 v21, s2, v0, s0
	v_add_co_ci_u32_e32 v18, vcc_lo, s21, v2, vcc_lo
	v_add_co_u32 v19, vcc_lo, s18, v1
	v_add_co_ci_u32_e32 v20, vcc_lo, s19, v2, vcc_lo
	v_add_co_u32 v22, vcc_lo, s16, v1
	v_lshlrev_b32_e32 v1, 1, v21
	s_lshl_b32 s1, s0, 1
	v_add_co_ci_u32_e32 v23, vcc_lo, s17, v2, vcc_lo
	v_add_co_u32 v25, s1, s1, v0
	s_delay_alu instid0(VALU_DEP_1) | instskip(SKIP_1) | instid1(VALU_DEP_1)
	v_add_co_ci_u32_e64 v26, null, 0, 0, s1
	v_add_co_u32 v27, s1, s20, v1
	v_add_co_ci_u32_e64 v28, null, s21, 0, s1
	v_add_co_u32 v29, s1, s18, v1
	s_delay_alu instid0(VALU_DEP_1)
	v_add_co_ci_u32_e64 v30, null, s19, 0, s1
	v_add_co_u32 v31, s1, s16, v1
	v_add_co_ci_u32_e64 v24, null, 0, 0, s2
	v_add_co_ci_u32_e64 v32, null, s17, 0, s1
	s_lshl_b32 s10, s0, 3
	s_branch .LBB130_9
.LBB130_8:                              ;   in Loop: Header=BB130_9 Depth=1
	s_or_b32 exec_lo, exec_lo, s1
	v_add_co_u32 v3, vcc_lo, v3, s10
	v_add_co_ci_u32_e32 v4, vcc_lo, 0, v4, vcc_lo
	v_add_co_u32 v5, vcc_lo, v5, s10
	v_add_co_ci_u32_e32 v6, vcc_lo, 0, v6, vcc_lo
	;; [unrolled: 2-line block ×9, first 2 shown]
	s_add_u32 s6, s6, s8
	v_add_co_u32 v27, vcc_lo, v27, s10
	s_addc_u32 s7, s7, 0
	v_add_co_ci_u32_e32 v28, vcc_lo, 0, v28, vcc_lo
	v_cmp_ge_i64_e64 s0, s[6:7], s[14:15]
	v_cmp_lt_u64_e64 s1, 0xffff, s[6:7]
	v_add_co_u32 v29, vcc_lo, v29, s10
	v_add_co_ci_u32_e32 v30, vcc_lo, 0, v30, vcc_lo
	v_add_co_u32 v31, vcc_lo, v31, s10
	v_add_co_ci_u32_e32 v32, vcc_lo, 0, v32, vcc_lo
	s_or_b32 s0, s0, s1
	s_delay_alu instid0(SALU_CYCLE_1)
	s_and_b32 vcc_lo, exec_lo, s0
	s_cbranch_vccnz .LBB130_25
.LBB130_9:                              ; =>This Inner Loop Header: Depth=1
	v_add_co_u32 v1, s0, v0, s6
	s_delay_alu instid0(VALU_DEP_1) | instskip(SKIP_2) | instid1(VALU_DEP_2)
	v_add_co_ci_u32_e64 v2, null, 0, s7, s0
	s_waitcnt vmcnt(0)
	v_mov_b32_e32 v34, 0
	v_cmp_gt_u64_e32 vcc_lo, s[4:5], v[1:2]
	v_mov_b32_e32 v1, 0
	v_mov_b32_e32 v2, 0
	s_and_saveexec_b32 s1, vcc_lo
	s_cbranch_execz .LBB130_11
; %bb.10:                               ;   in Loop: Header=BB130_9 Depth=1
	v_add_co_u32 v1, s0, v3, s12
	s_delay_alu instid0(VALU_DEP_1) | instskip(SKIP_2) | instid1(VALU_DEP_1)
	v_add_co_ci_u32_e64 v2, s0, s13, v4, s0
	global_load_u16 v33, v[1:2], off
	v_add_co_u32 v1, s0, v5, s12
	v_add_co_ci_u32_e64 v2, s0, s13, v6, s0
	global_load_u16 v34, v[1:2], off
	s_waitcnt vmcnt(1)
	v_dual_mov_b32 v2, s9 :: v_dual_and_b32 v1, 0xffff, v33
.LBB130_11:                             ;   in Loop: Header=BB130_9 Depth=1
	s_or_b32 exec_lo, exec_lo, s1
	v_add_co_u32 v35, s0, v21, s6
	s_delay_alu instid0(VALU_DEP_1) | instskip(SKIP_1) | instid1(VALU_DEP_2)
	v_add_co_ci_u32_e64 v36, s0, s7, v24, s0
	v_mov_b32_e32 v33, 0
	v_cmp_gt_u64_e64 s0, s[4:5], v[35:36]
	v_mov_b32_e32 v35, 0
	s_delay_alu instid0(VALU_DEP_2)
	s_and_saveexec_b32 s2, s0
	s_cbranch_execz .LBB130_13
; %bb.12:                               ;   in Loop: Header=BB130_9 Depth=1
	v_add_co_u32 v35, s1, v27, s12
	s_delay_alu instid0(VALU_DEP_1) | instskip(SKIP_2) | instid1(VALU_DEP_1)
	v_add_co_ci_u32_e64 v36, s1, s13, v28, s1
	global_load_u16 v37, v[35:36], off
	v_add_co_u32 v35, s1, v29, s12
	v_add_co_ci_u32_e64 v36, s1, s13, v30, s1
	global_load_u16 v35, v[35:36], off
	s_waitcnt vmcnt(1)
	v_lshl_or_b32 v1, v37, 16, v1
.LBB130_13:                             ;   in Loop: Header=BB130_9 Depth=1
	s_or_b32 exec_lo, exec_lo, s2
	v_add_co_u32 v36, s1, v25, s6
	s_delay_alu instid0(VALU_DEP_1) | instskip(NEXT) | instid1(VALU_DEP_1)
	v_add_co_ci_u32_e64 v37, s1, s7, v26, s1
	v_cmp_gt_u64_e64 s1, s[4:5], v[36:37]
	s_delay_alu instid0(VALU_DEP_1)
	s_and_saveexec_b32 s3, s1
	s_cbranch_execz .LBB130_15
; %bb.14:                               ;   in Loop: Header=BB130_9 Depth=1
	v_add_co_u32 v36, s2, v17, s12
	s_delay_alu instid0(VALU_DEP_1) | instskip(SKIP_2) | instid1(VALU_DEP_1)
	v_add_co_ci_u32_e64 v37, s2, s13, v18, s2
	global_load_u16 v38, v[36:37], off
	v_add_co_u32 v36, s2, v19, s12
	v_add_co_ci_u32_e64 v37, s2, s13, v20, s2
	global_load_u16 v33, v[36:37], off
	s_waitcnt vmcnt(1)
	v_or_b32_e32 v2, v38, v2
.LBB130_15:                             ;   in Loop: Header=BB130_9 Depth=1
	s_or_b32 exec_lo, exec_lo, s3
	v_add_co_u32 v36, s2, v15, s6
	s_delay_alu instid0(VALU_DEP_1) | instskip(NEXT) | instid1(VALU_DEP_1)
	v_add_co_ci_u32_e64 v37, s2, s7, v16, s2
	v_cmp_gt_u64_e64 s2, s[4:5], v[36:37]
	v_mov_b32_e32 v36, 0
	s_delay_alu instid0(VALU_DEP_2)
	s_and_saveexec_b32 s16, s2
	s_cbranch_execnz .LBB130_20
; %bb.16:                               ;   in Loop: Header=BB130_9 Depth=1
	s_or_b32 exec_lo, exec_lo, s16
	s_and_saveexec_b32 s16, vcc_lo
	s_cbranch_execnz .LBB130_21
.LBB130_17:                             ;   in Loop: Header=BB130_9 Depth=1
	s_or_b32 exec_lo, exec_lo, s16
	s_and_saveexec_b32 s3, s0
	s_cbranch_execnz .LBB130_22
.LBB130_18:                             ;   in Loop: Header=BB130_9 Depth=1
	s_or_b32 exec_lo, exec_lo, s3
	s_and_saveexec_b32 s3, s1
	s_cbranch_execnz .LBB130_23
.LBB130_19:                             ;   in Loop: Header=BB130_9 Depth=1
	s_or_b32 exec_lo, exec_lo, s3
	s_and_saveexec_b32 s1, s2
	s_cbranch_execz .LBB130_8
	s_branch .LBB130_24
.LBB130_20:                             ;   in Loop: Header=BB130_9 Depth=1
	v_add_co_u32 v36, s3, v9, s12
	s_delay_alu instid0(VALU_DEP_1) | instskip(SKIP_3) | instid1(VALU_DEP_1)
	v_add_co_ci_u32_e64 v37, s3, s13, v10, s3
	v_mov_b32_e32 v38, 0
	global_load_d16_hi_b16 v38, v[36:37], off
	v_add_co_u32 v36, s3, v11, s12
	v_add_co_ci_u32_e64 v37, s3, s13, v12, s3
	global_load_u16 v36, v[36:37], off
	s_waitcnt vmcnt(1)
	v_or_b32_e32 v2, v38, v2
	s_or_b32 exec_lo, exec_lo, s16
	s_and_saveexec_b32 s16, vcc_lo
	s_cbranch_execz .LBB130_17
.LBB130_21:                             ;   in Loop: Header=BB130_9 Depth=1
	s_waitcnt vmcnt(0)
	v_lshlrev_b32_e32 v34, 16, v34
	s_delay_alu instid0(VALU_DEP_1) | instskip(NEXT) | instid1(VALU_DEP_1)
	v_dual_mul_f32 v34, s11, v34 :: v_dual_lshlrev_b32 v37, 16, v1
	v_cmp_u_f32_e32 vcc_lo, v37, v37
	s_delay_alu instid0(VALU_DEP_2) | instskip(NEXT) | instid1(VALU_DEP_1)
	v_cmp_lt_f32_e64 s3, v34, v37
	s_or_b32 vcc_lo, vcc_lo, s3
	v_cndmask_b32_e32 v34, v34, v37, vcc_lo
	s_delay_alu instid0(VALU_DEP_1) | instskip(NEXT) | instid1(VALU_DEP_1)
	v_bfe_u32 v37, v34, 16, 1
	v_add3_u32 v37, v34, v37, 0x7fff
	s_delay_alu instid0(VALU_DEP_1) | instskip(SKIP_3) | instid1(VALU_DEP_4)
	v_lshrrev_b32_e32 v39, 16, v37
	v_add_co_u32 v37, vcc_lo, v7, s12
	v_add_co_ci_u32_e32 v38, vcc_lo, s13, v8, vcc_lo
	v_cmp_o_f32_e32 vcc_lo, v34, v34
	v_cndmask_b32_e32 v34, 0x7fc0, v39, vcc_lo
	global_store_b16 v[37:38], v34, off
	s_or_b32 exec_lo, exec_lo, s16
	s_and_saveexec_b32 s3, s0
	s_cbranch_execz .LBB130_18
.LBB130_22:                             ;   in Loop: Header=BB130_9 Depth=1
	s_waitcnt vmcnt(0)
	v_lshlrev_b32_e32 v34, 16, v35
	s_delay_alu instid0(VALU_DEP_1) | instskip(NEXT) | instid1(VALU_DEP_1)
	v_dual_mul_f32 v34, s11, v34 :: v_dual_and_b32 v35, 0xffff0000, v1
	v_cmp_u_f32_e32 vcc_lo, v35, v35
	s_delay_alu instid0(VALU_DEP_2) | instskip(NEXT) | instid1(VALU_DEP_1)
	v_cmp_lt_f32_e64 s0, v34, v35
	s_or_b32 vcc_lo, vcc_lo, s0
	v_cndmask_b32_e32 v34, v34, v35, vcc_lo
	s_delay_alu instid0(VALU_DEP_1) | instskip(SKIP_1) | instid1(VALU_DEP_2)
	v_bfe_u32 v35, v34, 16, 1
	v_cmp_o_f32_e32 vcc_lo, v34, v34
	v_add3_u32 v35, v34, v35, 0x7fff
	s_delay_alu instid0(VALU_DEP_1) | instskip(NEXT) | instid1(VALU_DEP_1)
	v_lshrrev_b32_e32 v35, 16, v35
	v_cndmask_b32_e32 v37, 0x7fc0, v35, vcc_lo
	v_add_co_u32 v34, vcc_lo, v31, s12
	v_add_co_ci_u32_e32 v35, vcc_lo, s13, v32, vcc_lo
	global_store_b16 v[34:35], v37, off
	s_or_b32 exec_lo, exec_lo, s3
	s_and_saveexec_b32 s3, s1
	s_cbranch_execz .LBB130_19
.LBB130_23:                             ;   in Loop: Header=BB130_9 Depth=1
	v_alignbit_b32 v1, v2, v1, 16
	s_waitcnt vmcnt(0)
	v_lshlrev_b32_e32 v33, 16, v33
	s_delay_alu instid0(VALU_DEP_2) | instskip(NEXT) | instid1(VALU_DEP_2)
	v_and_b32_e32 v1, 0xffff0000, v1
	v_mul_f32_e32 v33, s11, v33
	s_delay_alu instid0(VALU_DEP_2) | instskip(NEXT) | instid1(VALU_DEP_2)
	v_cmp_u_f32_e32 vcc_lo, v1, v1
	v_cmp_lt_f32_e64 s0, v33, v1
	s_delay_alu instid0(VALU_DEP_1) | instskip(SKIP_1) | instid1(VALU_DEP_1)
	s_or_b32 vcc_lo, vcc_lo, s0
	v_cndmask_b32_e32 v1, v33, v1, vcc_lo
	v_bfe_u32 v33, v1, 16, 1
	v_cmp_o_f32_e32 vcc_lo, v1, v1
	s_delay_alu instid0(VALU_DEP_2) | instskip(NEXT) | instid1(VALU_DEP_1)
	v_add3_u32 v33, v1, v33, 0x7fff
	v_lshrrev_b32_e32 v33, 16, v33
	s_delay_alu instid0(VALU_DEP_1)
	v_cndmask_b32_e32 v1, 0x7fc0, v33, vcc_lo
	v_add_co_u32 v33, vcc_lo, v22, s12
	v_add_co_ci_u32_e32 v34, vcc_lo, s13, v23, vcc_lo
	global_store_b16 v[33:34], v1, off
	s_or_b32 exec_lo, exec_lo, s3
	s_and_saveexec_b32 s1, s2
	s_cbranch_execz .LBB130_8
.LBB130_24:                             ;   in Loop: Header=BB130_9 Depth=1
	s_waitcnt vmcnt(0)
	v_lshlrev_b32_e32 v1, 16, v36
	s_delay_alu instid0(VALU_DEP_1) | instskip(NEXT) | instid1(VALU_DEP_1)
	v_dual_mul_f32 v1, s11, v1 :: v_dual_and_b32 v2, 0xffff0000, v2
	v_cmp_u_f32_e32 vcc_lo, v2, v2
	s_delay_alu instid0(VALU_DEP_2) | instskip(NEXT) | instid1(VALU_DEP_1)
	v_cmp_lt_f32_e64 s0, v1, v2
	s_or_b32 vcc_lo, vcc_lo, s0
	v_cndmask_b32_e32 v1, v1, v2, vcc_lo
	s_delay_alu instid0(VALU_DEP_1) | instskip(SKIP_1) | instid1(VALU_DEP_2)
	v_bfe_u32 v2, v1, 16, 1
	v_cmp_o_f32_e32 vcc_lo, v1, v1
	v_add3_u32 v2, v1, v2, 0x7fff
	s_delay_alu instid0(VALU_DEP_1) | instskip(NEXT) | instid1(VALU_DEP_1)
	v_lshrrev_b32_e32 v2, 16, v2
	v_cndmask_b32_e32 v33, 0x7fc0, v2, vcc_lo
	v_add_co_u32 v1, vcc_lo, v13, s12
	v_add_co_ci_u32_e32 v2, vcc_lo, s13, v14, vcc_lo
	global_store_b16 v[1:2], v33, off
	s_branch .LBB130_8
.LBB130_25:
	s_nop 0
	s_sendmsg sendmsg(MSG_DEALLOC_VGPRS)
	s_endpgm
	.section	.rodata,"a",@progbits
	.p2align	6, 0x0
	.amdhsa_kernel _ZN2at6native12_GLOBAL__N_125multi_tensor_apply_kernelINS1_18TensorListMetadataILi3EEENS1_24BinaryOpListAlphaFunctorIN3c108BFloat16ELi3ELi2ELi2EEEJNS0_7maximumIfEEfEEEvT_T0_DpT1_
		.amdhsa_group_segment_fixed_size 0
		.amdhsa_private_segment_fixed_size 0
		.amdhsa_kernarg_size 3408
		.amdhsa_user_sgpr_count 15
		.amdhsa_user_sgpr_dispatch_ptr 0
		.amdhsa_user_sgpr_queue_ptr 0
		.amdhsa_user_sgpr_kernarg_segment_ptr 1
		.amdhsa_user_sgpr_dispatch_id 0
		.amdhsa_user_sgpr_private_segment_size 0
		.amdhsa_wavefront_size32 1
		.amdhsa_uses_dynamic_stack 0
		.amdhsa_enable_private_segment 0
		.amdhsa_system_sgpr_workgroup_id_x 1
		.amdhsa_system_sgpr_workgroup_id_y 0
		.amdhsa_system_sgpr_workgroup_id_z 0
		.amdhsa_system_sgpr_workgroup_info 0
		.amdhsa_system_vgpr_workitem_id 0
		.amdhsa_next_free_vgpr 40
		.amdhsa_next_free_sgpr 26
		.amdhsa_reserve_vcc 1
		.amdhsa_float_round_mode_32 0
		.amdhsa_float_round_mode_16_64 0
		.amdhsa_float_denorm_mode_32 3
		.amdhsa_float_denorm_mode_16_64 3
		.amdhsa_dx10_clamp 1
		.amdhsa_ieee_mode 1
		.amdhsa_fp16_overflow 0
		.amdhsa_workgroup_processor_mode 1
		.amdhsa_memory_ordered 1
		.amdhsa_forward_progress 0
		.amdhsa_shared_vgpr_count 0
		.amdhsa_exception_fp_ieee_invalid_op 0
		.amdhsa_exception_fp_denorm_src 0
		.amdhsa_exception_fp_ieee_div_zero 0
		.amdhsa_exception_fp_ieee_overflow 0
		.amdhsa_exception_fp_ieee_underflow 0
		.amdhsa_exception_fp_ieee_inexact 0
		.amdhsa_exception_int_div_zero 0
	.end_amdhsa_kernel
	.section	.text._ZN2at6native12_GLOBAL__N_125multi_tensor_apply_kernelINS1_18TensorListMetadataILi3EEENS1_24BinaryOpListAlphaFunctorIN3c108BFloat16ELi3ELi2ELi2EEEJNS0_7maximumIfEEfEEEvT_T0_DpT1_,"axG",@progbits,_ZN2at6native12_GLOBAL__N_125multi_tensor_apply_kernelINS1_18TensorListMetadataILi3EEENS1_24BinaryOpListAlphaFunctorIN3c108BFloat16ELi3ELi2ELi2EEEJNS0_7maximumIfEEfEEEvT_T0_DpT1_,comdat
.Lfunc_end130:
	.size	_ZN2at6native12_GLOBAL__N_125multi_tensor_apply_kernelINS1_18TensorListMetadataILi3EEENS1_24BinaryOpListAlphaFunctorIN3c108BFloat16ELi3ELi2ELi2EEEJNS0_7maximumIfEEfEEEvT_T0_DpT1_, .Lfunc_end130-_ZN2at6native12_GLOBAL__N_125multi_tensor_apply_kernelINS1_18TensorListMetadataILi3EEENS1_24BinaryOpListAlphaFunctorIN3c108BFloat16ELi3ELi2ELi2EEEJNS0_7maximumIfEEfEEEvT_T0_DpT1_
                                        ; -- End function
	.section	.AMDGPU.csdata,"",@progbits
; Kernel info:
; codeLenInByte = 2468
; NumSgprs: 28
; NumVgprs: 40
; ScratchSize: 0
; MemoryBound: 0
; FloatMode: 240
; IeeeMode: 1
; LDSByteSize: 0 bytes/workgroup (compile time only)
; SGPRBlocks: 3
; VGPRBlocks: 4
; NumSGPRsForWavesPerEU: 28
; NumVGPRsForWavesPerEU: 40
; Occupancy: 16
; WaveLimiterHint : 0
; COMPUTE_PGM_RSRC2:SCRATCH_EN: 0
; COMPUTE_PGM_RSRC2:USER_SGPR: 15
; COMPUTE_PGM_RSRC2:TRAP_HANDLER: 0
; COMPUTE_PGM_RSRC2:TGID_X_EN: 1
; COMPUTE_PGM_RSRC2:TGID_Y_EN: 0
; COMPUTE_PGM_RSRC2:TGID_Z_EN: 0
; COMPUTE_PGM_RSRC2:TIDIG_COMP_CNT: 0
	.section	.text._ZN2at6native12_GLOBAL__N_125multi_tensor_apply_kernelINS1_18TensorListMetadataILi3EEENS1_24BinaryOpListAlphaFunctorIN3c104HalfELi3ELi2ELi2EEEJNS0_7maximumIfEEfEEEvT_T0_DpT1_,"axG",@progbits,_ZN2at6native12_GLOBAL__N_125multi_tensor_apply_kernelINS1_18TensorListMetadataILi3EEENS1_24BinaryOpListAlphaFunctorIN3c104HalfELi3ELi2ELi2EEEJNS0_7maximumIfEEfEEEvT_T0_DpT1_,comdat
	.globl	_ZN2at6native12_GLOBAL__N_125multi_tensor_apply_kernelINS1_18TensorListMetadataILi3EEENS1_24BinaryOpListAlphaFunctorIN3c104HalfELi3ELi2ELi2EEEJNS0_7maximumIfEEfEEEvT_T0_DpT1_ ; -- Begin function _ZN2at6native12_GLOBAL__N_125multi_tensor_apply_kernelINS1_18TensorListMetadataILi3EEENS1_24BinaryOpListAlphaFunctorIN3c104HalfELi3ELi2ELi2EEEJNS0_7maximumIfEEfEEEvT_T0_DpT1_
	.p2align	8
	.type	_ZN2at6native12_GLOBAL__N_125multi_tensor_apply_kernelINS1_18TensorListMetadataILi3EEENS1_24BinaryOpListAlphaFunctorIN3c104HalfELi3ELi2ELi2EEEJNS0_7maximumIfEEfEEEvT_T0_DpT1_,@function
_ZN2at6native12_GLOBAL__N_125multi_tensor_apply_kernelINS1_18TensorListMetadataILi3EEENS1_24BinaryOpListAlphaFunctorIN3c104HalfELi3ELi2ELi2EEEJNS0_7maximumIfEEfEEEvT_T0_DpT1_: ; @_ZN2at6native12_GLOBAL__N_125multi_tensor_apply_kernelINS1_18TensorListMetadataILi3EEENS1_24BinaryOpListAlphaFunctorIN3c104HalfELi3ELi2ELi2EEEJNS0_7maximumIfEEfEEEvT_T0_DpT1_
; %bb.0:
	v_mov_b32_e32 v1, s15
	s_add_u32 s2, s0, s15
	s_mul_hi_u32 s3, s15, 3
	s_mul_i32 s15, s15, 3
	s_addc_u32 s4, s1, 0
	global_load_u8 v1, v1, s[0:1] offset:1536
	s_load_b32 s18, s[0:1], 0xc4c
	s_add_u32 s2, s2, s15
	s_addc_u32 s3, s4, s3
	s_mov_b32 s25, 0
	s_load_b32 s2, s[2:3], 0x740
	s_mov_b32 s27, s25
	s_waitcnt vmcnt(0)
	v_readfirstlane_b32 s3, v1
	s_delay_alu instid0(VALU_DEP_1)
	s_lshl_b32 s3, s3, 3
	s_clause 0x3
	s_load_b64 s[12:13], s[0:1], s3 offset:0x0
	s_load_b64 s[14:15], s[0:1], s3 offset:0x180
	;; [unrolled: 1-line block ×4, first 2 shown]
	s_waitcnt lgkmcnt(0)
	s_ashr_i32 s3, s2, 31
	s_delay_alu instid0(SALU_CYCLE_1) | instskip(NEXT) | instid1(SALU_CYCLE_1)
	s_lshl_b64 s[8:9], s[2:3], 17
	s_add_u32 s7, s12, s8
	s_addc_u32 s19, s13, s9
	s_and_b32 s24, s7, 7
	s_add_u32 s20, s14, s8
	s_addc_u32 s21, s15, s9
	s_add_u32 s22, s16, s8
	s_addc_u32 s23, s17, s9
	s_or_b32 s6, s22, s20
	s_delay_alu instid0(SALU_CYCLE_1) | instskip(NEXT) | instid1(SALU_CYCLE_1)
	s_and_b32 s6, s6, 7
	s_cmp_lg_u32 s6, 0
	s_cselect_b32 s6, -1, 0
	s_lshl_b64 s[2:3], s[2:3], 16
	s_delay_alu instid0(SALU_CYCLE_1) | instskip(SKIP_2) | instid1(SALU_CYCLE_1)
	s_sub_u32 s10, s4, s2
	s_subb_u32 s11, s5, s3
	s_and_b32 s26, s4, 3
	s_or_b64 s[2:3], s[24:25], s[26:27]
	s_delay_alu instid0(SALU_CYCLE_1) | instskip(SKIP_1) | instid1(SALU_CYCLE_1)
	s_cmp_lg_u64 s[2:3], 0
	s_cselect_b32 s2, -1, 0
	s_or_b32 s2, s6, s2
	s_delay_alu instid0(SALU_CYCLE_1)
	s_and_not1_b32 vcc_lo, exec_lo, s2
	s_mov_b32 s2, -1
	s_cbranch_vccz .LBB131_5
; %bb.1:
	v_dual_mov_b32 v2, 0 :: v_dual_lshlrev_b32 v1, 2, v0
	s_mov_b32 s24, exec_lo
	s_delay_alu instid0(VALU_DEP_1)
	v_cmpx_gt_i64_e64 s[10:11], v[1:2]
	s_cbranch_execz .LBB131_4
; %bb.2:
	s_load_b32 s2, s[0:1], 0xc5c
	v_lshlrev_b32_e32 v3, 3, v0
	s_waitcnt lgkmcnt(0)
	s_and_b32 s2, s2, 0xffff
	s_delay_alu instid0(SALU_CYCLE_1)
	v_add_lshl_u32 v1, v0, s2, 2
	s_lshl_b32 s26, s2, 2
	s_lshl_b32 s27, s2, 3
.LBB131_3:                              ; =>This Inner Loop Header: Depth=1
	v_add_co_u32 v4, s2, s20, v3
	s_delay_alu instid0(VALU_DEP_1) | instskip(SKIP_1) | instid1(VALU_DEP_1)
	v_add_co_ci_u32_e64 v5, null, s21, 0, s2
	v_add_co_u32 v6, s2, s7, v3
	v_add_co_ci_u32_e64 v7, null, s19, 0, s2
	global_load_b64 v[4:5], v[4:5], off
	global_load_b64 v[6:7], v[6:7], off
	v_cmp_le_i64_e32 vcc_lo, s[10:11], v[1:2]
	v_cmp_lt_u64_e64 s2, 0xffff, v[1:2]
	v_add_co_u32 v8, s3, s22, v3
	s_delay_alu instid0(VALU_DEP_1) | instskip(SKIP_1) | instid1(VALU_DEP_4)
	v_add_co_ci_u32_e64 v9, null, s23, 0, s3
	v_add_co_u32 v1, s3, v1, s26
	s_or_b32 s28, vcc_lo, s2
	v_add_co_ci_u32_e64 v2, s3, 0, v2, s3
	s_waitcnt vmcnt(1)
	v_lshrrev_b32_e32 v12, 16, v4
	v_cvt_f32_f16_e32 v4, v4
	v_lshrrev_b32_e32 v13, 16, v5
	s_waitcnt vmcnt(0)
	v_cvt_f32_f16_e32 v14, v6
	v_cvt_f32_f16_e32 v5, v5
	v_lshrrev_b32_e32 v10, 16, v6
	v_mul_f32_e32 v4, s18, v4
	v_cvt_f32_f16_e32 v12, v12
	v_lshrrev_b32_e32 v11, 16, v7
	v_mul_f32_e32 v5, s18, v5
	v_cvt_f32_f16_e32 v13, v13
	v_cmp_u_f16_e32 vcc_lo, v6, v6
	v_cmp_lt_f32_e64 s5, v4, v14
	v_cvt_f32_f16_e32 v16, v10
	v_cvt_f16_f32_e32 v4, v4
	v_dual_mul_f32 v12, s18, v12 :: v_dual_mul_f32 v13, s18, v13
	v_cvt_f32_f16_e32 v15, v7
	v_cvt_f32_f16_e32 v17, v11
	s_or_b32 vcc_lo, vcc_lo, s5
	v_cmp_u_f16_e64 s3, v10, v10
	v_cndmask_b32_e32 v4, v4, v6, vcc_lo
	v_cmp_lt_f32_e32 vcc_lo, v12, v16
	v_cmp_u_f16_e64 s2, v7, v7
	v_cmp_u_f16_e64 s4, v11, v11
	v_cmp_lt_f32_e64 s6, v5, v15
	v_cvt_f16_f32_e32 v6, v12
	v_cmp_lt_f32_e64 s5, v13, v17
	v_cvt_f16_f32_e32 v5, v5
	v_cvt_f16_f32_e32 v12, v13
	s_or_b32 vcc_lo, s3, vcc_lo
	s_or_b32 s2, s2, s6
	v_cndmask_b32_e32 v6, v6, v10, vcc_lo
	s_or_b32 vcc_lo, s4, s5
	v_cndmask_b32_e64 v5, v5, v7, s2
	v_cndmask_b32_e32 v7, v12, v11, vcc_lo
	s_add_u32 s7, s7, s27
	s_addc_u32 s19, s19, 0
	s_add_u32 s22, s22, s27
	s_addc_u32 s23, s23, 0
	s_add_u32 s20, s20, s27
	v_perm_b32 v5, v7, v5, 0x5040100
	v_perm_b32 v4, v6, v4, 0x5040100
	s_addc_u32 s21, s21, 0
	s_and_b32 s2, exec_lo, s28
	s_delay_alu instid0(SALU_CYCLE_1)
	s_or_b32 s25, s2, s25
	global_store_b64 v[8:9], v[4:5], off
	s_and_not1_b32 exec_lo, exec_lo, s25
	s_cbranch_execnz .LBB131_3
.LBB131_4:
	s_or_b32 exec_lo, exec_lo, s24
	s_mov_b32 s2, 0
.LBB131_5:
	s_delay_alu instid0(SALU_CYCLE_1)
	s_and_not1_b32 vcc_lo, exec_lo, s2
	s_cbranch_vccnz .LBB131_25
; %bb.6:
	v_cmp_lt_i64_e64 s2, s[10:11], 1
	s_delay_alu instid0(VALU_DEP_1)
	s_and_b32 vcc_lo, exec_lo, s2
	s_cbranch_vccnz .LBB131_25
; %bb.7:
	s_load_b32 s0, s[0:1], 0xc5c
	v_dual_mov_b32 v14, 0 :: v_dual_lshlrev_b32 v13, 1, v0
	v_cmp_gt_u64_e64 s1, 0x10000, s[10:11]
	s_mov_b64 s[6:7], 0
	s_delay_alu instid0(VALU_DEP_2) | instskip(NEXT) | instid1(VALU_DEP_1)
	v_add_co_u32 v1, s2, s12, v13
	v_add_co_ci_u32_e64 v2, null, s13, 0, s2
	v_add_co_u32 v3, s2, s14, v13
	s_delay_alu instid0(VALU_DEP_1) | instskip(SKIP_1) | instid1(VALU_DEP_1)
	v_add_co_ci_u32_e64 v4, null, s15, 0, s2
	v_add_co_u32 v5, s2, s16, v13
	v_add_co_ci_u32_e64 v6, null, s17, 0, s2
	s_waitcnt lgkmcnt(0)
	s_and_b32 s0, s0, 0xffff
	s_and_b32 s1, s1, exec_lo
	v_mad_u64_u32 v[11:12], null, s0, 6, v[13:14]
	s_cselect_b32 s5, s11, 0
	s_cselect_b32 s4, s10, 0x10000
	s_mul_i32 s2, s0, 3
	s_lshl_b32 s19, s0, 2
	s_lshl_b32 s1, s0, 1
	v_add_co_u32 v20, s3, s19, v13
	v_add_co_u32 v13, s2, s2, v0
	v_add_co_u32 v7, vcc_lo, s12, v11
	v_add_co_ci_u32_e64 v14, null, 0, 0, s2
	v_add_co_u32 v19, s2, v0, s0
	v_add_co_ci_u32_e32 v8, vcc_lo, s13, v12, vcc_lo
	v_add_co_u32 v9, vcc_lo, s14, v11
	v_add_co_ci_u32_e32 v10, vcc_lo, s15, v12, vcc_lo
	v_add_co_u32 v11, vcc_lo, s16, v11
	v_add_co_ci_u32_e64 v21, null, 0, 0, s3
	v_lshlrev_b32_e32 v29, 1, v19
	v_add_co_ci_u32_e32 v12, vcc_lo, s17, v12, vcc_lo
	v_add_co_u32 v15, vcc_lo, s12, v20
	v_add_co_u32 v23, s1, s1, v0
	v_add_co_ci_u32_e32 v16, vcc_lo, s13, v21, vcc_lo
	v_add_co_ci_u32_e64 v24, null, 0, 0, s1
	v_add_co_u32 v25, s1, s12, v29
	v_add_co_u32 v17, vcc_lo, s14, v20
	v_add_co_ci_u32_e64 v26, null, s13, 0, s1
	v_add_co_u32 v27, s1, s14, v29
	v_add_co_ci_u32_e32 v18, vcc_lo, s15, v21, vcc_lo
	v_add_co_u32 v20, vcc_lo, s16, v20
	v_add_co_ci_u32_e64 v28, null, s15, 0, s1
	v_add_co_u32 v29, s1, s16, v29
	v_add_co_ci_u32_e32 v21, vcc_lo, s17, v21, vcc_lo
	v_add_co_ci_u32_e64 v22, null, 0, 0, s2
	v_add_co_ci_u32_e64 v30, null, s17, 0, s1
	s_lshl_b32 s12, s0, 3
	s_branch .LBB131_9
.LBB131_8:                              ;   in Loop: Header=BB131_9 Depth=1
	s_or_b32 exec_lo, exec_lo, s1
	v_add_co_u32 v1, vcc_lo, v1, s12
	v_add_co_ci_u32_e32 v2, vcc_lo, 0, v2, vcc_lo
	v_add_co_u32 v3, vcc_lo, v3, s12
	v_add_co_ci_u32_e32 v4, vcc_lo, 0, v4, vcc_lo
	;; [unrolled: 2-line block ×9, first 2 shown]
	s_add_u32 s6, s6, s19
	v_add_co_u32 v25, vcc_lo, v25, s12
	s_addc_u32 s7, s7, 0
	v_add_co_ci_u32_e32 v26, vcc_lo, 0, v26, vcc_lo
	v_cmp_ge_i64_e64 s0, s[6:7], s[10:11]
	v_cmp_lt_u64_e64 s1, 0xffff, s[6:7]
	v_add_co_u32 v27, vcc_lo, v27, s12
	v_add_co_ci_u32_e32 v28, vcc_lo, 0, v28, vcc_lo
	v_add_co_u32 v29, vcc_lo, v29, s12
	v_add_co_ci_u32_e32 v30, vcc_lo, 0, v30, vcc_lo
	s_or_b32 s0, s0, s1
	s_delay_alu instid0(SALU_CYCLE_1)
	s_and_b32 vcc_lo, exec_lo, s0
	s_cbranch_vccnz .LBB131_25
.LBB131_9:                              ; =>This Inner Loop Header: Depth=1
	s_waitcnt vmcnt(1)
	v_add_co_u32 v31, s0, v0, s6
	s_delay_alu instid0(VALU_DEP_1) | instskip(SKIP_2) | instid1(VALU_DEP_2)
	v_add_co_ci_u32_e64 v32, null, 0, s7, s0
	s_waitcnt vmcnt(0)
	v_mov_b32_e32 v34, 0
	v_cmp_gt_u64_e32 vcc_lo, s[4:5], v[31:32]
	v_mov_b32_e32 v32, 0
	s_and_saveexec_b32 s1, vcc_lo
	s_cbranch_execz .LBB131_11
; %bb.10:                               ;   in Loop: Header=BB131_9 Depth=1
	v_add_co_u32 v31, s0, v1, s8
	s_delay_alu instid0(VALU_DEP_1) | instskip(SKIP_1) | instid1(VALU_DEP_1)
	v_add_co_ci_u32_e64 v32, s0, s9, v2, s0
	v_add_co_u32 v33, s0, v3, s8
	v_add_co_ci_u32_e64 v34, s0, s9, v4, s0
	global_load_u16 v32, v[31:32], off
	global_load_u16 v34, v[33:34], off
.LBB131_11:                             ;   in Loop: Header=BB131_9 Depth=1
	s_or_b32 exec_lo, exec_lo, s1
	v_add_co_u32 v35, s0, v19, s6
	s_delay_alu instid0(VALU_DEP_1) | instskip(SKIP_2) | instid1(VALU_DEP_3)
	v_add_co_ci_u32_e64 v36, s0, s7, v22, s0
	v_mov_b32_e32 v31, 0
	v_mov_b32_e32 v33, 0
	v_cmp_gt_u64_e64 s0, s[4:5], v[35:36]
	v_mov_b32_e32 v35, 0
	s_delay_alu instid0(VALU_DEP_2)
	s_and_saveexec_b32 s2, s0
	s_cbranch_execz .LBB131_13
; %bb.12:                               ;   in Loop: Header=BB131_9 Depth=1
	v_add_co_u32 v35, s1, v25, s8
	s_delay_alu instid0(VALU_DEP_1) | instskip(SKIP_1) | instid1(VALU_DEP_1)
	v_add_co_ci_u32_e64 v36, s1, s9, v26, s1
	v_add_co_u32 v37, s1, v27, s8
	v_add_co_ci_u32_e64 v38, s1, s9, v28, s1
	global_load_u16 v33, v[35:36], off
	global_load_u16 v35, v[37:38], off
.LBB131_13:                             ;   in Loop: Header=BB131_9 Depth=1
	s_or_b32 exec_lo, exec_lo, s2
	v_add_co_u32 v36, s1, v23, s6
	s_delay_alu instid0(VALU_DEP_1) | instskip(NEXT) | instid1(VALU_DEP_1)
	v_add_co_ci_u32_e64 v37, s1, s7, v24, s1
	v_cmp_gt_u64_e64 s1, s[4:5], v[36:37]
	v_mov_b32_e32 v37, 0
	s_delay_alu instid0(VALU_DEP_2)
	s_and_saveexec_b32 s3, s1
	s_cbranch_execz .LBB131_15
; %bb.14:                               ;   in Loop: Header=BB131_9 Depth=1
	v_add_co_u32 v36, s2, v15, s8
	s_delay_alu instid0(VALU_DEP_1) | instskip(SKIP_1) | instid1(VALU_DEP_1)
	v_add_co_ci_u32_e64 v37, s2, s9, v16, s2
	v_add_co_u32 v38, s2, v17, s8
	v_add_co_ci_u32_e64 v39, s2, s9, v18, s2
	global_load_u16 v31, v[36:37], off
	global_load_u16 v37, v[38:39], off
.LBB131_15:                             ;   in Loop: Header=BB131_9 Depth=1
	s_or_b32 exec_lo, exec_lo, s3
	v_add_co_u32 v38, s2, v13, s6
	s_delay_alu instid0(VALU_DEP_1) | instskip(SKIP_1) | instid1(VALU_DEP_2)
	v_add_co_ci_u32_e64 v39, s2, s7, v14, s2
	v_mov_b32_e32 v36, 0
	v_cmp_gt_u64_e64 s2, s[4:5], v[38:39]
	v_mov_b32_e32 v38, 0
	s_delay_alu instid0(VALU_DEP_2)
	s_and_saveexec_b32 s13, s2
	s_cbranch_execnz .LBB131_20
; %bb.16:                               ;   in Loop: Header=BB131_9 Depth=1
	s_or_b32 exec_lo, exec_lo, s13
	s_and_saveexec_b32 s13, vcc_lo
	s_cbranch_execnz .LBB131_21
.LBB131_17:                             ;   in Loop: Header=BB131_9 Depth=1
	s_or_b32 exec_lo, exec_lo, s13
	s_and_saveexec_b32 s3, s0
	s_cbranch_execnz .LBB131_22
.LBB131_18:                             ;   in Loop: Header=BB131_9 Depth=1
	s_or_b32 exec_lo, exec_lo, s3
	s_and_saveexec_b32 s3, s1
	s_cbranch_execnz .LBB131_23
.LBB131_19:                             ;   in Loop: Header=BB131_9 Depth=1
	s_or_b32 exec_lo, exec_lo, s3
	s_and_saveexec_b32 s1, s2
	s_cbranch_execz .LBB131_8
	s_branch .LBB131_24
.LBB131_20:                             ;   in Loop: Header=BB131_9 Depth=1
	v_add_co_u32 v38, s3, v7, s8
	s_delay_alu instid0(VALU_DEP_1) | instskip(SKIP_1) | instid1(VALU_DEP_1)
	v_add_co_ci_u32_e64 v39, s3, s9, v8, s3
	v_add_co_u32 v40, s3, v9, s8
	v_add_co_ci_u32_e64 v41, s3, s9, v10, s3
	global_load_u16 v36, v[38:39], off
	global_load_u16 v38, v[40:41], off
	s_or_b32 exec_lo, exec_lo, s13
	s_and_saveexec_b32 s13, vcc_lo
	s_cbranch_execz .LBB131_17
.LBB131_21:                             ;   in Loop: Header=BB131_9 Depth=1
	s_waitcnt vmcnt(0)
	v_cvt_f32_f16_e32 v34, v34
	v_cvt_f32_f16_e32 v39, v32
	v_cmp_u_f16_e32 vcc_lo, v32, v32
	s_delay_alu instid0(VALU_DEP_3) | instskip(NEXT) | instid1(VALU_DEP_1)
	v_mul_f32_e32 v34, s18, v34
	v_cmp_lt_f32_e64 s3, v34, v39
	v_cvt_f16_f32_e32 v34, v34
	s_delay_alu instid0(VALU_DEP_2) | instskip(NEXT) | instid1(VALU_DEP_1)
	s_or_b32 vcc_lo, vcc_lo, s3
	v_cndmask_b32_e32 v32, v34, v32, vcc_lo
	v_add_co_u32 v39, vcc_lo, v5, s8
	v_add_co_ci_u32_e32 v40, vcc_lo, s9, v6, vcc_lo
	global_store_b16 v[39:40], v32, off
	s_or_b32 exec_lo, exec_lo, s13
	s_and_saveexec_b32 s3, s0
	s_cbranch_execz .LBB131_18
.LBB131_22:                             ;   in Loop: Header=BB131_9 Depth=1
	s_waitcnt vmcnt(0)
	v_cvt_f32_f16_e32 v32, v35
	v_cvt_f32_f16_e32 v34, v33
	v_cmp_u_f16_e32 vcc_lo, v33, v33
	s_delay_alu instid0(VALU_DEP_3) | instskip(NEXT) | instid1(VALU_DEP_1)
	v_mul_f32_e32 v32, s18, v32
	v_cmp_lt_f32_e64 s0, v32, v34
	v_cvt_f16_f32_e32 v32, v32
	s_delay_alu instid0(VALU_DEP_2) | instskip(NEXT) | instid1(VALU_DEP_1)
	s_or_b32 vcc_lo, vcc_lo, s0
	v_cndmask_b32_e32 v34, v32, v33, vcc_lo
	v_add_co_u32 v32, vcc_lo, v29, s8
	v_add_co_ci_u32_e32 v33, vcc_lo, s9, v30, vcc_lo
	global_store_b16 v[32:33], v34, off
	s_or_b32 exec_lo, exec_lo, s3
	s_and_saveexec_b32 s3, s1
	s_cbranch_execz .LBB131_19
.LBB131_23:                             ;   in Loop: Header=BB131_9 Depth=1
	s_waitcnt vmcnt(0)
	v_cvt_f32_f16_e32 v32, v37
	v_cvt_f32_f16_e32 v33, v31
	v_cmp_u_f16_e32 vcc_lo, v31, v31
	s_delay_alu instid0(VALU_DEP_3) | instskip(NEXT) | instid1(VALU_DEP_1)
	v_mul_f32_e32 v32, s18, v32
	v_cmp_lt_f32_e64 s0, v32, v33
	v_cvt_f16_f32_e32 v32, v32
	s_delay_alu instid0(VALU_DEP_2) | instskip(NEXT) | instid1(VALU_DEP_1)
	s_or_b32 vcc_lo, vcc_lo, s0
	v_cndmask_b32_e32 v33, v32, v31, vcc_lo
	v_add_co_u32 v31, vcc_lo, v20, s8
	v_add_co_ci_u32_e32 v32, vcc_lo, s9, v21, vcc_lo
	global_store_b16 v[31:32], v33, off
	s_or_b32 exec_lo, exec_lo, s3
	s_and_saveexec_b32 s1, s2
	s_cbranch_execz .LBB131_8
.LBB131_24:                             ;   in Loop: Header=BB131_9 Depth=1
	s_waitcnt vmcnt(0)
	v_cvt_f32_f16_e32 v31, v38
	v_cvt_f32_f16_e32 v32, v36
	v_cmp_u_f16_e32 vcc_lo, v36, v36
	s_delay_alu instid0(VALU_DEP_3) | instskip(NEXT) | instid1(VALU_DEP_1)
	v_mul_f32_e32 v31, s18, v31
	v_cmp_lt_f32_e64 s0, v31, v32
	v_cvt_f16_f32_e32 v31, v31
	s_delay_alu instid0(VALU_DEP_2) | instskip(NEXT) | instid1(VALU_DEP_1)
	s_or_b32 vcc_lo, vcc_lo, s0
	v_cndmask_b32_e32 v33, v31, v36, vcc_lo
	v_add_co_u32 v31, vcc_lo, v11, s8
	v_add_co_ci_u32_e32 v32, vcc_lo, s9, v12, vcc_lo
	global_store_b16 v[31:32], v33, off
	s_branch .LBB131_8
.LBB131_25:
	s_nop 0
	s_sendmsg sendmsg(MSG_DEALLOC_VGPRS)
	s_endpgm
	.section	.rodata,"a",@progbits
	.p2align	6, 0x0
	.amdhsa_kernel _ZN2at6native12_GLOBAL__N_125multi_tensor_apply_kernelINS1_18TensorListMetadataILi3EEENS1_24BinaryOpListAlphaFunctorIN3c104HalfELi3ELi2ELi2EEEJNS0_7maximumIfEEfEEEvT_T0_DpT1_
		.amdhsa_group_segment_fixed_size 0
		.amdhsa_private_segment_fixed_size 0
		.amdhsa_kernarg_size 3408
		.amdhsa_user_sgpr_count 15
		.amdhsa_user_sgpr_dispatch_ptr 0
		.amdhsa_user_sgpr_queue_ptr 0
		.amdhsa_user_sgpr_kernarg_segment_ptr 1
		.amdhsa_user_sgpr_dispatch_id 0
		.amdhsa_user_sgpr_private_segment_size 0
		.amdhsa_wavefront_size32 1
		.amdhsa_uses_dynamic_stack 0
		.amdhsa_enable_private_segment 0
		.amdhsa_system_sgpr_workgroup_id_x 1
		.amdhsa_system_sgpr_workgroup_id_y 0
		.amdhsa_system_sgpr_workgroup_id_z 0
		.amdhsa_system_sgpr_workgroup_info 0
		.amdhsa_system_vgpr_workitem_id 0
		.amdhsa_next_free_vgpr 42
		.amdhsa_next_free_sgpr 29
		.amdhsa_reserve_vcc 1
		.amdhsa_float_round_mode_32 0
		.amdhsa_float_round_mode_16_64 0
		.amdhsa_float_denorm_mode_32 3
		.amdhsa_float_denorm_mode_16_64 3
		.amdhsa_dx10_clamp 1
		.amdhsa_ieee_mode 1
		.amdhsa_fp16_overflow 0
		.amdhsa_workgroup_processor_mode 1
		.amdhsa_memory_ordered 1
		.amdhsa_forward_progress 0
		.amdhsa_shared_vgpr_count 0
		.amdhsa_exception_fp_ieee_invalid_op 0
		.amdhsa_exception_fp_denorm_src 0
		.amdhsa_exception_fp_ieee_div_zero 0
		.amdhsa_exception_fp_ieee_overflow 0
		.amdhsa_exception_fp_ieee_underflow 0
		.amdhsa_exception_fp_ieee_inexact 0
		.amdhsa_exception_int_div_zero 0
	.end_amdhsa_kernel
	.section	.text._ZN2at6native12_GLOBAL__N_125multi_tensor_apply_kernelINS1_18TensorListMetadataILi3EEENS1_24BinaryOpListAlphaFunctorIN3c104HalfELi3ELi2ELi2EEEJNS0_7maximumIfEEfEEEvT_T0_DpT1_,"axG",@progbits,_ZN2at6native12_GLOBAL__N_125multi_tensor_apply_kernelINS1_18TensorListMetadataILi3EEENS1_24BinaryOpListAlphaFunctorIN3c104HalfELi3ELi2ELi2EEEJNS0_7maximumIfEEfEEEvT_T0_DpT1_,comdat
.Lfunc_end131:
	.size	_ZN2at6native12_GLOBAL__N_125multi_tensor_apply_kernelINS1_18TensorListMetadataILi3EEENS1_24BinaryOpListAlphaFunctorIN3c104HalfELi3ELi2ELi2EEEJNS0_7maximumIfEEfEEEvT_T0_DpT1_, .Lfunc_end131-_ZN2at6native12_GLOBAL__N_125multi_tensor_apply_kernelINS1_18TensorListMetadataILi3EEENS1_24BinaryOpListAlphaFunctorIN3c104HalfELi3ELi2ELi2EEEJNS0_7maximumIfEEfEEEvT_T0_DpT1_
                                        ; -- End function
	.section	.AMDGPU.csdata,"",@progbits
; Kernel info:
; codeLenInByte = 2032
; NumSgprs: 31
; NumVgprs: 42
; ScratchSize: 0
; MemoryBound: 0
; FloatMode: 240
; IeeeMode: 1
; LDSByteSize: 0 bytes/workgroup (compile time only)
; SGPRBlocks: 3
; VGPRBlocks: 5
; NumSGPRsForWavesPerEU: 31
; NumVGPRsForWavesPerEU: 42
; Occupancy: 16
; WaveLimiterHint : 0
; COMPUTE_PGM_RSRC2:SCRATCH_EN: 0
; COMPUTE_PGM_RSRC2:USER_SGPR: 15
; COMPUTE_PGM_RSRC2:TRAP_HANDLER: 0
; COMPUTE_PGM_RSRC2:TGID_X_EN: 1
; COMPUTE_PGM_RSRC2:TGID_Y_EN: 0
; COMPUTE_PGM_RSRC2:TGID_Z_EN: 0
; COMPUTE_PGM_RSRC2:TIDIG_COMP_CNT: 0
	.section	.text._ZN2at6native12_GLOBAL__N_125multi_tensor_apply_kernelINS1_18TensorListMetadataILi2EEENS1_24BinaryOpListAlphaFunctorIhLi2ELi2ELi0EEEJNS1_13power_functorIhEEhEEEvT_T0_DpT1_,"axG",@progbits,_ZN2at6native12_GLOBAL__N_125multi_tensor_apply_kernelINS1_18TensorListMetadataILi2EEENS1_24BinaryOpListAlphaFunctorIhLi2ELi2ELi0EEEJNS1_13power_functorIhEEhEEEvT_T0_DpT1_,comdat
	.globl	_ZN2at6native12_GLOBAL__N_125multi_tensor_apply_kernelINS1_18TensorListMetadataILi2EEENS1_24BinaryOpListAlphaFunctorIhLi2ELi2ELi0EEEJNS1_13power_functorIhEEhEEEvT_T0_DpT1_ ; -- Begin function _ZN2at6native12_GLOBAL__N_125multi_tensor_apply_kernelINS1_18TensorListMetadataILi2EEENS1_24BinaryOpListAlphaFunctorIhLi2ELi2ELi0EEEJNS1_13power_functorIhEEhEEEvT_T0_DpT1_
	.p2align	8
	.type	_ZN2at6native12_GLOBAL__N_125multi_tensor_apply_kernelINS1_18TensorListMetadataILi2EEENS1_24BinaryOpListAlphaFunctorIhLi2ELi2ELi0EEEJNS1_13power_functorIhEEhEEEvT_T0_DpT1_,@function
_ZN2at6native12_GLOBAL__N_125multi_tensor_apply_kernelINS1_18TensorListMetadataILi2EEENS1_24BinaryOpListAlphaFunctorIhLi2ELi2ELi0EEEJNS1_13power_functorIhEEhEEEvT_T0_DpT1_: ; @_ZN2at6native12_GLOBAL__N_125multi_tensor_apply_kernelINS1_18TensorListMetadataILi2EEENS1_24BinaryOpListAlphaFunctorIhLi2ELi2ELi0EEEJNS1_13power_functorIhEEhEEEvT_T0_DpT1_
; %bb.0:
	v_mov_b32_e32 v1, s15
	s_add_u32 s2, s0, s15
	s_mul_hi_u32 s3, s15, 3
	s_mul_i32 s15, s15, 3
	s_addc_u32 s4, s1, 0
	global_load_u8 v1, v1, s[0:1] offset:1536
	s_add_u32 s2, s2, s15
	s_addc_u32 s3, s4, s3
	s_load_b32 s4, s[2:3], 0x740
	s_waitcnt lgkmcnt(0)
	s_ashr_i32 s5, s4, 31
	s_delay_alu instid0(SALU_CYCLE_1) | instskip(SKIP_2) | instid1(VALU_DEP_1)
	s_lshl_b64 s[14:15], s[4:5], 16
	s_waitcnt vmcnt(0)
	v_readfirstlane_b32 s2, v1
	s_lshl_b32 s2, s2, 3
	s_clause 0x3
	s_load_b64 s[6:7], s[0:1], s2 offset:0x0
	s_load_b64 s[8:9], s[0:1], s2 offset:0x200
	;; [unrolled: 1-line block ×3, first 2 shown]
	s_load_b32 s3, s[0:1], 0xc48
	s_waitcnt lgkmcnt(0)
	s_add_u32 s4, s6, s14
	s_addc_u32 s5, s7, s15
	s_add_u32 s12, s8, s14
	s_addc_u32 s13, s9, s15
	s_or_b64 s[6:7], s[10:11], s[4:5]
	s_mov_b32 s8, -1
	s_or_b32 s2, s12, s6
	s_delay_alu instid0(SALU_CYCLE_1)
	s_and_b32 s2, s2, 3
	s_sub_u32 s6, s10, s14
	s_subb_u32 s7, s11, s15
	s_cmp_eq_u32 s2, 0
	s_cbranch_scc0 .LBB132_21
; %bb.1:
	v_dual_mov_b32 v2, 0 :: v_dual_lshlrev_b32 v1, 2, v0
	s_mov_b32 s8, 0
	s_mov_b32 s9, exec_lo
	s_delay_alu instid0(VALU_DEP_1)
	v_cmpx_gt_i64_e64 s[6:7], v[1:2]
	s_cbranch_execz .LBB132_20
; %bb.2:
	s_load_b32 s2, s[0:1], 0xc5c
	v_mov_b32_e32 v1, v2
	s_mov_b32 s10, 0
	s_lshr_b32 s14, s3, 16
	s_delay_alu instid0(VALU_DEP_1)
	v_mov_b32_e32 v2, v1
	v_mov_b32_e32 v1, v0
	s_waitcnt lgkmcnt(0)
	s_and_b32 s11, s2, 0xffff
	s_branch .LBB132_4
.LBB132_3:                              ;   in Loop: Header=BB132_4 Depth=1
	s_or_b32 exec_lo, exec_lo, s2
	v_add_co_u32 v1, vcc_lo, v1, s11
	v_add_co_ci_u32_e32 v2, vcc_lo, 0, v2, vcc_lo
	s_waitcnt vmcnt(0)
	v_and_b32_e32 v6, 0xff, v8
	v_and_b32_e32 v8, 0xff, v9
	s_delay_alu instid0(VALU_DEP_3) | instskip(NEXT) | instid1(VALU_DEP_3)
	v_lshlrev_b64 v[10:11], 2, v[1:2]
	v_perm_b32 v5, v6, v5, 0x6050400
	s_delay_alu instid0(VALU_DEP_2) | instskip(SKIP_1) | instid1(VALU_DEP_3)
	v_cmp_le_i64_e32 vcc_lo, s[6:7], v[10:11]
	v_cmp_lt_u64_e64 s2, 0xffff, v[10:11]
	v_lshl_or_b32 v5, v8, 16, v5
	s_delay_alu instid0(VALU_DEP_1) | instskip(NEXT) | instid1(VALU_DEP_3)
	v_lshl_or_b32 v5, v7, 24, v5
	s_or_b32 s2, vcc_lo, s2
	s_delay_alu instid0(SALU_CYCLE_1) | instskip(NEXT) | instid1(SALU_CYCLE_1)
	s_and_b32 s2, exec_lo, s2
	s_or_b32 s10, s2, s10
	global_store_b32 v[3:4], v5, off
	s_and_not1_b32 exec_lo, exec_lo, s10
	s_cbranch_execz .LBB132_20
.LBB132_4:                              ; =>This Loop Header: Depth=1
                                        ;     Child Loop BB132_6 Depth 2
                                        ;     Child Loop BB132_10 Depth 2
	;; [unrolled: 1-line block ×4, first 2 shown]
	s_delay_alu instid0(VALU_DEP_1) | instskip(NEXT) | instid1(VALU_DEP_1)
	v_lshlrev_b64 v[3:4], 2, v[1:2]
	v_add_co_u32 v5, vcc_lo, s12, v3
	s_delay_alu instid0(VALU_DEP_2)
	v_add_co_ci_u32_e32 v6, vcc_lo, s13, v4, vcc_lo
	v_add_co_u32 v3, vcc_lo, s4, v3
	v_add_co_ci_u32_e32 v4, vcc_lo, s5, v4, vcc_lo
	global_load_b32 v7, v[5:6], off
	global_load_b32 v6, v[3:4], off
	s_waitcnt vmcnt(1)
	v_mul_lo_u16 v8, v7, s14
	s_delay_alu instid0(VALU_DEP_1) | instskip(NEXT) | instid1(VALU_DEP_1)
	v_and_b32_e32 v5, 0xff, v8
	v_cmp_ne_u16_e32 vcc_lo, 0, v5
	v_mov_b32_e32 v5, 1
	s_and_saveexec_b32 s2, vcc_lo
	s_cbranch_execz .LBB132_8
; %bb.5:                                ;   in Loop: Header=BB132_4 Depth=1
	v_mov_b32_e32 v5, 1
	s_waitcnt vmcnt(0)
	v_mov_b32_e32 v9, v6
	s_mov_b32 s15, 0
.LBB132_6:                              ;   Parent Loop BB132_4 Depth=1
                                        ; =>  This Inner Loop Header: Depth=2
	v_and_b32_e32 v10, 1, v8
	v_and_b32_e32 v8, 0xff, v8
	s_delay_alu instid0(VALU_DEP_2) | instskip(SKIP_1) | instid1(VALU_DEP_3)
	v_cmp_eq_u32_e32 vcc_lo, 1, v10
	v_cndmask_b32_e32 v10, 1, v9, vcc_lo
	v_cmp_gt_u16_e32 vcc_lo, 2, v8
	v_lshrrev_b16 v8, 1, v8
	v_mul_lo_u16 v9, v9, v9
	s_delay_alu instid0(VALU_DEP_4) | instskip(SKIP_1) | instid1(SALU_CYCLE_1)
	v_mul_lo_u16 v5, v10, v5
	s_or_b32 s15, vcc_lo, s15
	s_and_not1_b32 exec_lo, exec_lo, s15
	s_cbranch_execnz .LBB132_6
; %bb.7:                                ;   in Loop: Header=BB132_4 Depth=1
	s_or_b32 exec_lo, exec_lo, s15
.LBB132_8:                              ;   in Loop: Header=BB132_4 Depth=1
	s_delay_alu instid0(SALU_CYCLE_1) | instskip(SKIP_1) | instid1(VALU_DEP_1)
	s_or_b32 exec_lo, exec_lo, s2
	v_lshrrev_b32_e32 v8, 8, v7
	v_mul_lo_u16 v9, v8, s14
	s_delay_alu instid0(VALU_DEP_1) | instskip(NEXT) | instid1(VALU_DEP_1)
	v_and_b32_e32 v8, 0xff, v9
	v_cmp_ne_u16_e32 vcc_lo, 0, v8
	v_mov_b32_e32 v8, 1
	s_and_saveexec_b32 s2, vcc_lo
	s_cbranch_execz .LBB132_12
; %bb.9:                                ;   in Loop: Header=BB132_4 Depth=1
	s_waitcnt vmcnt(0)
	v_lshrrev_b32_e32 v10, 8, v6
	v_mov_b32_e32 v8, 1
	s_mov_b32 s15, 0
.LBB132_10:                             ;   Parent Loop BB132_4 Depth=1
                                        ; =>  This Inner Loop Header: Depth=2
	v_and_b32_e32 v11, 1, v9
	v_and_b32_e32 v9, 0xff, v9
	s_delay_alu instid0(VALU_DEP_2) | instskip(SKIP_1) | instid1(VALU_DEP_3)
	v_cmp_eq_u32_e32 vcc_lo, 1, v11
	v_cndmask_b32_e32 v11, 1, v10, vcc_lo
	v_cmp_gt_u16_e32 vcc_lo, 2, v9
	v_lshrrev_b16 v9, 1, v9
	v_mul_lo_u16 v10, v10, v10
	s_delay_alu instid0(VALU_DEP_4) | instskip(SKIP_1) | instid1(SALU_CYCLE_1)
	v_mul_lo_u16 v8, v11, v8
	s_or_b32 s15, vcc_lo, s15
	s_and_not1_b32 exec_lo, exec_lo, s15
	s_cbranch_execnz .LBB132_10
; %bb.11:                               ;   in Loop: Header=BB132_4 Depth=1
	s_or_b32 exec_lo, exec_lo, s15
.LBB132_12:                             ;   in Loop: Header=BB132_4 Depth=1
	s_delay_alu instid0(SALU_CYCLE_1) | instskip(SKIP_1) | instid1(VALU_DEP_1)
	s_or_b32 exec_lo, exec_lo, s2
	v_lshrrev_b32_e32 v9, 16, v7
	v_mul_lo_u16 v10, v9, s14
	s_delay_alu instid0(VALU_DEP_1) | instskip(NEXT) | instid1(VALU_DEP_1)
	v_and_b32_e32 v9, 0xff, v10
	v_cmp_ne_u16_e32 vcc_lo, 0, v9
	v_mov_b32_e32 v9, 1
	s_and_saveexec_b32 s2, vcc_lo
	s_cbranch_execz .LBB132_16
; %bb.13:                               ;   in Loop: Header=BB132_4 Depth=1
	s_waitcnt vmcnt(0)
	v_lshrrev_b32_e32 v11, 16, v6
	v_mov_b32_e32 v9, 1
	s_mov_b32 s15, 0
.LBB132_14:                             ;   Parent Loop BB132_4 Depth=1
                                        ; =>  This Inner Loop Header: Depth=2
	v_and_b32_e32 v12, 1, v10
	v_and_b32_e32 v10, 0xff, v10
	s_delay_alu instid0(VALU_DEP_2) | instskip(SKIP_1) | instid1(VALU_DEP_3)
	v_cmp_eq_u32_e32 vcc_lo, 1, v12
	v_cndmask_b32_e32 v12, 1, v11, vcc_lo
	v_cmp_gt_u16_e32 vcc_lo, 2, v10
	v_lshrrev_b16 v10, 1, v10
	v_mul_lo_u16 v11, v11, v11
	s_delay_alu instid0(VALU_DEP_4) | instskip(SKIP_1) | instid1(SALU_CYCLE_1)
	v_mul_lo_u16 v9, v12, v9
	s_or_b32 s15, vcc_lo, s15
	s_and_not1_b32 exec_lo, exec_lo, s15
	s_cbranch_execnz .LBB132_14
; %bb.15:                               ;   in Loop: Header=BB132_4 Depth=1
	s_or_b32 exec_lo, exec_lo, s15
.LBB132_16:                             ;   in Loop: Header=BB132_4 Depth=1
	s_delay_alu instid0(SALU_CYCLE_1) | instskip(SKIP_1) | instid1(VALU_DEP_1)
	s_or_b32 exec_lo, exec_lo, s2
	v_lshrrev_b32_e32 v7, 24, v7
	v_mul_lo_u16 v10, v7, s14
	s_delay_alu instid0(VALU_DEP_1) | instskip(NEXT) | instid1(VALU_DEP_1)
	v_and_b32_e32 v7, 0xff, v10
	v_cmp_ne_u16_e32 vcc_lo, 0, v7
	v_mov_b32_e32 v7, 1
	s_and_saveexec_b32 s2, vcc_lo
	s_cbranch_execz .LBB132_3
; %bb.17:                               ;   in Loop: Header=BB132_4 Depth=1
	s_waitcnt vmcnt(0)
	v_lshrrev_b32_e32 v6, 24, v6
	v_mov_b32_e32 v7, 1
	s_mov_b32 s15, 0
.LBB132_18:                             ;   Parent Loop BB132_4 Depth=1
                                        ; =>  This Inner Loop Header: Depth=2
	v_and_b32_e32 v11, 1, v10
	v_and_b32_e32 v10, 0xff, v10
	s_delay_alu instid0(VALU_DEP_2) | instskip(SKIP_1) | instid1(VALU_DEP_3)
	v_cmp_eq_u32_e32 vcc_lo, 1, v11
	v_cndmask_b32_e32 v11, 1, v6, vcc_lo
	v_cmp_gt_u16_e32 vcc_lo, 2, v10
	v_lshrrev_b16 v10, 1, v10
	v_mul_lo_u16 v6, v6, v6
	s_delay_alu instid0(VALU_DEP_4) | instskip(SKIP_1) | instid1(SALU_CYCLE_1)
	v_mul_lo_u16 v7, v11, v7
	s_or_b32 s15, vcc_lo, s15
	s_and_not1_b32 exec_lo, exec_lo, s15
	s_cbranch_execnz .LBB132_18
; %bb.19:                               ;   in Loop: Header=BB132_4 Depth=1
	s_or_b32 exec_lo, exec_lo, s15
	s_branch .LBB132_3
.LBB132_20:
	s_or_b32 exec_lo, exec_lo, s9
.LBB132_21:
	s_delay_alu instid0(SALU_CYCLE_1)
	s_and_not1_b32 vcc_lo, exec_lo, s8
	s_cbranch_vccnz .LBB132_57
; %bb.22:
	v_cmp_lt_i64_e64 s2, s[6:7], 1
	s_delay_alu instid0(VALU_DEP_1)
	s_and_b32 vcc_lo, exec_lo, s2
	s_cbranch_vccnz .LBB132_57
; %bb.23:
	s_load_b32 s0, s[0:1], 0xc5c
	v_cmp_gt_u64_e64 s1, 0x10000, s[6:7]
	s_mov_b64 s[8:9], 0
	s_waitcnt lgkmcnt(0)
	s_and_b32 s14, s0, 0xffff
	s_delay_alu instid0(VALU_DEP_1)
	s_and_b32 s0, s1, exec_lo
	s_cselect_b32 s11, s7, 0
	s_cselect_b32 s10, s6, 0x10000
	s_lshl_b32 s15, s14, 1
	s_mul_i32 s16, s14, 3
	s_lshl_b32 s17, s14, 2
	s_lshr_b32 s18, s3, 16
	s_branch .LBB132_25
.LBB132_24:                             ;   in Loop: Header=BB132_25 Depth=1
	s_or_b32 exec_lo, exec_lo, s0
	s_add_u32 s8, s8, s17
	s_addc_u32 s9, s9, 0
	s_delay_alu instid0(SALU_CYCLE_1) | instskip(SKIP_1) | instid1(VALU_DEP_1)
	v_cmp_ge_i64_e64 s0, s[8:9], s[6:7]
	v_cmp_lt_u64_e64 s1, 0xffff, s[8:9]
	s_or_b32 s0, s0, s1
	s_delay_alu instid0(SALU_CYCLE_1)
	s_and_b32 vcc_lo, exec_lo, s0
	s_cbranch_vccnz .LBB132_57
.LBB132_25:                             ; =>This Loop Header: Depth=1
                                        ;     Child Loop BB132_35 Depth 2
                                        ;     Child Loop BB132_39 Depth 2
	;; [unrolled: 1-line block ×4, first 2 shown]
	v_add_co_u32 v1, s0, s8, v0
	s_delay_alu instid0(VALU_DEP_1) | instskip(SKIP_2) | instid1(VALU_DEP_3)
	v_add_co_ci_u32_e64 v2, null, s9, 0, s0
	v_dual_mov_b32 v12, 0 :: v_dual_mov_b32 v9, 0
	v_mov_b32_e32 v10, 0
	v_cmp_gt_u64_e32 vcc_lo, s[10:11], v[1:2]
	s_and_saveexec_b32 s1, vcc_lo
	s_cbranch_execz .LBB132_27
; %bb.26:                               ;   in Loop: Header=BB132_25 Depth=1
	v_add_co_u32 v3, s0, s4, v1
	s_delay_alu instid0(VALU_DEP_1) | instskip(SKIP_1) | instid1(VALU_DEP_1)
	v_add_co_ci_u32_e64 v4, s0, s5, v2, s0
	v_add_co_u32 v5, s0, s12, v1
	v_add_co_ci_u32_e64 v6, s0, s13, v2, s0
	global_load_u8 v9, v[3:4], off
	global_load_u8 v10, v[5:6], off
.LBB132_27:                             ;   in Loop: Header=BB132_25 Depth=1
	s_or_b32 exec_lo, exec_lo, s1
	v_add_co_u32 v3, s0, v1, s14
	s_delay_alu instid0(VALU_DEP_1) | instskip(NEXT) | instid1(VALU_DEP_1)
	v_add_co_ci_u32_e64 v4, s0, 0, v2, s0
	v_cmp_gt_u64_e64 s0, s[10:11], v[3:4]
	s_delay_alu instid0(VALU_DEP_1)
	s_and_saveexec_b32 s2, s0
	s_cbranch_execz .LBB132_29
; %bb.28:                               ;   in Loop: Header=BB132_25 Depth=1
	v_add_co_u32 v5, s1, s4, v3
	s_delay_alu instid0(VALU_DEP_1) | instskip(SKIP_2) | instid1(VALU_DEP_1)
	v_add_co_ci_u32_e64 v6, s1, s5, v4, s1
	global_load_u8 v7, v[5:6], off
	v_add_co_u32 v5, s1, s12, v3
	v_add_co_ci_u32_e64 v6, s1, s13, v4, s1
	global_load_u8 v12, v[5:6], off
	s_waitcnt vmcnt(1)
	v_lshl_or_b32 v9, v7, 8, v9
.LBB132_29:                             ;   in Loop: Header=BB132_25 Depth=1
	s_or_b32 exec_lo, exec_lo, s2
	v_add_co_u32 v5, s1, v1, s15
	s_delay_alu instid0(VALU_DEP_1) | instskip(SKIP_2) | instid1(VALU_DEP_3)
	v_add_co_ci_u32_e64 v6, s1, 0, v2, s1
	v_mov_b32_e32 v11, 0
	v_mov_b32_e32 v13, 0
	v_cmp_gt_u64_e64 s1, s[10:11], v[5:6]
	s_delay_alu instid0(VALU_DEP_1)
	s_and_saveexec_b32 s3, s1
	s_cbranch_execz .LBB132_31
; %bb.30:                               ;   in Loop: Header=BB132_25 Depth=1
	v_add_co_u32 v7, s2, s4, v5
	s_delay_alu instid0(VALU_DEP_1) | instskip(SKIP_2) | instid1(VALU_DEP_1)
	v_add_co_ci_u32_e64 v8, s2, s5, v6, s2
	global_load_u8 v14, v[7:8], off
	v_add_co_u32 v7, s2, s12, v5
	v_add_co_ci_u32_e64 v8, s2, s13, v6, s2
	global_load_u8 v13, v[7:8], off
	s_waitcnt vmcnt(1)
	v_lshl_or_b32 v9, v14, 16, v9
.LBB132_31:                             ;   in Loop: Header=BB132_25 Depth=1
	s_or_b32 exec_lo, exec_lo, s3
	v_add_co_u32 v7, s2, v1, s16
	s_delay_alu instid0(VALU_DEP_1) | instskip(NEXT) | instid1(VALU_DEP_1)
	v_add_co_ci_u32_e64 v8, s2, 0, v2, s2
	v_cmp_gt_u64_e64 s2, s[10:11], v[7:8]
	s_delay_alu instid0(VALU_DEP_1)
	s_and_saveexec_b32 s19, s2
	s_cbranch_execz .LBB132_33
; %bb.32:                               ;   in Loop: Header=BB132_25 Depth=1
	v_add_co_u32 v14, s3, s4, v7
	s_delay_alu instid0(VALU_DEP_1) | instskip(SKIP_2) | instid1(VALU_DEP_1)
	v_add_co_ci_u32_e64 v15, s3, s5, v8, s3
	global_load_u8 v16, v[14:15], off
	v_add_co_u32 v14, s3, s12, v7
	v_add_co_ci_u32_e64 v15, s3, s13, v8, s3
	global_load_u8 v11, v[14:15], off
	s_waitcnt vmcnt(1)
	v_lshl_or_b32 v9, v16, 24, v9
.LBB132_33:                             ;   in Loop: Header=BB132_25 Depth=1
	s_or_b32 exec_lo, exec_lo, s19
	s_waitcnt vmcnt(0)
	v_mul_lo_u16 v14, v10, s18
	s_delay_alu instid0(VALU_DEP_1) | instskip(NEXT) | instid1(VALU_DEP_1)
	v_and_b32_e32 v10, 0xff, v14
	v_cmp_ne_u16_e64 s3, 0, v10
	v_mov_b32_e32 v10, 1
	s_delay_alu instid0(VALU_DEP_2)
	s_and_saveexec_b32 s19, s3
	s_cbranch_execz .LBB132_37
; %bb.34:                               ;   in Loop: Header=BB132_25 Depth=1
	v_dual_mov_b32 v10, 1 :: v_dual_mov_b32 v15, v9
	s_mov_b32 s20, 0
	.p2align	6
.LBB132_35:                             ;   Parent Loop BB132_25 Depth=1
                                        ; =>  This Inner Loop Header: Depth=2
	v_and_b32_e32 v16, 1, v14
	v_and_b32_e32 v14, 0xff, v14
	s_delay_alu instid0(VALU_DEP_2) | instskip(NEXT) | instid1(VALU_DEP_1)
	v_cmp_eq_u32_e64 s3, 1, v16
	v_cndmask_b32_e64 v16, 1, v15, s3
	s_delay_alu instid0(VALU_DEP_3) | instskip(SKIP_2) | instid1(VALU_DEP_4)
	v_cmp_gt_u16_e64 s3, 2, v14
	v_lshrrev_b16 v14, 1, v14
	v_mul_lo_u16 v15, v15, v15
	v_mul_lo_u16 v10, v16, v10
	s_delay_alu instid0(VALU_DEP_4) | instskip(NEXT) | instid1(SALU_CYCLE_1)
	s_or_b32 s20, s3, s20
	s_and_not1_b32 exec_lo, exec_lo, s20
	s_cbranch_execnz .LBB132_35
; %bb.36:                               ;   in Loop: Header=BB132_25 Depth=1
	s_or_b32 exec_lo, exec_lo, s20
.LBB132_37:                             ;   in Loop: Header=BB132_25 Depth=1
	s_delay_alu instid0(SALU_CYCLE_1) | instskip(SKIP_1) | instid1(VALU_DEP_1)
	s_or_b32 exec_lo, exec_lo, s19
	v_mul_lo_u16 v14, v12, s18
	v_and_b32_e32 v12, 0xff, v14
	s_delay_alu instid0(VALU_DEP_1) | instskip(SKIP_1) | instid1(VALU_DEP_2)
	v_cmp_ne_u16_e64 s3, 0, v12
	v_mov_b32_e32 v12, 1
	s_and_saveexec_b32 s19, s3
	s_cbranch_execz .LBB132_41
; %bb.38:                               ;   in Loop: Header=BB132_25 Depth=1
	v_lshrrev_b32_e32 v15, 8, v9
	v_mov_b32_e32 v12, 1
	s_mov_b32 s20, 0
	.p2align	6
.LBB132_39:                             ;   Parent Loop BB132_25 Depth=1
                                        ; =>  This Inner Loop Header: Depth=2
	v_and_b32_e32 v16, 1, v14
	v_and_b32_e32 v14, 0xff, v14
	s_delay_alu instid0(VALU_DEP_2) | instskip(NEXT) | instid1(VALU_DEP_1)
	v_cmp_eq_u32_e64 s3, 1, v16
	v_cndmask_b32_e64 v16, 1, v15, s3
	s_delay_alu instid0(VALU_DEP_3) | instskip(SKIP_2) | instid1(VALU_DEP_4)
	v_cmp_gt_u16_e64 s3, 2, v14
	v_lshrrev_b16 v14, 1, v14
	v_mul_lo_u16 v15, v15, v15
	v_mul_lo_u16 v12, v16, v12
	s_delay_alu instid0(VALU_DEP_4) | instskip(NEXT) | instid1(SALU_CYCLE_1)
	s_or_b32 s20, s3, s20
	s_and_not1_b32 exec_lo, exec_lo, s20
	s_cbranch_execnz .LBB132_39
; %bb.40:                               ;   in Loop: Header=BB132_25 Depth=1
	s_or_b32 exec_lo, exec_lo, s20
.LBB132_41:                             ;   in Loop: Header=BB132_25 Depth=1
	s_delay_alu instid0(SALU_CYCLE_1) | instskip(SKIP_1) | instid1(VALU_DEP_1)
	s_or_b32 exec_lo, exec_lo, s19
	v_mul_lo_u16 v14, v13, s18
	v_and_b32_e32 v13, 0xff, v14
	s_delay_alu instid0(VALU_DEP_1) | instskip(SKIP_1) | instid1(VALU_DEP_2)
	v_cmp_ne_u16_e64 s3, 0, v13
	v_mov_b32_e32 v13, 1
	s_and_saveexec_b32 s19, s3
	s_cbranch_execz .LBB132_45
; %bb.42:                               ;   in Loop: Header=BB132_25 Depth=1
	v_lshrrev_b32_e32 v15, 16, v9
	v_mov_b32_e32 v13, 1
	s_mov_b32 s20, 0
	.p2align	6
.LBB132_43:                             ;   Parent Loop BB132_25 Depth=1
                                        ; =>  This Inner Loop Header: Depth=2
	v_and_b32_e32 v16, 1, v14
	v_and_b32_e32 v14, 0xff, v14
	s_delay_alu instid0(VALU_DEP_2) | instskip(NEXT) | instid1(VALU_DEP_1)
	v_cmp_eq_u32_e64 s3, 1, v16
	v_cndmask_b32_e64 v16, 1, v15, s3
	s_delay_alu instid0(VALU_DEP_3) | instskip(SKIP_2) | instid1(VALU_DEP_4)
	v_cmp_gt_u16_e64 s3, 2, v14
	v_lshrrev_b16 v14, 1, v14
	v_mul_lo_u16 v15, v15, v15
	v_mul_lo_u16 v13, v16, v13
	s_delay_alu instid0(VALU_DEP_4) | instskip(NEXT) | instid1(SALU_CYCLE_1)
	s_or_b32 s20, s3, s20
	s_and_not1_b32 exec_lo, exec_lo, s20
	s_cbranch_execnz .LBB132_43
; %bb.44:                               ;   in Loop: Header=BB132_25 Depth=1
	s_or_b32 exec_lo, exec_lo, s20
.LBB132_45:                             ;   in Loop: Header=BB132_25 Depth=1
	s_delay_alu instid0(SALU_CYCLE_1) | instskip(SKIP_1) | instid1(VALU_DEP_1)
	s_or_b32 exec_lo, exec_lo, s19
	v_mul_lo_u16 v14, v11, s18
	v_and_b32_e32 v11, 0xff, v14
	s_delay_alu instid0(VALU_DEP_1) | instskip(SKIP_1) | instid1(VALU_DEP_2)
	v_cmp_ne_u16_e64 s3, 0, v11
	v_mov_b32_e32 v11, 1
	s_and_saveexec_b32 s19, s3
	s_cbranch_execnz .LBB132_50
; %bb.46:                               ;   in Loop: Header=BB132_25 Depth=1
	s_or_b32 exec_lo, exec_lo, s19
	s_and_saveexec_b32 s3, vcc_lo
	s_delay_alu instid0(SALU_CYCLE_1)
	s_xor_b32 s3, exec_lo, s3
	s_cbranch_execnz .LBB132_53
.LBB132_47:                             ;   in Loop: Header=BB132_25 Depth=1
	s_or_b32 exec_lo, exec_lo, s3
	s_and_saveexec_b32 s3, s0
	s_cbranch_execnz .LBB132_54
.LBB132_48:                             ;   in Loop: Header=BB132_25 Depth=1
	s_or_b32 exec_lo, exec_lo, s3
	s_and_saveexec_b32 s0, s1
	s_cbranch_execnz .LBB132_55
.LBB132_49:                             ;   in Loop: Header=BB132_25 Depth=1
	s_or_b32 exec_lo, exec_lo, s0
	s_and_saveexec_b32 s0, s2
	s_cbranch_execz .LBB132_24
	s_branch .LBB132_56
.LBB132_50:                             ;   in Loop: Header=BB132_25 Depth=1
	v_lshrrev_b32_e32 v9, 24, v9
	v_mov_b32_e32 v11, 1
	s_mov_b32 s20, 0
	.p2align	6
.LBB132_51:                             ;   Parent Loop BB132_25 Depth=1
                                        ; =>  This Inner Loop Header: Depth=2
	v_and_b32_e32 v15, 1, v14
	v_and_b32_e32 v14, 0xff, v14
	s_delay_alu instid0(VALU_DEP_2) | instskip(NEXT) | instid1(VALU_DEP_1)
	v_cmp_eq_u32_e64 s3, 1, v15
	v_cndmask_b32_e64 v15, 1, v9, s3
	s_delay_alu instid0(VALU_DEP_3) | instskip(SKIP_2) | instid1(VALU_DEP_4)
	v_cmp_gt_u16_e64 s3, 2, v14
	v_lshrrev_b16 v14, 1, v14
	v_mul_lo_u16 v9, v9, v9
	v_mul_lo_u16 v11, v15, v11
	s_delay_alu instid0(VALU_DEP_4) | instskip(NEXT) | instid1(SALU_CYCLE_1)
	s_or_b32 s20, s3, s20
	s_and_not1_b32 exec_lo, exec_lo, s20
	s_cbranch_execnz .LBB132_51
; %bb.52:                               ;   in Loop: Header=BB132_25 Depth=1
	s_or_b32 exec_lo, exec_lo, s20
	s_delay_alu instid0(SALU_CYCLE_1) | instskip(SKIP_1) | instid1(SALU_CYCLE_1)
	s_or_b32 exec_lo, exec_lo, s19
	s_and_saveexec_b32 s3, vcc_lo
	s_xor_b32 s3, exec_lo, s3
	s_cbranch_execz .LBB132_47
.LBB132_53:                             ;   in Loop: Header=BB132_25 Depth=1
	v_add_co_u32 v1, vcc_lo, s4, v1
	v_add_co_ci_u32_e32 v2, vcc_lo, s5, v2, vcc_lo
	global_store_b8 v[1:2], v10, off
	s_or_b32 exec_lo, exec_lo, s3
	s_and_saveexec_b32 s3, s0
	s_cbranch_execz .LBB132_48
.LBB132_54:                             ;   in Loop: Header=BB132_25 Depth=1
	v_add_co_u32 v1, vcc_lo, s4, v3
	v_add_co_ci_u32_e32 v2, vcc_lo, s5, v4, vcc_lo
	global_store_b8 v[1:2], v12, off
	s_or_b32 exec_lo, exec_lo, s3
	s_and_saveexec_b32 s0, s1
	s_cbranch_execz .LBB132_49
.LBB132_55:                             ;   in Loop: Header=BB132_25 Depth=1
	v_add_co_u32 v1, vcc_lo, s4, v5
	v_add_co_ci_u32_e32 v2, vcc_lo, s5, v6, vcc_lo
	global_store_b8 v[1:2], v13, off
	s_or_b32 exec_lo, exec_lo, s0
	s_and_saveexec_b32 s0, s2
	s_cbranch_execz .LBB132_24
.LBB132_56:                             ;   in Loop: Header=BB132_25 Depth=1
	v_add_co_u32 v1, vcc_lo, s4, v7
	v_add_co_ci_u32_e32 v2, vcc_lo, s5, v8, vcc_lo
	global_store_b8 v[1:2], v11, off
	s_branch .LBB132_24
.LBB132_57:
	s_nop 0
	s_sendmsg sendmsg(MSG_DEALLOC_VGPRS)
	s_endpgm
	.section	.rodata,"a",@progbits
	.p2align	6, 0x0
	.amdhsa_kernel _ZN2at6native12_GLOBAL__N_125multi_tensor_apply_kernelINS1_18TensorListMetadataILi2EEENS1_24BinaryOpListAlphaFunctorIhLi2ELi2ELi0EEEJNS1_13power_functorIhEEhEEEvT_T0_DpT1_
		.amdhsa_group_segment_fixed_size 0
		.amdhsa_private_segment_fixed_size 0
		.amdhsa_kernarg_size 3408
		.amdhsa_user_sgpr_count 15
		.amdhsa_user_sgpr_dispatch_ptr 0
		.amdhsa_user_sgpr_queue_ptr 0
		.amdhsa_user_sgpr_kernarg_segment_ptr 1
		.amdhsa_user_sgpr_dispatch_id 0
		.amdhsa_user_sgpr_private_segment_size 0
		.amdhsa_wavefront_size32 1
		.amdhsa_uses_dynamic_stack 0
		.amdhsa_enable_private_segment 0
		.amdhsa_system_sgpr_workgroup_id_x 1
		.amdhsa_system_sgpr_workgroup_id_y 0
		.amdhsa_system_sgpr_workgroup_id_z 0
		.amdhsa_system_sgpr_workgroup_info 0
		.amdhsa_system_vgpr_workitem_id 0
		.amdhsa_next_free_vgpr 17
		.amdhsa_next_free_sgpr 21
		.amdhsa_reserve_vcc 1
		.amdhsa_float_round_mode_32 0
		.amdhsa_float_round_mode_16_64 0
		.amdhsa_float_denorm_mode_32 3
		.amdhsa_float_denorm_mode_16_64 3
		.amdhsa_dx10_clamp 1
		.amdhsa_ieee_mode 1
		.amdhsa_fp16_overflow 0
		.amdhsa_workgroup_processor_mode 1
		.amdhsa_memory_ordered 1
		.amdhsa_forward_progress 0
		.amdhsa_shared_vgpr_count 0
		.amdhsa_exception_fp_ieee_invalid_op 0
		.amdhsa_exception_fp_denorm_src 0
		.amdhsa_exception_fp_ieee_div_zero 0
		.amdhsa_exception_fp_ieee_overflow 0
		.amdhsa_exception_fp_ieee_underflow 0
		.amdhsa_exception_fp_ieee_inexact 0
		.amdhsa_exception_int_div_zero 0
	.end_amdhsa_kernel
	.section	.text._ZN2at6native12_GLOBAL__N_125multi_tensor_apply_kernelINS1_18TensorListMetadataILi2EEENS1_24BinaryOpListAlphaFunctorIhLi2ELi2ELi0EEEJNS1_13power_functorIhEEhEEEvT_T0_DpT1_,"axG",@progbits,_ZN2at6native12_GLOBAL__N_125multi_tensor_apply_kernelINS1_18TensorListMetadataILi2EEENS1_24BinaryOpListAlphaFunctorIhLi2ELi2ELi0EEEJNS1_13power_functorIhEEhEEEvT_T0_DpT1_,comdat
.Lfunc_end132:
	.size	_ZN2at6native12_GLOBAL__N_125multi_tensor_apply_kernelINS1_18TensorListMetadataILi2EEENS1_24BinaryOpListAlphaFunctorIhLi2ELi2ELi0EEEJNS1_13power_functorIhEEhEEEvT_T0_DpT1_, .Lfunc_end132-_ZN2at6native12_GLOBAL__N_125multi_tensor_apply_kernelINS1_18TensorListMetadataILi2EEENS1_24BinaryOpListAlphaFunctorIhLi2ELi2ELi0EEEJNS1_13power_functorIhEEhEEEvT_T0_DpT1_
                                        ; -- End function
	.section	.AMDGPU.csdata,"",@progbits
; Kernel info:
; codeLenInByte = 2372
; NumSgprs: 23
; NumVgprs: 17
; ScratchSize: 0
; MemoryBound: 0
; FloatMode: 240
; IeeeMode: 1
; LDSByteSize: 0 bytes/workgroup (compile time only)
; SGPRBlocks: 2
; VGPRBlocks: 2
; NumSGPRsForWavesPerEU: 23
; NumVGPRsForWavesPerEU: 17
; Occupancy: 16
; WaveLimiterHint : 0
; COMPUTE_PGM_RSRC2:SCRATCH_EN: 0
; COMPUTE_PGM_RSRC2:USER_SGPR: 15
; COMPUTE_PGM_RSRC2:TRAP_HANDLER: 0
; COMPUTE_PGM_RSRC2:TGID_X_EN: 1
; COMPUTE_PGM_RSRC2:TGID_Y_EN: 0
; COMPUTE_PGM_RSRC2:TGID_Z_EN: 0
; COMPUTE_PGM_RSRC2:TIDIG_COMP_CNT: 0
	.section	.text._ZN2at6native12_GLOBAL__N_125multi_tensor_apply_kernelINS1_18TensorListMetadataILi2EEENS1_24BinaryOpListAlphaFunctorIaLi2ELi2ELi0EEEJNS1_13power_functorIaEEaEEEvT_T0_DpT1_,"axG",@progbits,_ZN2at6native12_GLOBAL__N_125multi_tensor_apply_kernelINS1_18TensorListMetadataILi2EEENS1_24BinaryOpListAlphaFunctorIaLi2ELi2ELi0EEEJNS1_13power_functorIaEEaEEEvT_T0_DpT1_,comdat
	.globl	_ZN2at6native12_GLOBAL__N_125multi_tensor_apply_kernelINS1_18TensorListMetadataILi2EEENS1_24BinaryOpListAlphaFunctorIaLi2ELi2ELi0EEEJNS1_13power_functorIaEEaEEEvT_T0_DpT1_ ; -- Begin function _ZN2at6native12_GLOBAL__N_125multi_tensor_apply_kernelINS1_18TensorListMetadataILi2EEENS1_24BinaryOpListAlphaFunctorIaLi2ELi2ELi0EEEJNS1_13power_functorIaEEaEEEvT_T0_DpT1_
	.p2align	8
	.type	_ZN2at6native12_GLOBAL__N_125multi_tensor_apply_kernelINS1_18TensorListMetadataILi2EEENS1_24BinaryOpListAlphaFunctorIaLi2ELi2ELi0EEEJNS1_13power_functorIaEEaEEEvT_T0_DpT1_,@function
_ZN2at6native12_GLOBAL__N_125multi_tensor_apply_kernelINS1_18TensorListMetadataILi2EEENS1_24BinaryOpListAlphaFunctorIaLi2ELi2ELi0EEEJNS1_13power_functorIaEEaEEEvT_T0_DpT1_: ; @_ZN2at6native12_GLOBAL__N_125multi_tensor_apply_kernelINS1_18TensorListMetadataILi2EEENS1_24BinaryOpListAlphaFunctorIaLi2ELi2ELi0EEEJNS1_13power_functorIaEEaEEEvT_T0_DpT1_
; %bb.0:
	v_mov_b32_e32 v1, s15
	s_add_u32 s2, s0, s15
	s_mul_hi_u32 s3, s15, 3
	s_mul_i32 s15, s15, 3
	s_addc_u32 s4, s1, 0
	global_load_u8 v1, v1, s[0:1] offset:1536
	s_add_u32 s2, s2, s15
	s_addc_u32 s3, s4, s3
	s_load_b32 s4, s[2:3], 0x740
	s_waitcnt lgkmcnt(0)
	s_ashr_i32 s5, s4, 31
	s_delay_alu instid0(SALU_CYCLE_1) | instskip(SKIP_2) | instid1(VALU_DEP_1)
	s_lshl_b64 s[14:15], s[4:5], 16
	s_waitcnt vmcnt(0)
	v_readfirstlane_b32 s2, v1
	s_lshl_b32 s2, s2, 3
	s_clause 0x3
	s_load_b64 s[6:7], s[0:1], s2 offset:0x0
	s_load_b64 s[8:9], s[0:1], s2 offset:0x200
	;; [unrolled: 1-line block ×3, first 2 shown]
	s_load_b32 s3, s[0:1], 0xc48
	s_waitcnt lgkmcnt(0)
	s_add_u32 s4, s6, s14
	s_addc_u32 s5, s7, s15
	s_add_u32 s12, s8, s14
	s_addc_u32 s13, s9, s15
	s_or_b64 s[6:7], s[10:11], s[4:5]
	s_mov_b32 s8, -1
	s_or_b32 s2, s12, s6
	s_delay_alu instid0(SALU_CYCLE_1)
	s_and_b32 s2, s2, 3
	s_sub_u32 s6, s10, s14
	s_subb_u32 s7, s11, s15
	s_cmp_eq_u32 s2, 0
	s_cbranch_scc0 .LBB133_61
; %bb.1:
	v_dual_mov_b32 v2, 0 :: v_dual_lshlrev_b32 v1, 2, v0
	s_mov_b32 s8, 0
	s_mov_b32 s9, exec_lo
	s_delay_alu instid0(VALU_DEP_1)
	v_cmpx_gt_i64_e64 s[6:7], v[1:2]
	s_cbranch_execz .LBB133_60
; %bb.2:
	s_load_b32 s2, s[0:1], 0xc5c
	v_mov_b32_e32 v1, v2
	s_mov_b32 s10, 0
	s_lshr_b32 s14, s3, 16
	s_delay_alu instid0(VALU_DEP_1)
	v_mov_b32_e32 v2, v1
	v_mov_b32_e32 v1, v0
	s_waitcnt lgkmcnt(0)
	s_and_b32 s11, s2, 0xffff
	s_branch .LBB133_6
.LBB133_3:                              ;   in Loop: Header=BB133_6 Depth=1
	s_or_b32 exec_lo, exec_lo, s16
.LBB133_4:                              ;   in Loop: Header=BB133_6 Depth=1
	s_delay_alu instid0(SALU_CYCLE_1)
	s_or_b32 exec_lo, exec_lo, s15
.LBB133_5:                              ;   in Loop: Header=BB133_6 Depth=1
	s_delay_alu instid0(SALU_CYCLE_1) | instskip(SKIP_4) | instid1(VALU_DEP_3)
	s_or_b32 exec_lo, exec_lo, s2
	v_add_co_u32 v1, vcc_lo, v1, s11
	v_add_co_ci_u32_e32 v2, vcc_lo, 0, v2, vcc_lo
	v_and_b32_e32 v10, 0xff, v8
	v_and_b32_e32 v9, 0xff, v9
	v_lshlrev_b64 v[7:8], 2, v[1:2]
	s_delay_alu instid0(VALU_DEP_3) | instskip(NEXT) | instid1(VALU_DEP_2)
	v_perm_b32 v5, v10, v5, 0x6050400
	v_cmp_le_i64_e32 vcc_lo, s[6:7], v[7:8]
	v_cmp_lt_u64_e64 s2, 0xffff, v[7:8]
	s_delay_alu instid0(VALU_DEP_3) | instskip(NEXT) | instid1(VALU_DEP_1)
	v_lshl_or_b32 v5, v9, 16, v5
	v_lshl_or_b32 v5, v6, 24, v5
	s_delay_alu instid0(VALU_DEP_3) | instskip(NEXT) | instid1(SALU_CYCLE_1)
	s_or_b32 s2, vcc_lo, s2
	s_and_b32 s2, exec_lo, s2
	s_delay_alu instid0(SALU_CYCLE_1)
	s_or_b32 s10, s2, s10
	global_store_b32 v[3:4], v5, off
	s_and_not1_b32 exec_lo, exec_lo, s10
	s_cbranch_execz .LBB133_60
.LBB133_6:                              ; =>This Loop Header: Depth=1
                                        ;     Child Loop BB133_9 Depth 2
                                        ;     Child Loop BB133_23 Depth 2
	;; [unrolled: 1-line block ×4, first 2 shown]
	s_delay_alu instid0(VALU_DEP_1) | instskip(SKIP_1) | instid1(VALU_DEP_1)
	v_lshlrev_b64 v[3:4], 2, v[1:2]
	s_mov_b32 s2, exec_lo
	v_add_co_u32 v5, vcc_lo, s12, v3
	s_delay_alu instid0(VALU_DEP_2)
	v_add_co_ci_u32_e32 v6, vcc_lo, s13, v4, vcc_lo
	v_add_co_u32 v3, vcc_lo, s4, v3
	v_add_co_ci_u32_e32 v4, vcc_lo, s5, v4, vcc_lo
	global_load_b32 v6, v[5:6], off
	global_load_b32 v7, v[3:4], off
	s_waitcnt vmcnt(1)
	v_mul_lo_u16 v5, v6, s14
	s_delay_alu instid0(VALU_DEP_1) | instskip(NEXT) | instid1(VALU_DEP_1)
	v_bfe_i32 v8, v5, 0, 8
                                        ; implicit-def: $vgpr5
	v_cmpx_lt_i16_e32 -1, v8
	s_xor_b32 s2, exec_lo, s2
	s_cbranch_execz .LBB133_12
; %bb.7:                                ;   in Loop: Header=BB133_6 Depth=1
	v_mov_b32_e32 v5, 1
	s_mov_b32 s15, exec_lo
	v_cmpx_ne_u16_e32 0, v8
	s_cbranch_execz .LBB133_11
; %bb.8:                                ;   in Loop: Header=BB133_6 Depth=1
	v_mov_b32_e32 v5, 1
	s_waitcnt vmcnt(0)
	v_mov_b32_e32 v9, v7
	s_mov_b32 s16, 0
	.p2align	6
.LBB133_9:                              ;   Parent Loop BB133_6 Depth=1
                                        ; =>  This Inner Loop Header: Depth=2
	s_delay_alu instid0(VALU_DEP_1) | instskip(SKIP_1) | instid1(VALU_DEP_2)
	v_lshrrev_b16 v10, 7, v8
	v_add_nc_u16 v11, v8, 1
	v_and_b32_e32 v10, 1, v10
	s_delay_alu instid0(VALU_DEP_1) | instskip(SKIP_1) | instid1(VALU_DEP_2)
	v_add_nc_u16 v10, v8, v10
	v_and_b32_e32 v8, 1, v8
	v_bfe_i32 v10, v10, 0, 8
	s_delay_alu instid0(VALU_DEP_2) | instskip(SKIP_1) | instid1(VALU_DEP_3)
	v_cmp_eq_u32_e32 vcc_lo, 1, v8
	v_and_b32_e32 v11, 0xff, v11
	v_ashrrev_i16 v10, 1, v10
	v_cndmask_b32_e32 v8, 1, v9, vcc_lo
	s_delay_alu instid0(VALU_DEP_3) | instskip(SKIP_1) | instid1(VALU_DEP_3)
	v_cmp_gt_u16_e32 vcc_lo, 3, v11
	v_mul_lo_u16 v9, v9, v9
	v_mul_lo_u16 v5, v8, v5
	v_mov_b32_e32 v8, v10
	s_or_b32 s16, vcc_lo, s16
	s_delay_alu instid0(SALU_CYCLE_1)
	s_and_not1_b32 exec_lo, exec_lo, s16
	s_cbranch_execnz .LBB133_9
; %bb.10:                               ;   in Loop: Header=BB133_6 Depth=1
	s_or_b32 exec_lo, exec_lo, s16
.LBB133_11:                             ;   in Loop: Header=BB133_6 Depth=1
	s_delay_alu instid0(SALU_CYCLE_1)
	s_or_b32 exec_lo, exec_lo, s15
                                        ; implicit-def: $vgpr8
.LBB133_12:                             ;   in Loop: Header=BB133_6 Depth=1
	s_and_not1_saveexec_b32 s2, s2
	s_cbranch_execz .LBB133_20
; %bb.13:                               ;   in Loop: Header=BB133_6 Depth=1
	s_waitcnt vmcnt(0)
	v_and_b32_e32 v9, 0xff, v7
	s_mov_b32 s15, exec_lo
                                        ; implicit-def: $vgpr5
	s_delay_alu instid0(VALU_DEP_1)
	v_cmpx_lt_i16_e32 0xfe, v9
	s_xor_b32 s15, exec_lo, s15
; %bb.14:                               ;   in Loop: Header=BB133_6 Depth=1
	v_and_b32_e32 v5, 1, v8
                                        ; implicit-def: $vgpr9
	s_delay_alu instid0(VALU_DEP_1)
	v_cmp_eq_u16_e32 vcc_lo, 0, v5
	v_cndmask_b32_e64 v5, -1, 1, vcc_lo
; %bb.15:                               ;   in Loop: Header=BB133_6 Depth=1
	s_and_not1_saveexec_b32 s15, s15
	s_cbranch_execz .LBB133_19
; %bb.16:                               ;   in Loop: Header=BB133_6 Depth=1
	v_mov_b32_e32 v5, 1
	s_mov_b32 s16, exec_lo
	v_cmpx_ne_u16_e32 1, v9
; %bb.17:                               ;   in Loop: Header=BB133_6 Depth=1
	v_mov_b32_e32 v5, 0
; %bb.18:                               ;   in Loop: Header=BB133_6 Depth=1
	s_or_b32 exec_lo, exec_lo, s16
.LBB133_19:                             ;   in Loop: Header=BB133_6 Depth=1
	s_delay_alu instid0(SALU_CYCLE_1)
	s_or_b32 exec_lo, exec_lo, s15
.LBB133_20:                             ;   in Loop: Header=BB133_6 Depth=1
	s_delay_alu instid0(SALU_CYCLE_1) | instskip(SKIP_4) | instid1(VALU_DEP_2)
	s_or_b32 exec_lo, exec_lo, s2
	v_lshrrev_b32_e32 v8, 8, v6
	s_waitcnt vmcnt(0)
	v_lshrrev_b32_e32 v9, 8, v7
	s_mov_b32 s2, exec_lo
	v_mul_lo_u16 v8, v8, s14
	s_delay_alu instid0(VALU_DEP_1) | instskip(NEXT) | instid1(VALU_DEP_1)
	v_bfe_i32 v10, v8, 0, 8
                                        ; implicit-def: $vgpr8
	v_cmpx_lt_i16_e32 -1, v10
	s_xor_b32 s2, exec_lo, s2
	s_cbranch_execz .LBB133_26
; %bb.21:                               ;   in Loop: Header=BB133_6 Depth=1
	v_mov_b32_e32 v8, 1
	s_mov_b32 s15, exec_lo
	v_cmpx_ne_u16_e32 0, v10
	s_cbranch_execz .LBB133_25
; %bb.22:                               ;   in Loop: Header=BB133_6 Depth=1
	v_mov_b32_e32 v8, 1
	s_mov_b32 s16, 0
	.p2align	6
.LBB133_23:                             ;   Parent Loop BB133_6 Depth=1
                                        ; =>  This Inner Loop Header: Depth=2
	s_delay_alu instid0(VALU_DEP_1) | instskip(SKIP_1) | instid1(VALU_DEP_2)
	v_lshrrev_b16 v11, 7, v10
	v_add_nc_u16 v12, v10, 1
	v_and_b32_e32 v11, 1, v11
	s_delay_alu instid0(VALU_DEP_2) | instskip(NEXT) | instid1(VALU_DEP_2)
	v_and_b32_e32 v12, 0xff, v12
	v_add_nc_u16 v11, v10, v11
	v_and_b32_e32 v10, 1, v10
	s_delay_alu instid0(VALU_DEP_2) | instskip(NEXT) | instid1(VALU_DEP_2)
	v_bfe_i32 v11, v11, 0, 8
	v_cmp_eq_u32_e32 vcc_lo, 1, v10
	s_delay_alu instid0(VALU_DEP_2) | instskip(SKIP_3) | instid1(VALU_DEP_3)
	v_ashrrev_i16 v11, 1, v11
	v_cndmask_b32_e32 v10, 1, v9, vcc_lo
	v_cmp_gt_u16_e32 vcc_lo, 3, v12
	v_mul_lo_u16 v9, v9, v9
	v_mul_lo_u16 v8, v10, v8
	v_mov_b32_e32 v10, v11
	s_or_b32 s16, vcc_lo, s16
	s_delay_alu instid0(SALU_CYCLE_1)
	s_and_not1_b32 exec_lo, exec_lo, s16
	s_cbranch_execnz .LBB133_23
; %bb.24:                               ;   in Loop: Header=BB133_6 Depth=1
	s_or_b32 exec_lo, exec_lo, s16
.LBB133_25:                             ;   in Loop: Header=BB133_6 Depth=1
	s_delay_alu instid0(SALU_CYCLE_1)
	s_or_b32 exec_lo, exec_lo, s15
                                        ; implicit-def: $vgpr9
                                        ; implicit-def: $vgpr10
.LBB133_26:                             ;   in Loop: Header=BB133_6 Depth=1
	s_and_not1_saveexec_b32 s2, s2
	s_cbranch_execz .LBB133_34
; %bb.27:                               ;   in Loop: Header=BB133_6 Depth=1
	v_and_b32_e32 v9, 0xff, v9
	s_mov_b32 s15, exec_lo
                                        ; implicit-def: $vgpr8
	s_delay_alu instid0(VALU_DEP_1)
	v_cmpx_lt_i16_e32 0xfe, v9
	s_xor_b32 s15, exec_lo, s15
; %bb.28:                               ;   in Loop: Header=BB133_6 Depth=1
	v_and_b32_e32 v8, 1, v10
                                        ; implicit-def: $vgpr9
	s_delay_alu instid0(VALU_DEP_1)
	v_cmp_eq_u16_e32 vcc_lo, 0, v8
	v_cndmask_b32_e64 v8, -1, 1, vcc_lo
; %bb.29:                               ;   in Loop: Header=BB133_6 Depth=1
	s_and_not1_saveexec_b32 s15, s15
	s_cbranch_execz .LBB133_33
; %bb.30:                               ;   in Loop: Header=BB133_6 Depth=1
	v_mov_b32_e32 v8, 1
	s_mov_b32 s16, exec_lo
	v_cmpx_ne_u16_e32 1, v9
; %bb.31:                               ;   in Loop: Header=BB133_6 Depth=1
	v_mov_b32_e32 v8, 0
; %bb.32:                               ;   in Loop: Header=BB133_6 Depth=1
	s_or_b32 exec_lo, exec_lo, s16
.LBB133_33:                             ;   in Loop: Header=BB133_6 Depth=1
	s_delay_alu instid0(SALU_CYCLE_1)
	s_or_b32 exec_lo, exec_lo, s15
.LBB133_34:                             ;   in Loop: Header=BB133_6 Depth=1
	s_delay_alu instid0(SALU_CYCLE_1) | instskip(SKIP_3) | instid1(VALU_DEP_2)
	s_or_b32 exec_lo, exec_lo, s2
	v_lshrrev_b32_e32 v9, 16, v6
	v_lshrrev_b32_e32 v10, 16, v7
	s_mov_b32 s2, exec_lo
	v_mul_lo_u16 v9, v9, s14
	s_delay_alu instid0(VALU_DEP_1) | instskip(NEXT) | instid1(VALU_DEP_1)
	v_bfe_i32 v11, v9, 0, 8
                                        ; implicit-def: $vgpr9
	v_cmpx_lt_i16_e32 -1, v11
	s_xor_b32 s2, exec_lo, s2
	s_cbranch_execz .LBB133_40
; %bb.35:                               ;   in Loop: Header=BB133_6 Depth=1
	v_mov_b32_e32 v9, 1
	s_mov_b32 s15, exec_lo
	v_cmpx_ne_u16_e32 0, v11
	s_cbranch_execz .LBB133_39
; %bb.36:                               ;   in Loop: Header=BB133_6 Depth=1
	v_mov_b32_e32 v9, 1
	s_mov_b32 s16, 0
	.p2align	6
.LBB133_37:                             ;   Parent Loop BB133_6 Depth=1
                                        ; =>  This Inner Loop Header: Depth=2
	s_delay_alu instid0(VALU_DEP_1) | instskip(SKIP_1) | instid1(VALU_DEP_2)
	v_lshrrev_b16 v12, 7, v11
	v_add_nc_u16 v13, v11, 1
	v_and_b32_e32 v12, 1, v12
	s_delay_alu instid0(VALU_DEP_2) | instskip(NEXT) | instid1(VALU_DEP_2)
	v_and_b32_e32 v13, 0xff, v13
	v_add_nc_u16 v12, v11, v12
	v_and_b32_e32 v11, 1, v11
	s_delay_alu instid0(VALU_DEP_2) | instskip(NEXT) | instid1(VALU_DEP_2)
	v_bfe_i32 v12, v12, 0, 8
	v_cmp_eq_u32_e32 vcc_lo, 1, v11
	s_delay_alu instid0(VALU_DEP_2) | instskip(SKIP_3) | instid1(VALU_DEP_3)
	v_ashrrev_i16 v12, 1, v12
	v_cndmask_b32_e32 v11, 1, v10, vcc_lo
	v_cmp_gt_u16_e32 vcc_lo, 3, v13
	v_mul_lo_u16 v10, v10, v10
	v_mul_lo_u16 v9, v11, v9
	v_mov_b32_e32 v11, v12
	s_or_b32 s16, vcc_lo, s16
	s_delay_alu instid0(SALU_CYCLE_1)
	s_and_not1_b32 exec_lo, exec_lo, s16
	s_cbranch_execnz .LBB133_37
; %bb.38:                               ;   in Loop: Header=BB133_6 Depth=1
	s_or_b32 exec_lo, exec_lo, s16
.LBB133_39:                             ;   in Loop: Header=BB133_6 Depth=1
	s_delay_alu instid0(SALU_CYCLE_1)
	s_or_b32 exec_lo, exec_lo, s15
                                        ; implicit-def: $vgpr10
                                        ; implicit-def: $vgpr11
.LBB133_40:                             ;   in Loop: Header=BB133_6 Depth=1
	s_and_not1_saveexec_b32 s2, s2
	s_cbranch_execz .LBB133_48
; %bb.41:                               ;   in Loop: Header=BB133_6 Depth=1
	v_and_b32_e32 v10, 0xff, v10
	s_mov_b32 s15, exec_lo
                                        ; implicit-def: $vgpr9
	s_delay_alu instid0(VALU_DEP_1)
	v_cmpx_lt_i16_e32 0xfe, v10
	s_xor_b32 s15, exec_lo, s15
; %bb.42:                               ;   in Loop: Header=BB133_6 Depth=1
	v_and_b32_e32 v9, 1, v11
                                        ; implicit-def: $vgpr10
	s_delay_alu instid0(VALU_DEP_1)
	v_cmp_eq_u16_e32 vcc_lo, 0, v9
	v_cndmask_b32_e64 v9, -1, 1, vcc_lo
; %bb.43:                               ;   in Loop: Header=BB133_6 Depth=1
	s_and_not1_saveexec_b32 s15, s15
	s_cbranch_execz .LBB133_47
; %bb.44:                               ;   in Loop: Header=BB133_6 Depth=1
	v_mov_b32_e32 v9, 1
	s_mov_b32 s16, exec_lo
	v_cmpx_ne_u16_e32 1, v10
; %bb.45:                               ;   in Loop: Header=BB133_6 Depth=1
	v_mov_b32_e32 v9, 0
; %bb.46:                               ;   in Loop: Header=BB133_6 Depth=1
	s_or_b32 exec_lo, exec_lo, s16
.LBB133_47:                             ;   in Loop: Header=BB133_6 Depth=1
	s_delay_alu instid0(SALU_CYCLE_1)
	s_or_b32 exec_lo, exec_lo, s15
.LBB133_48:                             ;   in Loop: Header=BB133_6 Depth=1
	s_delay_alu instid0(SALU_CYCLE_1) | instskip(SKIP_3) | instid1(VALU_DEP_2)
	s_or_b32 exec_lo, exec_lo, s2
	v_lshrrev_b32_e32 v6, 24, v6
	v_lshrrev_b32_e32 v7, 24, v7
	s_mov_b32 s2, exec_lo
	v_mul_lo_u16 v6, v6, s14
	s_delay_alu instid0(VALU_DEP_1) | instskip(NEXT) | instid1(VALU_DEP_1)
	v_bfe_i32 v10, v6, 0, 8
                                        ; implicit-def: $vgpr6
	v_cmpx_lt_i16_e32 -1, v10
	s_xor_b32 s2, exec_lo, s2
	s_cbranch_execz .LBB133_54
; %bb.49:                               ;   in Loop: Header=BB133_6 Depth=1
	v_mov_b32_e32 v6, 1
	s_mov_b32 s15, exec_lo
	v_cmpx_ne_u16_e32 0, v10
	s_cbranch_execz .LBB133_53
; %bb.50:                               ;   in Loop: Header=BB133_6 Depth=1
	v_mov_b32_e32 v6, 1
	s_mov_b32 s16, 0
	.p2align	6
.LBB133_51:                             ;   Parent Loop BB133_6 Depth=1
                                        ; =>  This Inner Loop Header: Depth=2
	s_delay_alu instid0(VALU_DEP_1) | instskip(SKIP_1) | instid1(VALU_DEP_2)
	v_lshrrev_b16 v11, 7, v10
	v_add_nc_u16 v12, v10, 1
	v_and_b32_e32 v11, 1, v11
	s_delay_alu instid0(VALU_DEP_2) | instskip(NEXT) | instid1(VALU_DEP_2)
	v_and_b32_e32 v12, 0xff, v12
	v_add_nc_u16 v11, v10, v11
	v_and_b32_e32 v10, 1, v10
	s_delay_alu instid0(VALU_DEP_2) | instskip(NEXT) | instid1(VALU_DEP_2)
	v_bfe_i32 v11, v11, 0, 8
	v_cmp_eq_u32_e32 vcc_lo, 1, v10
	s_delay_alu instid0(VALU_DEP_2) | instskip(SKIP_3) | instid1(VALU_DEP_3)
	v_ashrrev_i16 v11, 1, v11
	v_cndmask_b32_e32 v10, 1, v7, vcc_lo
	v_cmp_gt_u16_e32 vcc_lo, 3, v12
	v_mul_lo_u16 v7, v7, v7
	v_mul_lo_u16 v6, v10, v6
	v_mov_b32_e32 v10, v11
	s_or_b32 s16, vcc_lo, s16
	s_delay_alu instid0(SALU_CYCLE_1)
	s_and_not1_b32 exec_lo, exec_lo, s16
	s_cbranch_execnz .LBB133_51
; %bb.52:                               ;   in Loop: Header=BB133_6 Depth=1
	s_or_b32 exec_lo, exec_lo, s16
.LBB133_53:                             ;   in Loop: Header=BB133_6 Depth=1
	s_delay_alu instid0(SALU_CYCLE_1)
	s_or_b32 exec_lo, exec_lo, s15
                                        ; implicit-def: $vgpr7
                                        ; implicit-def: $vgpr10
.LBB133_54:                             ;   in Loop: Header=BB133_6 Depth=1
	s_and_not1_saveexec_b32 s2, s2
	s_cbranch_execz .LBB133_5
; %bb.55:                               ;   in Loop: Header=BB133_6 Depth=1
	s_mov_b32 s15, exec_lo
                                        ; implicit-def: $vgpr6
	v_cmpx_lt_i16_e32 0xfe, v7
	s_xor_b32 s15, exec_lo, s15
; %bb.56:                               ;   in Loop: Header=BB133_6 Depth=1
	v_and_b32_e32 v6, 1, v10
                                        ; implicit-def: $vgpr7
	s_delay_alu instid0(VALU_DEP_1)
	v_cmp_eq_u16_e32 vcc_lo, 0, v6
	v_cndmask_b32_e64 v6, -1, 1, vcc_lo
; %bb.57:                               ;   in Loop: Header=BB133_6 Depth=1
	s_and_not1_saveexec_b32 s15, s15
	s_cbranch_execz .LBB133_4
; %bb.58:                               ;   in Loop: Header=BB133_6 Depth=1
	v_mov_b32_e32 v6, 1
	s_mov_b32 s16, exec_lo
	v_cmpx_ne_u16_e32 1, v7
	s_cbranch_execz .LBB133_3
; %bb.59:                               ;   in Loop: Header=BB133_6 Depth=1
	v_mov_b32_e32 v6, 0
	s_branch .LBB133_3
.LBB133_60:
	s_or_b32 exec_lo, exec_lo, s9
.LBB133_61:
	s_delay_alu instid0(SALU_CYCLE_1)
	s_and_not1_b32 vcc_lo, exec_lo, s8
	s_cbranch_vccnz .LBB133_137
; %bb.62:
	v_cmp_lt_i64_e64 s2, s[6:7], 1
	s_delay_alu instid0(VALU_DEP_1)
	s_and_b32 vcc_lo, exec_lo, s2
	s_cbranch_vccnz .LBB133_137
; %bb.63:
	s_load_b32 s0, s[0:1], 0xc5c
	v_cmp_gt_u64_e64 s1, 0x10000, s[6:7]
	s_mov_b64 s[8:9], 0
	s_waitcnt lgkmcnt(0)
	s_and_b32 s14, s0, 0xffff
	s_delay_alu instid0(VALU_DEP_1)
	s_and_b32 s0, s1, exec_lo
	s_cselect_b32 s11, s7, 0
	s_cselect_b32 s10, s6, 0x10000
	s_lshl_b32 s15, s14, 1
	s_mul_i32 s16, s14, 3
	s_lshl_b32 s17, s14, 2
	s_lshr_b32 s18, s3, 16
	s_branch .LBB133_65
.LBB133_64:                             ;   in Loop: Header=BB133_65 Depth=1
	s_or_b32 exec_lo, exec_lo, s0
	s_add_u32 s8, s8, s17
	s_addc_u32 s9, s9, 0
	s_delay_alu instid0(SALU_CYCLE_1) | instskip(SKIP_1) | instid1(VALU_DEP_1)
	v_cmp_ge_i64_e64 s0, s[8:9], s[6:7]
	v_cmp_lt_u64_e64 s1, 0xffff, s[8:9]
	s_or_b32 s0, s0, s1
	s_delay_alu instid0(SALU_CYCLE_1)
	s_and_b32 vcc_lo, exec_lo, s0
	s_cbranch_vccnz .LBB133_137
.LBB133_65:                             ; =>This Loop Header: Depth=1
                                        ;     Child Loop BB133_76 Depth 2
                                        ;     Child Loop BB133_90 Depth 2
	;; [unrolled: 1-line block ×4, first 2 shown]
	v_add_co_u32 v1, s0, s8, v0
	s_delay_alu instid0(VALU_DEP_1) | instskip(SKIP_2) | instid1(VALU_DEP_3)
	v_add_co_ci_u32_e64 v2, null, s9, 0, s0
	v_dual_mov_b32 v12, 0 :: v_dual_mov_b32 v9, 0
	v_mov_b32_e32 v10, 0
	v_cmp_gt_u64_e32 vcc_lo, s[10:11], v[1:2]
	s_and_saveexec_b32 s1, vcc_lo
	s_cbranch_execz .LBB133_67
; %bb.66:                               ;   in Loop: Header=BB133_65 Depth=1
	v_add_co_u32 v3, s0, s4, v1
	s_delay_alu instid0(VALU_DEP_1) | instskip(SKIP_1) | instid1(VALU_DEP_1)
	v_add_co_ci_u32_e64 v4, s0, s5, v2, s0
	v_add_co_u32 v5, s0, s12, v1
	v_add_co_ci_u32_e64 v6, s0, s13, v2, s0
	global_load_u8 v10, v[3:4], off
	global_load_u8 v9, v[5:6], off
.LBB133_67:                             ;   in Loop: Header=BB133_65 Depth=1
	s_or_b32 exec_lo, exec_lo, s1
	v_add_co_u32 v3, s0, v1, s14
	s_delay_alu instid0(VALU_DEP_1) | instskip(NEXT) | instid1(VALU_DEP_1)
	v_add_co_ci_u32_e64 v4, s0, 0, v2, s0
	v_cmp_gt_u64_e64 s0, s[10:11], v[3:4]
	s_delay_alu instid0(VALU_DEP_1)
	s_and_saveexec_b32 s2, s0
	s_cbranch_execz .LBB133_69
; %bb.68:                               ;   in Loop: Header=BB133_65 Depth=1
	v_add_co_u32 v5, s1, s4, v3
	s_delay_alu instid0(VALU_DEP_1) | instskip(SKIP_2) | instid1(VALU_DEP_1)
	v_add_co_ci_u32_e64 v6, s1, s5, v4, s1
	global_load_u8 v7, v[5:6], off
	v_add_co_u32 v5, s1, s12, v3
	v_add_co_ci_u32_e64 v6, s1, s13, v4, s1
	global_load_u8 v12, v[5:6], off
	s_waitcnt vmcnt(1)
	v_lshl_or_b32 v10, v7, 8, v10
.LBB133_69:                             ;   in Loop: Header=BB133_65 Depth=1
	s_or_b32 exec_lo, exec_lo, s2
	v_add_co_u32 v5, s1, v1, s15
	s_delay_alu instid0(VALU_DEP_1) | instskip(SKIP_2) | instid1(VALU_DEP_3)
	v_add_co_ci_u32_e64 v6, s1, 0, v2, s1
	v_mov_b32_e32 v11, 0
	v_mov_b32_e32 v13, 0
	v_cmp_gt_u64_e64 s1, s[10:11], v[5:6]
	s_delay_alu instid0(VALU_DEP_1)
	s_and_saveexec_b32 s3, s1
	s_cbranch_execz .LBB133_71
; %bb.70:                               ;   in Loop: Header=BB133_65 Depth=1
	v_add_co_u32 v7, s2, s4, v5
	s_delay_alu instid0(VALU_DEP_1) | instskip(SKIP_2) | instid1(VALU_DEP_1)
	v_add_co_ci_u32_e64 v8, s2, s5, v6, s2
	global_load_u8 v14, v[7:8], off
	v_add_co_u32 v7, s2, s12, v5
	v_add_co_ci_u32_e64 v8, s2, s13, v6, s2
	global_load_u8 v13, v[7:8], off
	s_waitcnt vmcnt(1)
	v_lshl_or_b32 v10, v14, 16, v10
.LBB133_71:                             ;   in Loop: Header=BB133_65 Depth=1
	s_or_b32 exec_lo, exec_lo, s3
	v_add_co_u32 v7, s2, v1, s16
	s_delay_alu instid0(VALU_DEP_1) | instskip(NEXT) | instid1(VALU_DEP_1)
	v_add_co_ci_u32_e64 v8, s2, 0, v2, s2
	v_cmp_gt_u64_e64 s2, s[10:11], v[7:8]
	s_delay_alu instid0(VALU_DEP_1)
	s_and_saveexec_b32 s19, s2
	s_cbranch_execz .LBB133_73
; %bb.72:                               ;   in Loop: Header=BB133_65 Depth=1
	v_add_co_u32 v14, s3, s4, v7
	s_delay_alu instid0(VALU_DEP_1) | instskip(SKIP_2) | instid1(VALU_DEP_1)
	v_add_co_ci_u32_e64 v15, s3, s5, v8, s3
	global_load_u8 v16, v[14:15], off
	v_add_co_u32 v14, s3, s12, v7
	v_add_co_ci_u32_e64 v15, s3, s13, v8, s3
	global_load_u8 v11, v[14:15], off
	s_waitcnt vmcnt(1)
	v_lshl_or_b32 v10, v16, 24, v10
.LBB133_73:                             ;   in Loop: Header=BB133_65 Depth=1
	s_or_b32 exec_lo, exec_lo, s19
	s_waitcnt vmcnt(0)
	v_mul_lo_u16 v9, v9, s18
	s_mov_b32 s19, exec_lo
	s_delay_alu instid0(VALU_DEP_1) | instskip(NEXT) | instid1(VALU_DEP_1)
	v_bfe_i32 v14, v9, 0, 8
                                        ; implicit-def: $vgpr9
	v_cmpx_lt_i16_e32 -1, v14
	s_xor_b32 s19, exec_lo, s19
	s_cbranch_execz .LBB133_79
; %bb.74:                               ;   in Loop: Header=BB133_65 Depth=1
	v_mov_b32_e32 v9, 1
	s_mov_b32 s20, exec_lo
	v_cmpx_ne_u16_e32 0, v14
	s_cbranch_execz .LBB133_78
; %bb.75:                               ;   in Loop: Header=BB133_65 Depth=1
	v_mov_b32_e32 v9, 1
	v_mov_b32_e32 v15, v10
	s_mov_b32 s21, 0
	.p2align	6
.LBB133_76:                             ;   Parent Loop BB133_65 Depth=1
                                        ; =>  This Inner Loop Header: Depth=2
	v_lshrrev_b16 v16, 7, v14
	v_add_nc_u16 v17, v14, 1
	s_delay_alu instid0(VALU_DEP_2) | instskip(NEXT) | instid1(VALU_DEP_1)
	v_and_b32_e32 v16, 1, v16
	v_add_nc_u16 v16, v14, v16
	v_and_b32_e32 v14, 1, v14
	s_delay_alu instid0(VALU_DEP_2) | instskip(NEXT) | instid1(VALU_DEP_2)
	v_bfe_i32 v16, v16, 0, 8
	v_cmp_eq_u32_e64 s3, 1, v14
	s_delay_alu instid0(VALU_DEP_2) | instskip(SKIP_1) | instid1(VALU_DEP_3)
	v_ashrrev_i16 v16, 1, v16
	v_and_b32_e32 v17, 0xff, v17
	v_cndmask_b32_e64 v14, 1, v15, s3
	v_mul_lo_u16 v15, v15, v15
	s_delay_alu instid0(VALU_DEP_2) | instskip(SKIP_2) | instid1(VALU_DEP_1)
	v_mul_lo_u16 v9, v14, v9
	v_mov_b32_e32 v14, v16
	v_cmp_gt_u16_e64 s3, 3, v17
	s_or_b32 s21, s3, s21
	s_delay_alu instid0(SALU_CYCLE_1)
	s_and_not1_b32 exec_lo, exec_lo, s21
	s_cbranch_execnz .LBB133_76
; %bb.77:                               ;   in Loop: Header=BB133_65 Depth=1
	s_or_b32 exec_lo, exec_lo, s21
.LBB133_78:                             ;   in Loop: Header=BB133_65 Depth=1
	s_delay_alu instid0(SALU_CYCLE_1)
	s_or_b32 exec_lo, exec_lo, s20
                                        ; implicit-def: $vgpr14
.LBB133_79:                             ;   in Loop: Header=BB133_65 Depth=1
	s_and_not1_saveexec_b32 s19, s19
	s_cbranch_execz .LBB133_87
; %bb.80:                               ;   in Loop: Header=BB133_65 Depth=1
	v_and_b32_e32 v15, 0xff, v10
	s_mov_b32 s20, exec_lo
                                        ; implicit-def: $vgpr9
	s_delay_alu instid0(VALU_DEP_1)
	v_cmpx_lt_i16_e32 0xfe, v15
	s_xor_b32 s20, exec_lo, s20
; %bb.81:                               ;   in Loop: Header=BB133_65 Depth=1
	v_and_b32_e32 v9, 1, v14
                                        ; implicit-def: $vgpr15
	s_delay_alu instid0(VALU_DEP_1) | instskip(NEXT) | instid1(VALU_DEP_1)
	v_cmp_eq_u16_e64 s3, 0, v9
	v_cndmask_b32_e64 v9, -1, 1, s3
; %bb.82:                               ;   in Loop: Header=BB133_65 Depth=1
	s_and_not1_saveexec_b32 s20, s20
	s_cbranch_execz .LBB133_86
; %bb.83:                               ;   in Loop: Header=BB133_65 Depth=1
	v_mov_b32_e32 v9, 1
	s_mov_b32 s21, exec_lo
	v_cmpx_ne_u16_e32 1, v15
; %bb.84:                               ;   in Loop: Header=BB133_65 Depth=1
	v_mov_b32_e32 v9, 0
; %bb.85:                               ;   in Loop: Header=BB133_65 Depth=1
	s_or_b32 exec_lo, exec_lo, s21
.LBB133_86:                             ;   in Loop: Header=BB133_65 Depth=1
	s_delay_alu instid0(SALU_CYCLE_1)
	s_or_b32 exec_lo, exec_lo, s20
.LBB133_87:                             ;   in Loop: Header=BB133_65 Depth=1
	s_delay_alu instid0(SALU_CYCLE_1) | instskip(SKIP_3) | instid1(VALU_DEP_2)
	s_or_b32 exec_lo, exec_lo, s19
	v_mul_lo_u16 v12, v12, s18
	v_lshrrev_b32_e32 v14, 8, v10
	s_mov_b32 s19, exec_lo
	v_bfe_i32 v15, v12, 0, 8
                                        ; implicit-def: $vgpr12
	s_delay_alu instid0(VALU_DEP_1)
	v_cmpx_lt_i16_e32 -1, v15
	s_xor_b32 s19, exec_lo, s19
	s_cbranch_execz .LBB133_93
; %bb.88:                               ;   in Loop: Header=BB133_65 Depth=1
	v_mov_b32_e32 v12, 1
	s_mov_b32 s20, exec_lo
	v_cmpx_ne_u16_e32 0, v15
	s_cbranch_execz .LBB133_92
; %bb.89:                               ;   in Loop: Header=BB133_65 Depth=1
	v_mov_b32_e32 v12, 1
	s_mov_b32 s21, 0
	.p2align	6
.LBB133_90:                             ;   Parent Loop BB133_65 Depth=1
                                        ; =>  This Inner Loop Header: Depth=2
	s_delay_alu instid0(VALU_DEP_1) | instskip(SKIP_1) | instid1(VALU_DEP_2)
	v_lshrrev_b16 v16, 7, v15
	v_add_nc_u16 v17, v15, 1
	v_and_b32_e32 v16, 1, v16
	s_delay_alu instid0(VALU_DEP_2) | instskip(NEXT) | instid1(VALU_DEP_2)
	v_and_b32_e32 v17, 0xff, v17
	v_add_nc_u16 v16, v15, v16
	v_and_b32_e32 v15, 1, v15
	s_delay_alu instid0(VALU_DEP_2) | instskip(NEXT) | instid1(VALU_DEP_2)
	v_bfe_i32 v16, v16, 0, 8
	v_cmp_eq_u32_e64 s3, 1, v15
	s_delay_alu instid0(VALU_DEP_2) | instskip(NEXT) | instid1(VALU_DEP_2)
	v_ashrrev_i16 v16, 1, v16
	v_cndmask_b32_e64 v15, 1, v14, s3
	v_cmp_gt_u16_e64 s3, 3, v17
	v_mul_lo_u16 v14, v14, v14
	s_delay_alu instid0(VALU_DEP_3) | instskip(SKIP_1) | instid1(VALU_DEP_4)
	v_mul_lo_u16 v12, v15, v12
	v_mov_b32_e32 v15, v16
	s_or_b32 s21, s3, s21
	s_delay_alu instid0(SALU_CYCLE_1)
	s_and_not1_b32 exec_lo, exec_lo, s21
	s_cbranch_execnz .LBB133_90
; %bb.91:                               ;   in Loop: Header=BB133_65 Depth=1
	s_or_b32 exec_lo, exec_lo, s21
.LBB133_92:                             ;   in Loop: Header=BB133_65 Depth=1
	s_delay_alu instid0(SALU_CYCLE_1)
	s_or_b32 exec_lo, exec_lo, s20
                                        ; implicit-def: $vgpr14
                                        ; implicit-def: $vgpr15
.LBB133_93:                             ;   in Loop: Header=BB133_65 Depth=1
	s_and_not1_saveexec_b32 s19, s19
	s_cbranch_execz .LBB133_101
; %bb.94:                               ;   in Loop: Header=BB133_65 Depth=1
	v_and_b32_e32 v14, 0xff, v14
	s_mov_b32 s20, exec_lo
                                        ; implicit-def: $vgpr12
	s_delay_alu instid0(VALU_DEP_1)
	v_cmpx_lt_i16_e32 0xfe, v14
	s_xor_b32 s20, exec_lo, s20
; %bb.95:                               ;   in Loop: Header=BB133_65 Depth=1
	v_and_b32_e32 v12, 1, v15
                                        ; implicit-def: $vgpr14
	s_delay_alu instid0(VALU_DEP_1) | instskip(NEXT) | instid1(VALU_DEP_1)
	v_cmp_eq_u16_e64 s3, 0, v12
	v_cndmask_b32_e64 v12, -1, 1, s3
; %bb.96:                               ;   in Loop: Header=BB133_65 Depth=1
	s_and_not1_saveexec_b32 s20, s20
	s_cbranch_execz .LBB133_100
; %bb.97:                               ;   in Loop: Header=BB133_65 Depth=1
	v_mov_b32_e32 v12, 1
	s_mov_b32 s21, exec_lo
	v_cmpx_ne_u16_e32 1, v14
; %bb.98:                               ;   in Loop: Header=BB133_65 Depth=1
	v_mov_b32_e32 v12, 0
; %bb.99:                               ;   in Loop: Header=BB133_65 Depth=1
	s_or_b32 exec_lo, exec_lo, s21
.LBB133_100:                            ;   in Loop: Header=BB133_65 Depth=1
	s_delay_alu instid0(SALU_CYCLE_1)
	s_or_b32 exec_lo, exec_lo, s20
.LBB133_101:                            ;   in Loop: Header=BB133_65 Depth=1
	s_delay_alu instid0(SALU_CYCLE_1) | instskip(SKIP_3) | instid1(VALU_DEP_2)
	s_or_b32 exec_lo, exec_lo, s19
	v_mul_lo_u16 v13, v13, s18
	v_lshrrev_b32_e32 v14, 16, v10
	s_mov_b32 s19, exec_lo
	v_bfe_i32 v15, v13, 0, 8
                                        ; implicit-def: $vgpr13
	s_delay_alu instid0(VALU_DEP_1)
	v_cmpx_lt_i16_e32 -1, v15
	s_xor_b32 s19, exec_lo, s19
	s_cbranch_execz .LBB133_107
; %bb.102:                              ;   in Loop: Header=BB133_65 Depth=1
	v_mov_b32_e32 v13, 1
	s_mov_b32 s20, exec_lo
	v_cmpx_ne_u16_e32 0, v15
	s_cbranch_execz .LBB133_106
; %bb.103:                              ;   in Loop: Header=BB133_65 Depth=1
	v_mov_b32_e32 v13, 1
	s_mov_b32 s21, 0
	.p2align	6
.LBB133_104:                            ;   Parent Loop BB133_65 Depth=1
                                        ; =>  This Inner Loop Header: Depth=2
	s_delay_alu instid0(VALU_DEP_1) | instskip(SKIP_1) | instid1(VALU_DEP_2)
	v_lshrrev_b16 v16, 7, v15
	v_add_nc_u16 v17, v15, 1
	v_and_b32_e32 v16, 1, v16
	s_delay_alu instid0(VALU_DEP_2) | instskip(NEXT) | instid1(VALU_DEP_2)
	v_and_b32_e32 v17, 0xff, v17
	v_add_nc_u16 v16, v15, v16
	v_and_b32_e32 v15, 1, v15
	s_delay_alu instid0(VALU_DEP_2) | instskip(NEXT) | instid1(VALU_DEP_2)
	v_bfe_i32 v16, v16, 0, 8
	v_cmp_eq_u32_e64 s3, 1, v15
	s_delay_alu instid0(VALU_DEP_2) | instskip(NEXT) | instid1(VALU_DEP_2)
	v_ashrrev_i16 v16, 1, v16
	v_cndmask_b32_e64 v15, 1, v14, s3
	v_cmp_gt_u16_e64 s3, 3, v17
	v_mul_lo_u16 v14, v14, v14
	s_delay_alu instid0(VALU_DEP_3) | instskip(SKIP_1) | instid1(VALU_DEP_4)
	v_mul_lo_u16 v13, v15, v13
	v_mov_b32_e32 v15, v16
	s_or_b32 s21, s3, s21
	s_delay_alu instid0(SALU_CYCLE_1)
	s_and_not1_b32 exec_lo, exec_lo, s21
	s_cbranch_execnz .LBB133_104
; %bb.105:                              ;   in Loop: Header=BB133_65 Depth=1
	s_or_b32 exec_lo, exec_lo, s21
.LBB133_106:                            ;   in Loop: Header=BB133_65 Depth=1
	s_delay_alu instid0(SALU_CYCLE_1)
	s_or_b32 exec_lo, exec_lo, s20
                                        ; implicit-def: $vgpr14
                                        ; implicit-def: $vgpr15
.LBB133_107:                            ;   in Loop: Header=BB133_65 Depth=1
	s_and_not1_saveexec_b32 s19, s19
	s_cbranch_execz .LBB133_115
; %bb.108:                              ;   in Loop: Header=BB133_65 Depth=1
	v_and_b32_e32 v14, 0xff, v14
	s_mov_b32 s20, exec_lo
                                        ; implicit-def: $vgpr13
	s_delay_alu instid0(VALU_DEP_1)
	v_cmpx_lt_i16_e32 0xfe, v14
	s_xor_b32 s20, exec_lo, s20
; %bb.109:                              ;   in Loop: Header=BB133_65 Depth=1
	v_and_b32_e32 v13, 1, v15
                                        ; implicit-def: $vgpr14
	s_delay_alu instid0(VALU_DEP_1) | instskip(NEXT) | instid1(VALU_DEP_1)
	v_cmp_eq_u16_e64 s3, 0, v13
	v_cndmask_b32_e64 v13, -1, 1, s3
; %bb.110:                              ;   in Loop: Header=BB133_65 Depth=1
	s_and_not1_saveexec_b32 s20, s20
	s_cbranch_execz .LBB133_114
; %bb.111:                              ;   in Loop: Header=BB133_65 Depth=1
	v_mov_b32_e32 v13, 1
	s_mov_b32 s21, exec_lo
	v_cmpx_ne_u16_e32 1, v14
; %bb.112:                              ;   in Loop: Header=BB133_65 Depth=1
	v_mov_b32_e32 v13, 0
; %bb.113:                              ;   in Loop: Header=BB133_65 Depth=1
	s_or_b32 exec_lo, exec_lo, s21
.LBB133_114:                            ;   in Loop: Header=BB133_65 Depth=1
	s_delay_alu instid0(SALU_CYCLE_1)
	s_or_b32 exec_lo, exec_lo, s20
.LBB133_115:                            ;   in Loop: Header=BB133_65 Depth=1
	s_delay_alu instid0(SALU_CYCLE_1) | instskip(SKIP_2) | instid1(VALU_DEP_1)
	s_or_b32 exec_lo, exec_lo, s19
	v_mul_lo_u16 v11, v11, s18
	s_mov_b32 s19, exec_lo
	v_bfe_i32 v14, v11, 0, 8
	v_lshrrev_b32_e32 v11, 24, v10
                                        ; implicit-def: $vgpr10
	s_delay_alu instid0(VALU_DEP_2)
	v_cmpx_lt_i16_e32 -1, v14
	s_xor_b32 s19, exec_lo, s19
	s_cbranch_execnz .LBB133_121
; %bb.116:                              ;   in Loop: Header=BB133_65 Depth=1
	s_and_not1_saveexec_b32 s19, s19
	s_cbranch_execnz .LBB133_126
.LBB133_117:                            ;   in Loop: Header=BB133_65 Depth=1
	s_or_b32 exec_lo, exec_lo, s19
	s_and_saveexec_b32 s3, vcc_lo
	s_delay_alu instid0(SALU_CYCLE_1)
	s_xor_b32 s3, exec_lo, s3
	s_cbranch_execnz .LBB133_133
.LBB133_118:                            ;   in Loop: Header=BB133_65 Depth=1
	s_or_b32 exec_lo, exec_lo, s3
	s_and_saveexec_b32 s3, s0
	s_cbranch_execnz .LBB133_134
.LBB133_119:                            ;   in Loop: Header=BB133_65 Depth=1
	s_or_b32 exec_lo, exec_lo, s3
	s_and_saveexec_b32 s0, s1
	s_cbranch_execnz .LBB133_135
.LBB133_120:                            ;   in Loop: Header=BB133_65 Depth=1
	s_or_b32 exec_lo, exec_lo, s0
	s_and_saveexec_b32 s0, s2
	s_cbranch_execz .LBB133_64
	s_branch .LBB133_136
.LBB133_121:                            ;   in Loop: Header=BB133_65 Depth=1
	v_mov_b32_e32 v10, 1
	s_mov_b32 s20, exec_lo
	v_cmpx_ne_u16_e32 0, v14
	s_cbranch_execz .LBB133_125
; %bb.122:                              ;   in Loop: Header=BB133_65 Depth=1
	v_mov_b32_e32 v10, 1
	s_mov_b32 s21, 0
	.p2align	6
.LBB133_123:                            ;   Parent Loop BB133_65 Depth=1
                                        ; =>  This Inner Loop Header: Depth=2
	s_delay_alu instid0(VALU_DEP_1) | instskip(SKIP_1) | instid1(VALU_DEP_2)
	v_lshrrev_b16 v15, 7, v14
	v_add_nc_u16 v16, v14, 1
	v_and_b32_e32 v15, 1, v15
	s_delay_alu instid0(VALU_DEP_2) | instskip(NEXT) | instid1(VALU_DEP_2)
	v_and_b32_e32 v16, 0xff, v16
	v_add_nc_u16 v15, v14, v15
	v_and_b32_e32 v14, 1, v14
	s_delay_alu instid0(VALU_DEP_2) | instskip(NEXT) | instid1(VALU_DEP_2)
	v_bfe_i32 v15, v15, 0, 8
	v_cmp_eq_u32_e64 s3, 1, v14
	s_delay_alu instid0(VALU_DEP_2) | instskip(NEXT) | instid1(VALU_DEP_2)
	v_ashrrev_i16 v15, 1, v15
	v_cndmask_b32_e64 v14, 1, v11, s3
	v_cmp_gt_u16_e64 s3, 3, v16
	v_mul_lo_u16 v11, v11, v11
	s_delay_alu instid0(VALU_DEP_3) | instskip(SKIP_1) | instid1(VALU_DEP_4)
	v_mul_lo_u16 v10, v14, v10
	v_mov_b32_e32 v14, v15
	s_or_b32 s21, s3, s21
	s_delay_alu instid0(SALU_CYCLE_1)
	s_and_not1_b32 exec_lo, exec_lo, s21
	s_cbranch_execnz .LBB133_123
; %bb.124:                              ;   in Loop: Header=BB133_65 Depth=1
	s_or_b32 exec_lo, exec_lo, s21
.LBB133_125:                            ;   in Loop: Header=BB133_65 Depth=1
	s_delay_alu instid0(SALU_CYCLE_1)
	s_or_b32 exec_lo, exec_lo, s20
                                        ; implicit-def: $vgpr11
                                        ; implicit-def: $vgpr14
	s_and_not1_saveexec_b32 s19, s19
	s_cbranch_execz .LBB133_117
.LBB133_126:                            ;   in Loop: Header=BB133_65 Depth=1
	s_mov_b32 s20, exec_lo
                                        ; implicit-def: $vgpr10
	v_cmpx_lt_i16_e32 0xfe, v11
	s_xor_b32 s20, exec_lo, s20
; %bb.127:                              ;   in Loop: Header=BB133_65 Depth=1
	v_and_b32_e32 v10, 1, v14
                                        ; implicit-def: $vgpr11
	s_delay_alu instid0(VALU_DEP_1) | instskip(NEXT) | instid1(VALU_DEP_1)
	v_cmp_eq_u16_e64 s3, 0, v10
	v_cndmask_b32_e64 v10, -1, 1, s3
; %bb.128:                              ;   in Loop: Header=BB133_65 Depth=1
	s_and_not1_saveexec_b32 s20, s20
	s_cbranch_execz .LBB133_132
; %bb.129:                              ;   in Loop: Header=BB133_65 Depth=1
	v_mov_b32_e32 v10, 1
	s_mov_b32 s21, exec_lo
	v_cmpx_ne_u16_e32 1, v11
; %bb.130:                              ;   in Loop: Header=BB133_65 Depth=1
	v_mov_b32_e32 v10, 0
; %bb.131:                              ;   in Loop: Header=BB133_65 Depth=1
	s_or_b32 exec_lo, exec_lo, s21
.LBB133_132:                            ;   in Loop: Header=BB133_65 Depth=1
	s_delay_alu instid0(SALU_CYCLE_1) | instskip(NEXT) | instid1(SALU_CYCLE_1)
	s_or_b32 exec_lo, exec_lo, s20
	s_or_b32 exec_lo, exec_lo, s19
	s_and_saveexec_b32 s3, vcc_lo
	s_delay_alu instid0(SALU_CYCLE_1)
	s_xor_b32 s3, exec_lo, s3
	s_cbranch_execz .LBB133_118
.LBB133_133:                            ;   in Loop: Header=BB133_65 Depth=1
	v_add_co_u32 v1, vcc_lo, s4, v1
	v_add_co_ci_u32_e32 v2, vcc_lo, s5, v2, vcc_lo
	global_store_b8 v[1:2], v9, off
	s_or_b32 exec_lo, exec_lo, s3
	s_and_saveexec_b32 s3, s0
	s_cbranch_execz .LBB133_119
.LBB133_134:                            ;   in Loop: Header=BB133_65 Depth=1
	v_add_co_u32 v1, vcc_lo, s4, v3
	v_add_co_ci_u32_e32 v2, vcc_lo, s5, v4, vcc_lo
	global_store_b8 v[1:2], v12, off
	s_or_b32 exec_lo, exec_lo, s3
	s_and_saveexec_b32 s0, s1
	s_cbranch_execz .LBB133_120
.LBB133_135:                            ;   in Loop: Header=BB133_65 Depth=1
	v_add_co_u32 v1, vcc_lo, s4, v5
	v_add_co_ci_u32_e32 v2, vcc_lo, s5, v6, vcc_lo
	global_store_b8 v[1:2], v13, off
	s_or_b32 exec_lo, exec_lo, s0
	s_and_saveexec_b32 s0, s2
	s_cbranch_execz .LBB133_64
.LBB133_136:                            ;   in Loop: Header=BB133_65 Depth=1
	v_add_co_u32 v1, vcc_lo, s4, v7
	v_add_co_ci_u32_e32 v2, vcc_lo, s5, v8, vcc_lo
	global_store_b8 v[1:2], v10, off
	s_branch .LBB133_64
.LBB133_137:
	s_nop 0
	s_sendmsg sendmsg(MSG_DEALLOC_VGPRS)
	s_endpgm
	.section	.rodata,"a",@progbits
	.p2align	6, 0x0
	.amdhsa_kernel _ZN2at6native12_GLOBAL__N_125multi_tensor_apply_kernelINS1_18TensorListMetadataILi2EEENS1_24BinaryOpListAlphaFunctorIaLi2ELi2ELi0EEEJNS1_13power_functorIaEEaEEEvT_T0_DpT1_
		.amdhsa_group_segment_fixed_size 0
		.amdhsa_private_segment_fixed_size 0
		.amdhsa_kernarg_size 3408
		.amdhsa_user_sgpr_count 15
		.amdhsa_user_sgpr_dispatch_ptr 0
		.amdhsa_user_sgpr_queue_ptr 0
		.amdhsa_user_sgpr_kernarg_segment_ptr 1
		.amdhsa_user_sgpr_dispatch_id 0
		.amdhsa_user_sgpr_private_segment_size 0
		.amdhsa_wavefront_size32 1
		.amdhsa_uses_dynamic_stack 0
		.amdhsa_enable_private_segment 0
		.amdhsa_system_sgpr_workgroup_id_x 1
		.amdhsa_system_sgpr_workgroup_id_y 0
		.amdhsa_system_sgpr_workgroup_id_z 0
		.amdhsa_system_sgpr_workgroup_info 0
		.amdhsa_system_vgpr_workitem_id 0
		.amdhsa_next_free_vgpr 18
		.amdhsa_next_free_sgpr 22
		.amdhsa_reserve_vcc 1
		.amdhsa_float_round_mode_32 0
		.amdhsa_float_round_mode_16_64 0
		.amdhsa_float_denorm_mode_32 3
		.amdhsa_float_denorm_mode_16_64 3
		.amdhsa_dx10_clamp 1
		.amdhsa_ieee_mode 1
		.amdhsa_fp16_overflow 0
		.amdhsa_workgroup_processor_mode 1
		.amdhsa_memory_ordered 1
		.amdhsa_forward_progress 0
		.amdhsa_shared_vgpr_count 0
		.amdhsa_exception_fp_ieee_invalid_op 0
		.amdhsa_exception_fp_denorm_src 0
		.amdhsa_exception_fp_ieee_div_zero 0
		.amdhsa_exception_fp_ieee_overflow 0
		.amdhsa_exception_fp_ieee_underflow 0
		.amdhsa_exception_fp_ieee_inexact 0
		.amdhsa_exception_int_div_zero 0
	.end_amdhsa_kernel
	.section	.text._ZN2at6native12_GLOBAL__N_125multi_tensor_apply_kernelINS1_18TensorListMetadataILi2EEENS1_24BinaryOpListAlphaFunctorIaLi2ELi2ELi0EEEJNS1_13power_functorIaEEaEEEvT_T0_DpT1_,"axG",@progbits,_ZN2at6native12_GLOBAL__N_125multi_tensor_apply_kernelINS1_18TensorListMetadataILi2EEENS1_24BinaryOpListAlphaFunctorIaLi2ELi2ELi0EEEJNS1_13power_functorIaEEaEEEvT_T0_DpT1_,comdat
.Lfunc_end133:
	.size	_ZN2at6native12_GLOBAL__N_125multi_tensor_apply_kernelINS1_18TensorListMetadataILi2EEENS1_24BinaryOpListAlphaFunctorIaLi2ELi2ELi0EEEJNS1_13power_functorIaEEaEEEvT_T0_DpT1_, .Lfunc_end133-_ZN2at6native12_GLOBAL__N_125multi_tensor_apply_kernelINS1_18TensorListMetadataILi2EEENS1_24BinaryOpListAlphaFunctorIaLi2ELi2ELi0EEEJNS1_13power_functorIaEEaEEEvT_T0_DpT1_
                                        ; -- End function
	.section	.AMDGPU.csdata,"",@progbits
; Kernel info:
; codeLenInByte = 3692
; NumSgprs: 24
; NumVgprs: 18
; ScratchSize: 0
; MemoryBound: 0
; FloatMode: 240
; IeeeMode: 1
; LDSByteSize: 0 bytes/workgroup (compile time only)
; SGPRBlocks: 2
; VGPRBlocks: 2
; NumSGPRsForWavesPerEU: 24
; NumVGPRsForWavesPerEU: 18
; Occupancy: 16
; WaveLimiterHint : 0
; COMPUTE_PGM_RSRC2:SCRATCH_EN: 0
; COMPUTE_PGM_RSRC2:USER_SGPR: 15
; COMPUTE_PGM_RSRC2:TRAP_HANDLER: 0
; COMPUTE_PGM_RSRC2:TGID_X_EN: 1
; COMPUTE_PGM_RSRC2:TGID_Y_EN: 0
; COMPUTE_PGM_RSRC2:TGID_Z_EN: 0
; COMPUTE_PGM_RSRC2:TIDIG_COMP_CNT: 0
	.section	.text._ZN2at6native12_GLOBAL__N_125multi_tensor_apply_kernelINS1_18TensorListMetadataILi2EEENS1_24BinaryOpListAlphaFunctorIiLi2ELi2ELi0EEEJNS1_13power_functorIiEEiEEEvT_T0_DpT1_,"axG",@progbits,_ZN2at6native12_GLOBAL__N_125multi_tensor_apply_kernelINS1_18TensorListMetadataILi2EEENS1_24BinaryOpListAlphaFunctorIiLi2ELi2ELi0EEEJNS1_13power_functorIiEEiEEEvT_T0_DpT1_,comdat
	.globl	_ZN2at6native12_GLOBAL__N_125multi_tensor_apply_kernelINS1_18TensorListMetadataILi2EEENS1_24BinaryOpListAlphaFunctorIiLi2ELi2ELi0EEEJNS1_13power_functorIiEEiEEEvT_T0_DpT1_ ; -- Begin function _ZN2at6native12_GLOBAL__N_125multi_tensor_apply_kernelINS1_18TensorListMetadataILi2EEENS1_24BinaryOpListAlphaFunctorIiLi2ELi2ELi0EEEJNS1_13power_functorIiEEiEEEvT_T0_DpT1_
	.p2align	8
	.type	_ZN2at6native12_GLOBAL__N_125multi_tensor_apply_kernelINS1_18TensorListMetadataILi2EEENS1_24BinaryOpListAlphaFunctorIiLi2ELi2ELi0EEEJNS1_13power_functorIiEEiEEEvT_T0_DpT1_,@function
_ZN2at6native12_GLOBAL__N_125multi_tensor_apply_kernelINS1_18TensorListMetadataILi2EEENS1_24BinaryOpListAlphaFunctorIiLi2ELi2ELi0EEEJNS1_13power_functorIiEEiEEEvT_T0_DpT1_: ; @_ZN2at6native12_GLOBAL__N_125multi_tensor_apply_kernelINS1_18TensorListMetadataILi2EEENS1_24BinaryOpListAlphaFunctorIiLi2ELi2ELi0EEEJNS1_13power_functorIiEEiEEEvT_T0_DpT1_
; %bb.0:
	v_mov_b32_e32 v1, s15
	s_add_u32 s2, s0, s15
	s_mul_hi_u32 s3, s15, 3
	s_mul_i32 s15, s15, 3
	s_addc_u32 s4, s1, 0
	global_load_u8 v1, v1, s[0:1] offset:1536
	s_add_u32 s2, s2, s15
	s_addc_u32 s3, s4, s3
	s_mov_b32 s17, 0
	s_load_b32 s2, s[2:3], 0x740
	s_mov_b32 s19, s17
	s_waitcnt vmcnt(0)
	v_readfirstlane_b32 s3, v1
	s_delay_alu instid0(VALU_DEP_1)
	s_lshl_b32 s3, s3, 3
	s_clause 0x3
	s_load_b64 s[4:5], s[0:1], s3 offset:0x0
	s_load_b64 s[6:7], s[0:1], s3 offset:0x200
	;; [unrolled: 1-line block ×3, first 2 shown]
	s_load_b32 s10, s[0:1], 0xc4c
	s_waitcnt lgkmcnt(0)
	s_ashr_i32 s3, s2, 31
	s_delay_alu instid0(SALU_CYCLE_1) | instskip(NEXT) | instid1(SALU_CYCLE_1)
	s_lshl_b64 s[14:15], s[2:3], 18
	s_add_u32 s11, s4, s14
	s_addc_u32 s12, s5, s15
	s_and_b32 s16, s11, 15
	s_add_u32 s13, s6, s14
	s_addc_u32 s14, s7, s15
	s_and_b32 s18, s8, 3
	s_and_b32 s4, s13, 15
	s_mov_b32 s5, s17
	s_or_b64 s[6:7], s[16:17], s[18:19]
	s_lshl_b64 s[2:3], s[2:3], 16
	s_or_b64 s[6:7], s[4:5], s[6:7]
	s_sub_u32 s4, s8, s2
	s_subb_u32 s5, s9, s3
	s_cmp_eq_u64 s[6:7], 0
	s_mov_b32 s2, -1
	s_cbranch_scc0 .LBB134_69
; %bb.1:
	v_dual_mov_b32 v2, 0 :: v_dual_lshlrev_b32 v1, 2, v0
	s_mov_b32 s3, exec_lo
	s_delay_alu instid0(VALU_DEP_1)
	v_cmpx_gt_i64_e64 s[4:5], v[1:2]
	s_cbranch_execz .LBB134_68
; %bb.2:
	s_load_b32 s2, s[0:1], 0xc5c
	v_mov_b32_e32 v1, v2
	s_mov_b32 s7, 0
	s_delay_alu instid0(VALU_DEP_1)
	v_dual_mov_b32 v10, v1 :: v_dual_mov_b32 v9, v0
	s_waitcnt lgkmcnt(0)
	s_and_b32 s6, s2, 0xffff
	s_branch .LBB134_5
.LBB134_3:                              ;   in Loop: Header=BB134_5 Depth=1
	s_or_b32 exec_lo, exec_lo, s9
	s_delay_alu instid0(VALU_DEP_1)
	v_mov_b32_e32 v8, v4
.LBB134_4:                              ;   in Loop: Header=BB134_5 Depth=1
	s_or_b32 exec_lo, exec_lo, s2
	v_add_co_u32 v9, vcc_lo, v9, s6
	v_add_co_ci_u32_e32 v10, vcc_lo, 0, v10, vcc_lo
	global_store_b128 v[11:12], v[5:8], off
	v_lshlrev_b64 v[1:2], 2, v[9:10]
	s_delay_alu instid0(VALU_DEP_1) | instskip(SKIP_1) | instid1(VALU_DEP_1)
	v_cmp_le_i64_e32 vcc_lo, s[4:5], v[1:2]
	v_cmp_lt_u64_e64 s2, 0xffff, v[1:2]
	s_or_b32 s2, vcc_lo, s2
	s_delay_alu instid0(SALU_CYCLE_1) | instskip(NEXT) | instid1(SALU_CYCLE_1)
	s_and_b32 s2, exec_lo, s2
	s_or_b32 s7, s2, s7
	s_delay_alu instid0(SALU_CYCLE_1)
	s_and_not1_b32 exec_lo, exec_lo, s7
	s_cbranch_execz .LBB134_68
.LBB134_5:                              ; =>This Loop Header: Depth=1
                                        ;     Child Loop BB134_8 Depth 2
                                        ;     Child Loop BB134_21 Depth 2
	;; [unrolled: 1-line block ×4, first 2 shown]
	s_delay_alu instid0(VALU_DEP_1) | instskip(SKIP_1) | instid1(VALU_DEP_1)
	v_lshlrev_b64 v[1:2], 4, v[9:10]
	s_mov_b32 s2, exec_lo
	v_add_co_u32 v3, vcc_lo, s13, v1
	s_delay_alu instid0(VALU_DEP_2)
	v_add_co_ci_u32_e32 v4, vcc_lo, s14, v2, vcc_lo
	v_add_co_u32 v11, vcc_lo, s11, v1
	v_add_co_ci_u32_e32 v12, vcc_lo, s12, v2, vcc_lo
	global_load_b128 v[5:8], v[3:4], off
	global_load_b128 v[1:4], v[11:12], off
	s_waitcnt vmcnt(1)
	v_mul_lo_u32 v13, v5, s10
                                        ; implicit-def: $vgpr5
	s_delay_alu instid0(VALU_DEP_1)
	v_cmpx_lt_i32_e32 -1, v13
	s_xor_b32 s2, exec_lo, s2
	s_cbranch_execz .LBB134_11
; %bb.6:                                ;   in Loop: Header=BB134_5 Depth=1
	v_mov_b32_e32 v5, 1
	s_mov_b32 s8, exec_lo
	v_cmpx_ne_u32_e32 0, v13
	s_cbranch_execz .LBB134_10
; %bb.7:                                ;   in Loop: Header=BB134_5 Depth=1
	s_waitcnt vmcnt(0)
	v_dual_mov_b32 v5, 1 :: v_dual_mov_b32 v14, v1
	s_mov_b32 s9, 0
.LBB134_8:                              ;   Parent Loop BB134_5 Depth=1
                                        ; =>  This Inner Loop Header: Depth=2
	v_and_b32_e32 v15, 1, v13
	v_lshrrev_b32_e32 v16, 1, v13
	s_delay_alu instid0(VALU_DEP_2) | instskip(SKIP_4) | instid1(VALU_DEP_4)
	v_cmp_eq_u32_e32 vcc_lo, 1, v15
	v_cndmask_b32_e32 v15, 1, v14, vcc_lo
	v_mul_lo_u32 v14, v14, v14
	v_cmp_gt_u32_e32 vcc_lo, 2, v13
	v_mov_b32_e32 v13, v16
	v_mul_lo_u32 v5, v15, v5
	s_or_b32 s9, vcc_lo, s9
	s_delay_alu instid0(SALU_CYCLE_1)
	s_and_not1_b32 exec_lo, exec_lo, s9
	s_cbranch_execnz .LBB134_8
; %bb.9:                                ;   in Loop: Header=BB134_5 Depth=1
	s_or_b32 exec_lo, exec_lo, s9
.LBB134_10:                             ;   in Loop: Header=BB134_5 Depth=1
	s_delay_alu instid0(SALU_CYCLE_1)
	s_or_b32 exec_lo, exec_lo, s8
                                        ; implicit-def: $vgpr13
.LBB134_11:                             ;   in Loop: Header=BB134_5 Depth=1
	s_and_not1_saveexec_b32 s2, s2
	s_cbranch_execz .LBB134_18
; %bb.12:                               ;   in Loop: Header=BB134_5 Depth=1
	s_mov_b32 s8, 0
	s_mov_b32 s9, 0
	s_mov_b32 s15, exec_lo
	s_waitcnt vmcnt(0)
	v_cmpx_lt_i32_e32 0, v1
	s_xor_b32 s15, exec_lo, s15
	s_cbranch_execnz .LBB134_55
; %bb.13:                               ;   in Loop: Header=BB134_5 Depth=1
	s_and_not1_saveexec_b32 s15, s15
	s_cbranch_execnz .LBB134_56
.LBB134_14:                             ;   in Loop: Header=BB134_5 Depth=1
	s_or_b32 exec_lo, exec_lo, s15
	s_and_saveexec_b32 s15, s9
	s_delay_alu instid0(SALU_CYCLE_1)
	s_xor_b32 s9, exec_lo, s15
	s_cbranch_execnz .LBB134_57
.LBB134_15:                             ;   in Loop: Header=BB134_5 Depth=1
	s_or_b32 exec_lo, exec_lo, s9
	s_and_saveexec_b32 s9, s8
.LBB134_16:                             ;   in Loop: Header=BB134_5 Depth=1
	v_and_b32_e32 v1, 1, v13
	s_delay_alu instid0(VALU_DEP_1)
	v_cmp_eq_u32_e32 vcc_lo, 0, v1
	v_cndmask_b32_e64 v1, -1, 1, vcc_lo
.LBB134_17:                             ;   in Loop: Header=BB134_5 Depth=1
	s_or_b32 exec_lo, exec_lo, s9
	s_delay_alu instid0(VALU_DEP_1)
	v_mov_b32_e32 v5, v1
.LBB134_18:                             ;   in Loop: Header=BB134_5 Depth=1
	s_or_b32 exec_lo, exec_lo, s2
	s_waitcnt vmcnt(0)
	v_mul_lo_u32 v1, v6, s10
	s_mov_b32 s2, exec_lo
	s_delay_alu instid0(VALU_DEP_1)
	v_cmpx_lt_i32_e32 -1, v1
	s_xor_b32 s2, exec_lo, s2
	s_cbranch_execz .LBB134_24
; %bb.19:                               ;   in Loop: Header=BB134_5 Depth=1
	v_mov_b32_e32 v6, 1
	s_mov_b32 s8, exec_lo
	v_cmpx_ne_u32_e32 0, v1
	s_cbranch_execz .LBB134_23
; %bb.20:                               ;   in Loop: Header=BB134_5 Depth=1
	v_dual_mov_b32 v6, 1 :: v_dual_mov_b32 v13, v2
	s_mov_b32 s9, 0
.LBB134_21:                             ;   Parent Loop BB134_5 Depth=1
                                        ; =>  This Inner Loop Header: Depth=2
	v_lshrrev_b32_e32 v15, 1, v1
	v_and_b32_e32 v14, 1, v1
	s_delay_alu instid0(VALU_DEP_1) | instskip(SKIP_4) | instid1(VALU_DEP_4)
	v_cmp_eq_u32_e32 vcc_lo, 1, v14
	v_cndmask_b32_e32 v14, 1, v13, vcc_lo
	v_mul_lo_u32 v13, v13, v13
	v_cmp_gt_u32_e32 vcc_lo, 2, v1
	v_mov_b32_e32 v1, v15
	v_mul_lo_u32 v6, v14, v6
	s_or_b32 s9, vcc_lo, s9
	s_delay_alu instid0(SALU_CYCLE_1)
	s_and_not1_b32 exec_lo, exec_lo, s9
	s_cbranch_execnz .LBB134_21
; %bb.22:                               ;   in Loop: Header=BB134_5 Depth=1
	s_or_b32 exec_lo, exec_lo, s9
.LBB134_23:                             ;   in Loop: Header=BB134_5 Depth=1
	s_delay_alu instid0(SALU_CYCLE_1)
	s_or_b32 exec_lo, exec_lo, s8
                                        ; implicit-def: $vgpr1
.LBB134_24:                             ;   in Loop: Header=BB134_5 Depth=1
	s_and_not1_saveexec_b32 s2, s2
	s_cbranch_execz .LBB134_31
; %bb.25:                               ;   in Loop: Header=BB134_5 Depth=1
	s_mov_b32 s8, 0
	s_mov_b32 s9, 0
	s_mov_b32 s15, exec_lo
	v_cmpx_lt_i32_e32 0, v2
	s_xor_b32 s15, exec_lo, s15
	s_cbranch_execnz .LBB134_58
; %bb.26:                               ;   in Loop: Header=BB134_5 Depth=1
	s_and_not1_saveexec_b32 s15, s15
	s_cbranch_execnz .LBB134_59
.LBB134_27:                             ;   in Loop: Header=BB134_5 Depth=1
	s_or_b32 exec_lo, exec_lo, s15
	s_and_saveexec_b32 s15, s9
	s_delay_alu instid0(SALU_CYCLE_1)
	s_xor_b32 s9, exec_lo, s15
	s_cbranch_execnz .LBB134_60
.LBB134_28:                             ;   in Loop: Header=BB134_5 Depth=1
	s_or_b32 exec_lo, exec_lo, s9
	s_and_saveexec_b32 s9, s8
.LBB134_29:                             ;   in Loop: Header=BB134_5 Depth=1
	v_and_b32_e32 v1, 1, v1
	s_delay_alu instid0(VALU_DEP_1)
	v_cmp_eq_u32_e32 vcc_lo, 0, v1
	v_cndmask_b32_e64 v2, -1, 1, vcc_lo
.LBB134_30:                             ;   in Loop: Header=BB134_5 Depth=1
	s_or_b32 exec_lo, exec_lo, s9
	s_delay_alu instid0(VALU_DEP_1)
	v_mov_b32_e32 v6, v2
.LBB134_31:                             ;   in Loop: Header=BB134_5 Depth=1
	s_or_b32 exec_lo, exec_lo, s2
	v_mul_lo_u32 v1, v7, s10
	s_mov_b32 s2, exec_lo
	s_delay_alu instid0(VALU_DEP_1)
	v_cmpx_lt_i32_e32 -1, v1
	s_xor_b32 s2, exec_lo, s2
	s_cbranch_execz .LBB134_37
; %bb.32:                               ;   in Loop: Header=BB134_5 Depth=1
	v_mov_b32_e32 v7, 1
	s_mov_b32 s8, exec_lo
	v_cmpx_ne_u32_e32 0, v1
	s_cbranch_execz .LBB134_36
; %bb.33:                               ;   in Loop: Header=BB134_5 Depth=1
	v_dual_mov_b32 v7, 1 :: v_dual_mov_b32 v2, v3
	s_mov_b32 s9, 0
.LBB134_34:                             ;   Parent Loop BB134_5 Depth=1
                                        ; =>  This Inner Loop Header: Depth=2
	v_and_b32_e32 v13, 1, v1
	v_lshrrev_b32_e32 v14, 1, v1
	s_delay_alu instid0(VALU_DEP_2) | instskip(SKIP_4) | instid1(VALU_DEP_4)
	v_cmp_eq_u32_e32 vcc_lo, 1, v13
	v_cndmask_b32_e32 v13, 1, v2, vcc_lo
	v_mul_lo_u32 v2, v2, v2
	v_cmp_gt_u32_e32 vcc_lo, 2, v1
	v_mov_b32_e32 v1, v14
	v_mul_lo_u32 v7, v13, v7
	s_or_b32 s9, vcc_lo, s9
	s_delay_alu instid0(SALU_CYCLE_1)
	s_and_not1_b32 exec_lo, exec_lo, s9
	s_cbranch_execnz .LBB134_34
; %bb.35:                               ;   in Loop: Header=BB134_5 Depth=1
	s_or_b32 exec_lo, exec_lo, s9
.LBB134_36:                             ;   in Loop: Header=BB134_5 Depth=1
	s_delay_alu instid0(SALU_CYCLE_1)
	s_or_b32 exec_lo, exec_lo, s8
                                        ; implicit-def: $vgpr1
.LBB134_37:                             ;   in Loop: Header=BB134_5 Depth=1
	s_and_not1_saveexec_b32 s2, s2
	s_cbranch_execz .LBB134_44
; %bb.38:                               ;   in Loop: Header=BB134_5 Depth=1
	s_mov_b32 s8, 0
	s_mov_b32 s9, 0
	s_mov_b32 s15, exec_lo
	v_cmpx_lt_i32_e32 0, v3
	s_xor_b32 s15, exec_lo, s15
	s_cbranch_execnz .LBB134_61
; %bb.39:                               ;   in Loop: Header=BB134_5 Depth=1
	s_and_not1_saveexec_b32 s15, s15
	s_cbranch_execnz .LBB134_62
.LBB134_40:                             ;   in Loop: Header=BB134_5 Depth=1
	s_or_b32 exec_lo, exec_lo, s15
	s_and_saveexec_b32 s15, s9
	s_delay_alu instid0(SALU_CYCLE_1)
	s_xor_b32 s9, exec_lo, s15
	s_cbranch_execnz .LBB134_63
.LBB134_41:                             ;   in Loop: Header=BB134_5 Depth=1
	s_or_b32 exec_lo, exec_lo, s9
	s_and_saveexec_b32 s9, s8
.LBB134_42:                             ;   in Loop: Header=BB134_5 Depth=1
	v_and_b32_e32 v1, 1, v1
	s_delay_alu instid0(VALU_DEP_1)
	v_cmp_eq_u32_e32 vcc_lo, 0, v1
	v_cndmask_b32_e64 v3, -1, 1, vcc_lo
.LBB134_43:                             ;   in Loop: Header=BB134_5 Depth=1
	s_or_b32 exec_lo, exec_lo, s9
	s_delay_alu instid0(VALU_DEP_1)
	v_mov_b32_e32 v7, v3
.LBB134_44:                             ;   in Loop: Header=BB134_5 Depth=1
	s_or_b32 exec_lo, exec_lo, s2
	v_mul_lo_u32 v1, v8, s10
	s_mov_b32 s2, exec_lo
	s_delay_alu instid0(VALU_DEP_1)
	v_cmpx_lt_i32_e32 -1, v1
	s_xor_b32 s2, exec_lo, s2
	s_cbranch_execz .LBB134_50
; %bb.45:                               ;   in Loop: Header=BB134_5 Depth=1
	v_mov_b32_e32 v8, 1
	s_mov_b32 s8, exec_lo
	v_cmpx_ne_u32_e32 0, v1
	s_cbranch_execz .LBB134_49
; %bb.46:                               ;   in Loop: Header=BB134_5 Depth=1
	v_mov_b32_e32 v8, 1
	s_mov_b32 s9, 0
.LBB134_47:                             ;   Parent Loop BB134_5 Depth=1
                                        ; =>  This Inner Loop Header: Depth=2
	v_lshrrev_b32_e32 v3, 1, v1
	v_and_b32_e32 v2, 1, v1
	s_delay_alu instid0(VALU_DEP_1) | instskip(SKIP_4) | instid1(VALU_DEP_4)
	v_cmp_eq_u32_e32 vcc_lo, 1, v2
	v_cndmask_b32_e32 v2, 1, v4, vcc_lo
	v_mul_lo_u32 v4, v4, v4
	v_cmp_gt_u32_e32 vcc_lo, 2, v1
	v_mov_b32_e32 v1, v3
	v_mul_lo_u32 v8, v2, v8
	s_or_b32 s9, vcc_lo, s9
	s_delay_alu instid0(SALU_CYCLE_1)
	s_and_not1_b32 exec_lo, exec_lo, s9
	s_cbranch_execnz .LBB134_47
; %bb.48:                               ;   in Loop: Header=BB134_5 Depth=1
	s_or_b32 exec_lo, exec_lo, s9
.LBB134_49:                             ;   in Loop: Header=BB134_5 Depth=1
	s_delay_alu instid0(SALU_CYCLE_1)
	s_or_b32 exec_lo, exec_lo, s8
                                        ; implicit-def: $vgpr1
                                        ; implicit-def: $vgpr4
.LBB134_50:                             ;   in Loop: Header=BB134_5 Depth=1
	s_and_not1_saveexec_b32 s2, s2
	s_cbranch_execz .LBB134_4
; %bb.51:                               ;   in Loop: Header=BB134_5 Depth=1
	s_mov_b32 s8, 0
	s_mov_b32 s9, 0
	s_mov_b32 s15, exec_lo
	v_cmpx_lt_i32_e32 0, v4
	s_xor_b32 s15, exec_lo, s15
	s_cbranch_execnz .LBB134_64
; %bb.52:                               ;   in Loop: Header=BB134_5 Depth=1
	s_and_not1_saveexec_b32 s15, s15
	s_cbranch_execnz .LBB134_65
.LBB134_53:                             ;   in Loop: Header=BB134_5 Depth=1
	s_or_b32 exec_lo, exec_lo, s15
	s_and_saveexec_b32 s15, s9
	s_delay_alu instid0(SALU_CYCLE_1)
	s_xor_b32 s9, exec_lo, s15
	s_cbranch_execnz .LBB134_66
.LBB134_54:                             ;   in Loop: Header=BB134_5 Depth=1
	s_or_b32 exec_lo, exec_lo, s9
	s_and_saveexec_b32 s9, s8
	s_cbranch_execz .LBB134_3
	s_branch .LBB134_67
.LBB134_55:                             ;   in Loop: Header=BB134_5 Depth=1
	v_cmp_ne_u32_e32 vcc_lo, 1, v1
	s_and_b32 s9, vcc_lo, exec_lo
	s_and_not1_saveexec_b32 s15, s15
	s_cbranch_execz .LBB134_14
.LBB134_56:                             ;   in Loop: Header=BB134_5 Depth=1
	v_cmp_ne_u32_e32 vcc_lo, -1, v1
	s_and_not1_b32 s9, s9, exec_lo
	s_mov_b32 s8, exec_lo
	s_and_b32 s16, vcc_lo, exec_lo
	s_delay_alu instid0(SALU_CYCLE_1) | instskip(SKIP_2) | instid1(SALU_CYCLE_1)
	s_or_b32 s9, s9, s16
	s_or_b32 exec_lo, exec_lo, s15
	s_and_saveexec_b32 s15, s9
	s_xor_b32 s9, exec_lo, s15
	s_cbranch_execz .LBB134_15
.LBB134_57:                             ;   in Loop: Header=BB134_5 Depth=1
	v_mov_b32_e32 v1, 0
	s_and_not1_b32 s8, s8, exec_lo
	s_or_b32 exec_lo, exec_lo, s9
	s_and_saveexec_b32 s9, s8
	s_cbranch_execnz .LBB134_16
	s_branch .LBB134_17
.LBB134_58:                             ;   in Loop: Header=BB134_5 Depth=1
	v_cmp_ne_u32_e32 vcc_lo, 1, v2
	s_and_b32 s9, vcc_lo, exec_lo
	s_and_not1_saveexec_b32 s15, s15
	s_cbranch_execz .LBB134_27
.LBB134_59:                             ;   in Loop: Header=BB134_5 Depth=1
	v_cmp_ne_u32_e32 vcc_lo, -1, v2
	s_and_not1_b32 s9, s9, exec_lo
	s_mov_b32 s8, exec_lo
	s_and_b32 s16, vcc_lo, exec_lo
	s_delay_alu instid0(SALU_CYCLE_1) | instskip(SKIP_2) | instid1(SALU_CYCLE_1)
	s_or_b32 s9, s9, s16
	s_or_b32 exec_lo, exec_lo, s15
	s_and_saveexec_b32 s15, s9
	s_xor_b32 s9, exec_lo, s15
	s_cbranch_execz .LBB134_28
.LBB134_60:                             ;   in Loop: Header=BB134_5 Depth=1
	v_mov_b32_e32 v2, 0
	s_and_not1_b32 s8, s8, exec_lo
	s_or_b32 exec_lo, exec_lo, s9
	s_and_saveexec_b32 s9, s8
	s_cbranch_execnz .LBB134_29
	s_branch .LBB134_30
.LBB134_61:                             ;   in Loop: Header=BB134_5 Depth=1
	v_cmp_ne_u32_e32 vcc_lo, 1, v3
	s_and_b32 s9, vcc_lo, exec_lo
	s_and_not1_saveexec_b32 s15, s15
	s_cbranch_execz .LBB134_40
.LBB134_62:                             ;   in Loop: Header=BB134_5 Depth=1
	v_cmp_ne_u32_e32 vcc_lo, -1, v3
	s_and_not1_b32 s9, s9, exec_lo
	s_mov_b32 s8, exec_lo
	s_and_b32 s16, vcc_lo, exec_lo
	s_delay_alu instid0(SALU_CYCLE_1) | instskip(SKIP_2) | instid1(SALU_CYCLE_1)
	s_or_b32 s9, s9, s16
	s_or_b32 exec_lo, exec_lo, s15
	s_and_saveexec_b32 s15, s9
	s_xor_b32 s9, exec_lo, s15
	s_cbranch_execz .LBB134_41
.LBB134_63:                             ;   in Loop: Header=BB134_5 Depth=1
	v_mov_b32_e32 v3, 0
	s_and_not1_b32 s8, s8, exec_lo
	s_or_b32 exec_lo, exec_lo, s9
	s_and_saveexec_b32 s9, s8
	s_cbranch_execnz .LBB134_42
	s_branch .LBB134_43
.LBB134_64:                             ;   in Loop: Header=BB134_5 Depth=1
	v_cmp_ne_u32_e32 vcc_lo, 1, v4
	s_and_b32 s9, vcc_lo, exec_lo
	s_and_not1_saveexec_b32 s15, s15
	s_cbranch_execz .LBB134_53
.LBB134_65:                             ;   in Loop: Header=BB134_5 Depth=1
	v_cmp_ne_u32_e32 vcc_lo, -1, v4
	s_and_not1_b32 s9, s9, exec_lo
	s_mov_b32 s8, exec_lo
                                        ; implicit-def: $vgpr4
	s_and_b32 s16, vcc_lo, exec_lo
	s_delay_alu instid0(SALU_CYCLE_1) | instskip(SKIP_2) | instid1(SALU_CYCLE_1)
	s_or_b32 s9, s9, s16
	s_or_b32 exec_lo, exec_lo, s15
	s_and_saveexec_b32 s15, s9
	s_xor_b32 s9, exec_lo, s15
	s_cbranch_execz .LBB134_54
.LBB134_66:                             ;   in Loop: Header=BB134_5 Depth=1
	v_mov_b32_e32 v4, 0
	s_and_not1_b32 s8, s8, exec_lo
	s_or_b32 exec_lo, exec_lo, s9
	s_and_saveexec_b32 s9, s8
	s_cbranch_execz .LBB134_3
.LBB134_67:                             ;   in Loop: Header=BB134_5 Depth=1
	v_and_b32_e32 v1, 1, v1
	s_delay_alu instid0(VALU_DEP_1)
	v_cmp_eq_u32_e32 vcc_lo, 0, v1
	v_cndmask_b32_e64 v4, -1, 1, vcc_lo
	s_branch .LBB134_3
.LBB134_68:
	s_or_b32 exec_lo, exec_lo, s3
	s_mov_b32 s2, 0
.LBB134_69:
	s_delay_alu instid0(SALU_CYCLE_1)
	s_and_not1_b32 vcc_lo, exec_lo, s2
	s_cbranch_vccnz .LBB134_153
; %bb.70:
	v_cmp_lt_i64_e64 s2, s[4:5], 1
	s_delay_alu instid0(VALU_DEP_1)
	s_and_b32 vcc_lo, exec_lo, s2
	s_cbranch_vccnz .LBB134_153
; %bb.71:
	s_load_b32 s0, s[0:1], 0xc5c
	v_cmp_gt_u64_e64 s1, 0x10000, s[4:5]
	s_mov_b64 s[8:9], 0
	s_waitcnt lgkmcnt(0)
	s_and_b32 s15, s0, 0xffff
	s_delay_alu instid0(VALU_DEP_1)
	s_and_b32 s0, s1, exec_lo
	s_cselect_b32 s7, s5, 0
	s_cselect_b32 s6, s4, 0x10000
	s_lshl_b32 s16, s15, 1
	s_mul_i32 s17, s15, 3
	s_lshl_b32 s18, s15, 2
	s_branch .LBB134_73
.LBB134_72:                             ;   in Loop: Header=BB134_73 Depth=1
	s_or_b32 exec_lo, exec_lo, s0
	s_add_u32 s8, s8, s18
	s_addc_u32 s9, s9, 0
	s_delay_alu instid0(SALU_CYCLE_1) | instskip(SKIP_1) | instid1(VALU_DEP_1)
	v_cmp_ge_i64_e64 s0, s[8:9], s[4:5]
	v_cmp_lt_u64_e64 s1, 0xffff, s[8:9]
	s_or_b32 s0, s0, s1
	s_delay_alu instid0(SALU_CYCLE_1)
	s_and_b32 vcc_lo, exec_lo, s0
	s_cbranch_vccnz .LBB134_153
.LBB134_73:                             ; =>This Loop Header: Depth=1
                                        ;     Child Loop BB134_84 Depth 2
                                        ;     Child Loop BB134_97 Depth 2
                                        ;     Child Loop BB134_110 Depth 2
                                        ;     Child Loop BB134_128 Depth 2
	v_add_co_u32 v7, s0, s8, v0
	s_delay_alu instid0(VALU_DEP_1) | instskip(SKIP_1) | instid1(VALU_DEP_2)
	v_add_co_ci_u32_e64 v8, null, s9, 0, s0
	v_dual_mov_b32 v13, 0 :: v_dual_mov_b32 v10, 0
	v_cmp_gt_u64_e32 vcc_lo, s[6:7], v[7:8]
	v_lshlrev_b64 v[1:2], 2, v[7:8]
	s_and_saveexec_b32 s1, vcc_lo
	s_cbranch_execz .LBB134_75
; %bb.74:                               ;   in Loop: Header=BB134_73 Depth=1
	s_delay_alu instid0(VALU_DEP_1) | instskip(NEXT) | instid1(VALU_DEP_1)
	v_add_co_u32 v3, s0, s11, v1
	v_add_co_ci_u32_e64 v4, s0, s12, v2, s0
	v_add_co_u32 v5, s0, s13, v1
	s_delay_alu instid0(VALU_DEP_1)
	v_add_co_ci_u32_e64 v6, s0, s14, v2, s0
	global_load_b32 v13, v[3:4], off
	global_load_b32 v10, v[5:6], off
.LBB134_75:                             ;   in Loop: Header=BB134_73 Depth=1
	s_or_b32 exec_lo, exec_lo, s1
	v_add_co_u32 v3, s0, v7, s15
	s_delay_alu instid0(VALU_DEP_1) | instskip(SKIP_2) | instid1(VALU_DEP_3)
	v_add_co_ci_u32_e64 v4, s0, 0, v8, s0
	v_dual_mov_b32 v11, 0 :: v_dual_mov_b32 v14, 0
	v_mov_b32_e32 v16, 0
	v_cmp_gt_u64_e64 s0, s[6:7], v[3:4]
	v_lshlrev_b64 v[3:4], 2, v[3:4]
	s_delay_alu instid0(VALU_DEP_2)
	s_and_saveexec_b32 s2, s0
	s_cbranch_execz .LBB134_77
; %bb.76:                               ;   in Loop: Header=BB134_73 Depth=1
	s_delay_alu instid0(VALU_DEP_1) | instskip(NEXT) | instid1(VALU_DEP_1)
	v_add_co_u32 v5, s1, s11, v3
	v_add_co_ci_u32_e64 v6, s1, s12, v4, s1
	v_add_co_u32 v15, s1, s13, v3
	s_delay_alu instid0(VALU_DEP_1)
	v_add_co_ci_u32_e64 v16, s1, s14, v4, s1
	global_load_b32 v14, v[5:6], off
	global_load_b32 v16, v[15:16], off
.LBB134_77:                             ;   in Loop: Header=BB134_73 Depth=1
	s_or_b32 exec_lo, exec_lo, s2
	v_add_co_u32 v5, s1, v7, s16
	s_delay_alu instid0(VALU_DEP_1) | instskip(SKIP_1) | instid1(VALU_DEP_2)
	v_add_co_ci_u32_e64 v6, s1, 0, v8, s1
	v_mov_b32_e32 v15, 0
	v_cmp_gt_u64_e64 s1, s[6:7], v[5:6]
	v_lshlrev_b64 v[5:6], 2, v[5:6]
	s_delay_alu instid0(VALU_DEP_2)
	s_and_saveexec_b32 s3, s1
	s_cbranch_execz .LBB134_79
; %bb.78:                               ;   in Loop: Header=BB134_73 Depth=1
	s_delay_alu instid0(VALU_DEP_1) | instskip(NEXT) | instid1(VALU_DEP_1)
	v_add_co_u32 v11, s2, s11, v5
	v_add_co_ci_u32_e64 v12, s2, s12, v6, s2
	v_add_co_u32 v17, s2, s13, v5
	s_delay_alu instid0(VALU_DEP_1)
	v_add_co_ci_u32_e64 v18, s2, s14, v6, s2
	global_load_b32 v11, v[11:12], off
	global_load_b32 v15, v[17:18], off
.LBB134_79:                             ;   in Loop: Header=BB134_73 Depth=1
	s_or_b32 exec_lo, exec_lo, s3
	v_add_co_u32 v7, s2, v7, s17
	s_delay_alu instid0(VALU_DEP_1) | instskip(SKIP_1) | instid1(VALU_DEP_2)
	v_add_co_ci_u32_e64 v8, s2, 0, v8, s2
	v_dual_mov_b32 v9, 0 :: v_dual_mov_b32 v12, 0
	v_cmp_gt_u64_e64 s2, s[6:7], v[7:8]
	v_lshlrev_b64 v[7:8], 2, v[7:8]
	s_delay_alu instid0(VALU_DEP_2)
	s_and_saveexec_b32 s19, s2
	s_cbranch_execz .LBB134_81
; %bb.80:                               ;   in Loop: Header=BB134_73 Depth=1
	s_delay_alu instid0(VALU_DEP_1) | instskip(NEXT) | instid1(VALU_DEP_1)
	v_add_co_u32 v17, s3, s11, v7
	v_add_co_ci_u32_e64 v18, s3, s12, v8, s3
	v_add_co_u32 v19, s3, s13, v7
	s_delay_alu instid0(VALU_DEP_1)
	v_add_co_ci_u32_e64 v20, s3, s14, v8, s3
	global_load_b32 v9, v[17:18], off
	global_load_b32 v12, v[19:20], off
.LBB134_81:                             ;   in Loop: Header=BB134_73 Depth=1
	s_or_b32 exec_lo, exec_lo, s19
	s_waitcnt vmcnt(0)
	v_mul_lo_u32 v17, v10, s10
	s_mov_b32 s19, exec_lo
                                        ; implicit-def: $vgpr10
	s_delay_alu instid0(VALU_DEP_1)
	v_cmpx_lt_i32_e32 -1, v17
	s_xor_b32 s19, exec_lo, s19
	s_cbranch_execz .LBB134_87
; %bb.82:                               ;   in Loop: Header=BB134_73 Depth=1
	v_mov_b32_e32 v10, 1
	s_mov_b32 s20, exec_lo
	v_cmpx_ne_u32_e32 0, v17
	s_cbranch_execz .LBB134_86
; %bb.83:                               ;   in Loop: Header=BB134_73 Depth=1
	v_mov_b32_e32 v10, 1
	s_mov_b32 s21, 0
.LBB134_84:                             ;   Parent Loop BB134_73 Depth=1
                                        ; =>  This Inner Loop Header: Depth=2
	v_lshrrev_b32_e32 v19, 1, v17
	v_and_b32_e32 v18, 1, v17
	s_delay_alu instid0(VALU_DEP_1) | instskip(NEXT) | instid1(VALU_DEP_1)
	v_cmp_eq_u32_e64 s3, 1, v18
	v_cndmask_b32_e64 v18, 1, v13, s3
	v_mul_lo_u32 v13, v13, v13
	v_cmp_gt_u32_e64 s3, 2, v17
	v_mov_b32_e32 v17, v19
	s_delay_alu instid0(VALU_DEP_4) | instskip(NEXT) | instid1(VALU_DEP_3)
	v_mul_lo_u32 v10, v18, v10
	s_or_b32 s21, s3, s21
	s_delay_alu instid0(SALU_CYCLE_1)
	s_and_not1_b32 exec_lo, exec_lo, s21
	s_cbranch_execnz .LBB134_84
; %bb.85:                               ;   in Loop: Header=BB134_73 Depth=1
	s_or_b32 exec_lo, exec_lo, s21
.LBB134_86:                             ;   in Loop: Header=BB134_73 Depth=1
	s_delay_alu instid0(SALU_CYCLE_1)
	s_or_b32 exec_lo, exec_lo, s20
                                        ; implicit-def: $vgpr17
                                        ; implicit-def: $vgpr13
.LBB134_87:                             ;   in Loop: Header=BB134_73 Depth=1
	s_and_not1_saveexec_b32 s19, s19
	s_cbranch_execz .LBB134_94
; %bb.88:                               ;   in Loop: Header=BB134_73 Depth=1
	s_mov_b32 s20, 0
	s_mov_b32 s21, 0
	s_mov_b32 s22, exec_lo
	v_cmpx_lt_i32_e32 0, v13
	s_xor_b32 s22, exec_lo, s22
	s_cbranch_execnz .LBB134_141
; %bb.89:                               ;   in Loop: Header=BB134_73 Depth=1
	s_and_not1_saveexec_b32 s22, s22
	s_cbranch_execnz .LBB134_142
.LBB134_90:                             ;   in Loop: Header=BB134_73 Depth=1
	s_or_b32 exec_lo, exec_lo, s22
	s_and_saveexec_b32 s3, s21
	s_delay_alu instid0(SALU_CYCLE_1)
	s_xor_b32 s3, exec_lo, s3
	s_cbranch_execnz .LBB134_143
.LBB134_91:                             ;   in Loop: Header=BB134_73 Depth=1
	s_or_b32 exec_lo, exec_lo, s3
	s_and_saveexec_b32 s21, s20
.LBB134_92:                             ;   in Loop: Header=BB134_73 Depth=1
	v_and_b32_e32 v10, 1, v17
	s_delay_alu instid0(VALU_DEP_1) | instskip(NEXT) | instid1(VALU_DEP_1)
	v_cmp_eq_u32_e64 s3, 0, v10
	v_cndmask_b32_e64 v13, -1, 1, s3
.LBB134_93:                             ;   in Loop: Header=BB134_73 Depth=1
	s_or_b32 exec_lo, exec_lo, s21
	s_delay_alu instid0(VALU_DEP_1)
	v_mov_b32_e32 v10, v13
.LBB134_94:                             ;   in Loop: Header=BB134_73 Depth=1
	s_or_b32 exec_lo, exec_lo, s19
	v_mul_lo_u32 v16, v16, s10
	s_mov_b32 s19, exec_lo
                                        ; implicit-def: $vgpr13
	s_delay_alu instid0(VALU_DEP_1)
	v_cmpx_lt_i32_e32 -1, v16
	s_xor_b32 s19, exec_lo, s19
	s_cbranch_execz .LBB134_100
; %bb.95:                               ;   in Loop: Header=BB134_73 Depth=1
	v_mov_b32_e32 v13, 1
	s_mov_b32 s20, exec_lo
	v_cmpx_ne_u32_e32 0, v16
	s_cbranch_execz .LBB134_99
; %bb.96:                               ;   in Loop: Header=BB134_73 Depth=1
	v_mov_b32_e32 v13, 1
	s_mov_b32 s21, 0
.LBB134_97:                             ;   Parent Loop BB134_73 Depth=1
                                        ; =>  This Inner Loop Header: Depth=2
	v_lshrrev_b32_e32 v18, 1, v16
	v_and_b32_e32 v17, 1, v16
	s_delay_alu instid0(VALU_DEP_1) | instskip(NEXT) | instid1(VALU_DEP_1)
	v_cmp_eq_u32_e64 s3, 1, v17
	v_cndmask_b32_e64 v17, 1, v14, s3
	v_mul_lo_u32 v14, v14, v14
	v_cmp_gt_u32_e64 s3, 2, v16
	v_mov_b32_e32 v16, v18
	s_delay_alu instid0(VALU_DEP_4) | instskip(NEXT) | instid1(VALU_DEP_3)
	v_mul_lo_u32 v13, v17, v13
	s_or_b32 s21, s3, s21
	s_delay_alu instid0(SALU_CYCLE_1)
	s_and_not1_b32 exec_lo, exec_lo, s21
	s_cbranch_execnz .LBB134_97
; %bb.98:                               ;   in Loop: Header=BB134_73 Depth=1
	s_or_b32 exec_lo, exec_lo, s21
.LBB134_99:                             ;   in Loop: Header=BB134_73 Depth=1
	s_delay_alu instid0(SALU_CYCLE_1)
	s_or_b32 exec_lo, exec_lo, s20
                                        ; implicit-def: $vgpr16
                                        ; implicit-def: $vgpr14
.LBB134_100:                            ;   in Loop: Header=BB134_73 Depth=1
	s_and_not1_saveexec_b32 s19, s19
	s_cbranch_execz .LBB134_107
; %bb.101:                              ;   in Loop: Header=BB134_73 Depth=1
	s_mov_b32 s20, 0
	s_mov_b32 s21, 0
	s_mov_b32 s22, exec_lo
	v_cmpx_lt_i32_e32 0, v14
	s_xor_b32 s22, exec_lo, s22
	s_cbranch_execnz .LBB134_144
; %bb.102:                              ;   in Loop: Header=BB134_73 Depth=1
	s_and_not1_saveexec_b32 s22, s22
	s_cbranch_execnz .LBB134_145
.LBB134_103:                            ;   in Loop: Header=BB134_73 Depth=1
	s_or_b32 exec_lo, exec_lo, s22
	s_and_saveexec_b32 s3, s21
	s_delay_alu instid0(SALU_CYCLE_1)
	s_xor_b32 s3, exec_lo, s3
	s_cbranch_execnz .LBB134_146
.LBB134_104:                            ;   in Loop: Header=BB134_73 Depth=1
	s_or_b32 exec_lo, exec_lo, s3
	s_and_saveexec_b32 s21, s20
.LBB134_105:                            ;   in Loop: Header=BB134_73 Depth=1
	v_and_b32_e32 v13, 1, v16
	s_delay_alu instid0(VALU_DEP_1) | instskip(NEXT) | instid1(VALU_DEP_1)
	v_cmp_eq_u32_e64 s3, 0, v13
	v_cndmask_b32_e64 v14, -1, 1, s3
.LBB134_106:                            ;   in Loop: Header=BB134_73 Depth=1
	s_or_b32 exec_lo, exec_lo, s21
	s_delay_alu instid0(VALU_DEP_1)
	v_mov_b32_e32 v13, v14
.LBB134_107:                            ;   in Loop: Header=BB134_73 Depth=1
	s_or_b32 exec_lo, exec_lo, s19
	v_mul_lo_u32 v15, v15, s10
	s_mov_b32 s19, exec_lo
                                        ; implicit-def: $vgpr14
	s_delay_alu instid0(VALU_DEP_1)
	v_cmpx_lt_i32_e32 -1, v15
	s_xor_b32 s19, exec_lo, s19
	s_cbranch_execz .LBB134_113
; %bb.108:                              ;   in Loop: Header=BB134_73 Depth=1
	v_mov_b32_e32 v14, 1
	s_mov_b32 s20, exec_lo
	v_cmpx_ne_u32_e32 0, v15
	s_cbranch_execz .LBB134_112
; %bb.109:                              ;   in Loop: Header=BB134_73 Depth=1
	v_mov_b32_e32 v14, 1
	s_mov_b32 s21, 0
.LBB134_110:                            ;   Parent Loop BB134_73 Depth=1
                                        ; =>  This Inner Loop Header: Depth=2
	v_lshrrev_b32_e32 v17, 1, v15
	v_and_b32_e32 v16, 1, v15
	s_delay_alu instid0(VALU_DEP_1) | instskip(NEXT) | instid1(VALU_DEP_1)
	v_cmp_eq_u32_e64 s3, 1, v16
	v_cndmask_b32_e64 v16, 1, v11, s3
	v_mul_lo_u32 v11, v11, v11
	v_cmp_gt_u32_e64 s3, 2, v15
	v_mov_b32_e32 v15, v17
	s_delay_alu instid0(VALU_DEP_4) | instskip(NEXT) | instid1(VALU_DEP_3)
	v_mul_lo_u32 v14, v16, v14
	s_or_b32 s21, s3, s21
	s_delay_alu instid0(SALU_CYCLE_1)
	s_and_not1_b32 exec_lo, exec_lo, s21
	s_cbranch_execnz .LBB134_110
; %bb.111:                              ;   in Loop: Header=BB134_73 Depth=1
	s_or_b32 exec_lo, exec_lo, s21
.LBB134_112:                            ;   in Loop: Header=BB134_73 Depth=1
	s_delay_alu instid0(SALU_CYCLE_1)
	s_or_b32 exec_lo, exec_lo, s20
                                        ; implicit-def: $vgpr15
                                        ; implicit-def: $vgpr11
.LBB134_113:                            ;   in Loop: Header=BB134_73 Depth=1
	s_and_not1_saveexec_b32 s19, s19
	s_cbranch_execz .LBB134_120
; %bb.114:                              ;   in Loop: Header=BB134_73 Depth=1
	s_mov_b32 s20, 0
	s_mov_b32 s21, 0
	s_mov_b32 s22, exec_lo
	v_cmpx_lt_i32_e32 0, v11
	s_xor_b32 s22, exec_lo, s22
	s_cbranch_execnz .LBB134_147
; %bb.115:                              ;   in Loop: Header=BB134_73 Depth=1
	s_and_not1_saveexec_b32 s22, s22
	s_cbranch_execnz .LBB134_148
.LBB134_116:                            ;   in Loop: Header=BB134_73 Depth=1
	s_or_b32 exec_lo, exec_lo, s22
	s_and_saveexec_b32 s3, s21
	s_delay_alu instid0(SALU_CYCLE_1)
	s_xor_b32 s3, exec_lo, s3
	s_cbranch_execnz .LBB134_149
.LBB134_117:                            ;   in Loop: Header=BB134_73 Depth=1
	s_or_b32 exec_lo, exec_lo, s3
	s_and_saveexec_b32 s21, s20
.LBB134_118:                            ;   in Loop: Header=BB134_73 Depth=1
	v_and_b32_e32 v11, 1, v15
	s_delay_alu instid0(VALU_DEP_1) | instskip(NEXT) | instid1(VALU_DEP_1)
	v_cmp_eq_u32_e64 s3, 0, v11
	v_cndmask_b32_e64 v11, -1, 1, s3
.LBB134_119:                            ;   in Loop: Header=BB134_73 Depth=1
	s_or_b32 exec_lo, exec_lo, s21
	s_delay_alu instid0(VALU_DEP_1)
	v_mov_b32_e32 v14, v11
.LBB134_120:                            ;   in Loop: Header=BB134_73 Depth=1
	s_or_b32 exec_lo, exec_lo, s19
	v_mul_lo_u32 v11, v12, s10
	s_mov_b32 s19, exec_lo
                                        ; implicit-def: $vgpr12
	s_delay_alu instid0(VALU_DEP_1)
	v_cmpx_lt_i32_e32 -1, v11
	s_xor_b32 s19, exec_lo, s19
	s_cbranch_execnz .LBB134_126
; %bb.121:                              ;   in Loop: Header=BB134_73 Depth=1
	s_and_not1_saveexec_b32 s19, s19
	s_cbranch_execnz .LBB134_131
.LBB134_122:                            ;   in Loop: Header=BB134_73 Depth=1
	s_or_b32 exec_lo, exec_lo, s19
	s_and_saveexec_b32 s3, vcc_lo
	s_delay_alu instid0(SALU_CYCLE_1)
	s_xor_b32 s3, exec_lo, s3
	s_cbranch_execnz .LBB134_137
.LBB134_123:                            ;   in Loop: Header=BB134_73 Depth=1
	s_or_b32 exec_lo, exec_lo, s3
	s_and_saveexec_b32 s3, s0
	s_cbranch_execnz .LBB134_138
.LBB134_124:                            ;   in Loop: Header=BB134_73 Depth=1
	s_or_b32 exec_lo, exec_lo, s3
	s_and_saveexec_b32 s0, s1
	s_cbranch_execnz .LBB134_139
.LBB134_125:                            ;   in Loop: Header=BB134_73 Depth=1
	s_or_b32 exec_lo, exec_lo, s0
	s_and_saveexec_b32 s0, s2
	s_cbranch_execz .LBB134_72
	s_branch .LBB134_140
.LBB134_126:                            ;   in Loop: Header=BB134_73 Depth=1
	v_mov_b32_e32 v12, 1
	s_mov_b32 s20, exec_lo
	v_cmpx_ne_u32_e32 0, v11
	s_cbranch_execz .LBB134_130
; %bb.127:                              ;   in Loop: Header=BB134_73 Depth=1
	v_mov_b32_e32 v12, 1
	s_mov_b32 s21, 0
.LBB134_128:                            ;   Parent Loop BB134_73 Depth=1
                                        ; =>  This Inner Loop Header: Depth=2
	v_and_b32_e32 v15, 1, v11
	v_lshrrev_b32_e32 v16, 1, v11
	s_delay_alu instid0(VALU_DEP_2) | instskip(NEXT) | instid1(VALU_DEP_1)
	v_cmp_eq_u32_e64 s3, 1, v15
	v_cndmask_b32_e64 v15, 1, v9, s3
	v_mul_lo_u32 v9, v9, v9
	v_cmp_gt_u32_e64 s3, 2, v11
	v_mov_b32_e32 v11, v16
	s_delay_alu instid0(VALU_DEP_4) | instskip(NEXT) | instid1(VALU_DEP_3)
	v_mul_lo_u32 v12, v15, v12
	s_or_b32 s21, s3, s21
	s_delay_alu instid0(SALU_CYCLE_1)
	s_and_not1_b32 exec_lo, exec_lo, s21
	s_cbranch_execnz .LBB134_128
; %bb.129:                              ;   in Loop: Header=BB134_73 Depth=1
	s_or_b32 exec_lo, exec_lo, s21
.LBB134_130:                            ;   in Loop: Header=BB134_73 Depth=1
	s_delay_alu instid0(SALU_CYCLE_1)
	s_or_b32 exec_lo, exec_lo, s20
                                        ; implicit-def: $vgpr11
                                        ; implicit-def: $vgpr9
	s_and_not1_saveexec_b32 s19, s19
	s_cbranch_execz .LBB134_122
.LBB134_131:                            ;   in Loop: Header=BB134_73 Depth=1
	s_mov_b32 s20, 0
	s_mov_b32 s21, 0
	s_mov_b32 s22, exec_lo
	v_cmpx_lt_i32_e32 0, v9
	s_xor_b32 s22, exec_lo, s22
	s_cbranch_execnz .LBB134_150
; %bb.132:                              ;   in Loop: Header=BB134_73 Depth=1
	s_and_not1_saveexec_b32 s22, s22
	s_cbranch_execnz .LBB134_151
.LBB134_133:                            ;   in Loop: Header=BB134_73 Depth=1
	s_or_b32 exec_lo, exec_lo, s22
	s_and_saveexec_b32 s3, s21
	s_delay_alu instid0(SALU_CYCLE_1)
	s_xor_b32 s3, exec_lo, s3
	s_cbranch_execnz .LBB134_152
.LBB134_134:                            ;   in Loop: Header=BB134_73 Depth=1
	s_or_b32 exec_lo, exec_lo, s3
	s_and_saveexec_b32 s21, s20
.LBB134_135:                            ;   in Loop: Header=BB134_73 Depth=1
	v_and_b32_e32 v9, 1, v11
	s_delay_alu instid0(VALU_DEP_1) | instskip(NEXT) | instid1(VALU_DEP_1)
	v_cmp_eq_u32_e64 s3, 0, v9
	v_cndmask_b32_e64 v9, -1, 1, s3
.LBB134_136:                            ;   in Loop: Header=BB134_73 Depth=1
	s_or_b32 exec_lo, exec_lo, s21
	s_delay_alu instid0(VALU_DEP_1) | instskip(SKIP_2) | instid1(SALU_CYCLE_1)
	v_mov_b32_e32 v12, v9
	s_or_b32 exec_lo, exec_lo, s19
	s_and_saveexec_b32 s3, vcc_lo
	s_xor_b32 s3, exec_lo, s3
	s_cbranch_execz .LBB134_123
.LBB134_137:                            ;   in Loop: Header=BB134_73 Depth=1
	v_add_co_u32 v1, vcc_lo, s11, v1
	v_add_co_ci_u32_e32 v2, vcc_lo, s12, v2, vcc_lo
	global_store_b32 v[1:2], v10, off
	s_or_b32 exec_lo, exec_lo, s3
	s_and_saveexec_b32 s3, s0
	s_cbranch_execz .LBB134_124
.LBB134_138:                            ;   in Loop: Header=BB134_73 Depth=1
	v_add_co_u32 v1, vcc_lo, s11, v3
	v_add_co_ci_u32_e32 v2, vcc_lo, s12, v4, vcc_lo
	global_store_b32 v[1:2], v13, off
	s_or_b32 exec_lo, exec_lo, s3
	s_and_saveexec_b32 s0, s1
	s_cbranch_execz .LBB134_125
.LBB134_139:                            ;   in Loop: Header=BB134_73 Depth=1
	v_add_co_u32 v1, vcc_lo, s11, v5
	v_add_co_ci_u32_e32 v2, vcc_lo, s12, v6, vcc_lo
	global_store_b32 v[1:2], v14, off
	s_or_b32 exec_lo, exec_lo, s0
	s_and_saveexec_b32 s0, s2
	s_cbranch_execz .LBB134_72
.LBB134_140:                            ;   in Loop: Header=BB134_73 Depth=1
	v_add_co_u32 v1, vcc_lo, s11, v7
	v_add_co_ci_u32_e32 v2, vcc_lo, s12, v8, vcc_lo
	global_store_b32 v[1:2], v12, off
	s_branch .LBB134_72
.LBB134_141:                            ;   in Loop: Header=BB134_73 Depth=1
	v_cmp_ne_u32_e64 s3, 1, v13
	s_delay_alu instid0(VALU_DEP_1)
	s_and_b32 s21, s3, exec_lo
	s_and_not1_saveexec_b32 s22, s22
	s_cbranch_execz .LBB134_90
.LBB134_142:                            ;   in Loop: Header=BB134_73 Depth=1
	v_cmp_ne_u32_e64 s3, -1, v13
	s_and_not1_b32 s21, s21, exec_lo
	s_mov_b32 s20, exec_lo
                                        ; implicit-def: $vgpr13
	s_delay_alu instid0(VALU_DEP_1) | instskip(NEXT) | instid1(SALU_CYCLE_1)
	s_and_b32 s3, s3, exec_lo
	s_or_b32 s21, s21, s3
	s_or_b32 exec_lo, exec_lo, s22
	s_and_saveexec_b32 s3, s21
	s_delay_alu instid0(SALU_CYCLE_1)
	s_xor_b32 s3, exec_lo, s3
	s_cbranch_execz .LBB134_91
.LBB134_143:                            ;   in Loop: Header=BB134_73 Depth=1
	v_mov_b32_e32 v13, 0
	s_and_not1_b32 s20, s20, exec_lo
	s_or_b32 exec_lo, exec_lo, s3
	s_and_saveexec_b32 s21, s20
	s_cbranch_execnz .LBB134_92
	s_branch .LBB134_93
.LBB134_144:                            ;   in Loop: Header=BB134_73 Depth=1
	v_cmp_ne_u32_e64 s3, 1, v14
	s_delay_alu instid0(VALU_DEP_1)
	s_and_b32 s21, s3, exec_lo
	s_and_not1_saveexec_b32 s22, s22
	s_cbranch_execz .LBB134_103
.LBB134_145:                            ;   in Loop: Header=BB134_73 Depth=1
	v_cmp_ne_u32_e64 s3, -1, v14
	s_and_not1_b32 s21, s21, exec_lo
	s_mov_b32 s20, exec_lo
                                        ; implicit-def: $vgpr14
	s_delay_alu instid0(VALU_DEP_1) | instskip(NEXT) | instid1(SALU_CYCLE_1)
	s_and_b32 s3, s3, exec_lo
	s_or_b32 s21, s21, s3
	s_or_b32 exec_lo, exec_lo, s22
	s_and_saveexec_b32 s3, s21
	s_delay_alu instid0(SALU_CYCLE_1)
	s_xor_b32 s3, exec_lo, s3
	s_cbranch_execz .LBB134_104
.LBB134_146:                            ;   in Loop: Header=BB134_73 Depth=1
	v_mov_b32_e32 v14, 0
	s_and_not1_b32 s20, s20, exec_lo
	s_or_b32 exec_lo, exec_lo, s3
	s_and_saveexec_b32 s21, s20
	s_cbranch_execnz .LBB134_105
	s_branch .LBB134_106
.LBB134_147:                            ;   in Loop: Header=BB134_73 Depth=1
	v_cmp_ne_u32_e64 s3, 1, v11
	s_delay_alu instid0(VALU_DEP_1)
	s_and_b32 s21, s3, exec_lo
	s_and_not1_saveexec_b32 s22, s22
	s_cbranch_execz .LBB134_116
.LBB134_148:                            ;   in Loop: Header=BB134_73 Depth=1
	v_cmp_ne_u32_e64 s3, -1, v11
	s_and_not1_b32 s21, s21, exec_lo
	s_mov_b32 s20, exec_lo
                                        ; implicit-def: $vgpr11
	s_delay_alu instid0(VALU_DEP_1) | instskip(NEXT) | instid1(SALU_CYCLE_1)
	s_and_b32 s3, s3, exec_lo
	s_or_b32 s21, s21, s3
	s_or_b32 exec_lo, exec_lo, s22
	s_and_saveexec_b32 s3, s21
	s_delay_alu instid0(SALU_CYCLE_1)
	s_xor_b32 s3, exec_lo, s3
	s_cbranch_execz .LBB134_117
.LBB134_149:                            ;   in Loop: Header=BB134_73 Depth=1
	v_mov_b32_e32 v11, 0
	s_and_not1_b32 s20, s20, exec_lo
	s_or_b32 exec_lo, exec_lo, s3
	s_and_saveexec_b32 s21, s20
	s_cbranch_execnz .LBB134_118
	s_branch .LBB134_119
.LBB134_150:                            ;   in Loop: Header=BB134_73 Depth=1
	v_cmp_ne_u32_e64 s3, 1, v9
	s_delay_alu instid0(VALU_DEP_1)
	s_and_b32 s21, s3, exec_lo
	s_and_not1_saveexec_b32 s22, s22
	s_cbranch_execz .LBB134_133
.LBB134_151:                            ;   in Loop: Header=BB134_73 Depth=1
	v_cmp_ne_u32_e64 s3, -1, v9
	s_and_not1_b32 s21, s21, exec_lo
	s_mov_b32 s20, exec_lo
                                        ; implicit-def: $vgpr9
	s_delay_alu instid0(VALU_DEP_1) | instskip(NEXT) | instid1(SALU_CYCLE_1)
	s_and_b32 s3, s3, exec_lo
	s_or_b32 s21, s21, s3
	s_or_b32 exec_lo, exec_lo, s22
	s_and_saveexec_b32 s3, s21
	s_delay_alu instid0(SALU_CYCLE_1)
	s_xor_b32 s3, exec_lo, s3
	s_cbranch_execz .LBB134_134
.LBB134_152:                            ;   in Loop: Header=BB134_73 Depth=1
	v_mov_b32_e32 v9, 0
	s_and_not1_b32 s20, s20, exec_lo
	s_or_b32 exec_lo, exec_lo, s3
	s_and_saveexec_b32 s21, s20
	s_cbranch_execnz .LBB134_135
	s_branch .LBB134_136
.LBB134_153:
	s_nop 0
	s_sendmsg sendmsg(MSG_DEALLOC_VGPRS)
	s_endpgm
	.section	.rodata,"a",@progbits
	.p2align	6, 0x0
	.amdhsa_kernel _ZN2at6native12_GLOBAL__N_125multi_tensor_apply_kernelINS1_18TensorListMetadataILi2EEENS1_24BinaryOpListAlphaFunctorIiLi2ELi2ELi0EEEJNS1_13power_functorIiEEiEEEvT_T0_DpT1_
		.amdhsa_group_segment_fixed_size 0
		.amdhsa_private_segment_fixed_size 0
		.amdhsa_kernarg_size 3408
		.amdhsa_user_sgpr_count 15
		.amdhsa_user_sgpr_dispatch_ptr 0
		.amdhsa_user_sgpr_queue_ptr 0
		.amdhsa_user_sgpr_kernarg_segment_ptr 1
		.amdhsa_user_sgpr_dispatch_id 0
		.amdhsa_user_sgpr_private_segment_size 0
		.amdhsa_wavefront_size32 1
		.amdhsa_uses_dynamic_stack 0
		.amdhsa_enable_private_segment 0
		.amdhsa_system_sgpr_workgroup_id_x 1
		.amdhsa_system_sgpr_workgroup_id_y 0
		.amdhsa_system_sgpr_workgroup_id_z 0
		.amdhsa_system_sgpr_workgroup_info 0
		.amdhsa_system_vgpr_workitem_id 0
		.amdhsa_next_free_vgpr 21
		.amdhsa_next_free_sgpr 23
		.amdhsa_reserve_vcc 1
		.amdhsa_float_round_mode_32 0
		.amdhsa_float_round_mode_16_64 0
		.amdhsa_float_denorm_mode_32 3
		.amdhsa_float_denorm_mode_16_64 3
		.amdhsa_dx10_clamp 1
		.amdhsa_ieee_mode 1
		.amdhsa_fp16_overflow 0
		.amdhsa_workgroup_processor_mode 1
		.amdhsa_memory_ordered 1
		.amdhsa_forward_progress 0
		.amdhsa_shared_vgpr_count 0
		.amdhsa_exception_fp_ieee_invalid_op 0
		.amdhsa_exception_fp_denorm_src 0
		.amdhsa_exception_fp_ieee_div_zero 0
		.amdhsa_exception_fp_ieee_overflow 0
		.amdhsa_exception_fp_ieee_underflow 0
		.amdhsa_exception_fp_ieee_inexact 0
		.amdhsa_exception_int_div_zero 0
	.end_amdhsa_kernel
	.section	.text._ZN2at6native12_GLOBAL__N_125multi_tensor_apply_kernelINS1_18TensorListMetadataILi2EEENS1_24BinaryOpListAlphaFunctorIiLi2ELi2ELi0EEEJNS1_13power_functorIiEEiEEEvT_T0_DpT1_,"axG",@progbits,_ZN2at6native12_GLOBAL__N_125multi_tensor_apply_kernelINS1_18TensorListMetadataILi2EEENS1_24BinaryOpListAlphaFunctorIiLi2ELi2ELi0EEEJNS1_13power_functorIiEEiEEEvT_T0_DpT1_,comdat
.Lfunc_end134:
	.size	_ZN2at6native12_GLOBAL__N_125multi_tensor_apply_kernelINS1_18TensorListMetadataILi2EEENS1_24BinaryOpListAlphaFunctorIiLi2ELi2ELi0EEEJNS1_13power_functorIiEEiEEEvT_T0_DpT1_, .Lfunc_end134-_ZN2at6native12_GLOBAL__N_125multi_tensor_apply_kernelINS1_18TensorListMetadataILi2EEENS1_24BinaryOpListAlphaFunctorIiLi2ELi2ELi0EEEJNS1_13power_functorIiEEiEEEvT_T0_DpT1_
                                        ; -- End function
	.section	.AMDGPU.csdata,"",@progbits
; Kernel info:
; codeLenInByte = 3868
; NumSgprs: 25
; NumVgprs: 21
; ScratchSize: 0
; MemoryBound: 1
; FloatMode: 240
; IeeeMode: 1
; LDSByteSize: 0 bytes/workgroup (compile time only)
; SGPRBlocks: 3
; VGPRBlocks: 2
; NumSGPRsForWavesPerEU: 25
; NumVGPRsForWavesPerEU: 21
; Occupancy: 16
; WaveLimiterHint : 0
; COMPUTE_PGM_RSRC2:SCRATCH_EN: 0
; COMPUTE_PGM_RSRC2:USER_SGPR: 15
; COMPUTE_PGM_RSRC2:TRAP_HANDLER: 0
; COMPUTE_PGM_RSRC2:TGID_X_EN: 1
; COMPUTE_PGM_RSRC2:TGID_Y_EN: 0
; COMPUTE_PGM_RSRC2:TGID_Z_EN: 0
; COMPUTE_PGM_RSRC2:TIDIG_COMP_CNT: 0
	.section	.text._ZN2at6native12_GLOBAL__N_125multi_tensor_apply_kernelINS1_18TensorListMetadataILi2EEENS1_24BinaryOpListAlphaFunctorIlLi2ELi2ELi0EEEJNS1_13power_functorIlEElEEEvT_T0_DpT1_,"axG",@progbits,_ZN2at6native12_GLOBAL__N_125multi_tensor_apply_kernelINS1_18TensorListMetadataILi2EEENS1_24BinaryOpListAlphaFunctorIlLi2ELi2ELi0EEEJNS1_13power_functorIlEElEEEvT_T0_DpT1_,comdat
	.globl	_ZN2at6native12_GLOBAL__N_125multi_tensor_apply_kernelINS1_18TensorListMetadataILi2EEENS1_24BinaryOpListAlphaFunctorIlLi2ELi2ELi0EEEJNS1_13power_functorIlEElEEEvT_T0_DpT1_ ; -- Begin function _ZN2at6native12_GLOBAL__N_125multi_tensor_apply_kernelINS1_18TensorListMetadataILi2EEENS1_24BinaryOpListAlphaFunctorIlLi2ELi2ELi0EEEJNS1_13power_functorIlEElEEEvT_T0_DpT1_
	.p2align	8
	.type	_ZN2at6native12_GLOBAL__N_125multi_tensor_apply_kernelINS1_18TensorListMetadataILi2EEENS1_24BinaryOpListAlphaFunctorIlLi2ELi2ELi0EEEJNS1_13power_functorIlEElEEEvT_T0_DpT1_,@function
_ZN2at6native12_GLOBAL__N_125multi_tensor_apply_kernelINS1_18TensorListMetadataILi2EEENS1_24BinaryOpListAlphaFunctorIlLi2ELi2ELi0EEEJNS1_13power_functorIlEElEEEvT_T0_DpT1_: ; @_ZN2at6native12_GLOBAL__N_125multi_tensor_apply_kernelINS1_18TensorListMetadataILi2EEENS1_24BinaryOpListAlphaFunctorIlLi2ELi2ELi0EEEJNS1_13power_functorIlEElEEEvT_T0_DpT1_
; %bb.0:
	v_mov_b32_e32 v1, s15
	s_add_u32 s2, s0, s15
	s_mul_hi_u32 s3, s15, 3
	s_mul_i32 s15, s15, 3
	s_addc_u32 s4, s1, 0
	global_load_u8 v1, v1, s[0:1] offset:1536
	s_add_u32 s2, s2, s15
	s_addc_u32 s3, s4, s3
	s_mov_b32 s17, 0
	s_load_b32 s2, s[2:3], 0x740
	s_mov_b32 s19, s17
	s_waitcnt vmcnt(0)
	v_readfirstlane_b32 s3, v1
	s_delay_alu instid0(VALU_DEP_1)
	s_lshl_b32 s3, s3, 3
	s_clause 0x3
	s_load_b64 s[6:7], s[0:1], s3 offset:0x0
	s_load_b64 s[8:9], s[0:1], s3 offset:0x200
	;; [unrolled: 1-line block ×3, first 2 shown]
	s_load_b64 s[4:5], s[0:1], 0xc50
	s_waitcnt lgkmcnt(0)
	s_ashr_i32 s3, s2, 31
	s_delay_alu instid0(SALU_CYCLE_1) | instskip(NEXT) | instid1(SALU_CYCLE_1)
	s_lshl_b64 s[14:15], s[2:3], 19
	s_add_u32 s12, s6, s14
	s_addc_u32 s13, s7, s15
	s_and_b32 s16, s12, 31
	s_add_u32 s14, s8, s14
	s_addc_u32 s15, s9, s15
	s_and_b32 s18, s10, 3
	s_and_b32 s6, s14, 31
	s_mov_b32 s7, s17
	s_or_b64 s[8:9], s[16:17], s[18:19]
	s_lshl_b64 s[2:3], s[2:3], 16
	s_or_b64 s[8:9], s[6:7], s[8:9]
	s_sub_u32 s6, s10, s2
	s_subb_u32 s7, s11, s3
	s_cmp_eq_u64 s[8:9], 0
	s_mov_b32 s2, -1
	s_cbranch_scc0 .LBB135_69
; %bb.1:
	v_dual_mov_b32 v18, 0 :: v_dual_lshlrev_b32 v17, 2, v0
	s_mov_b32 s3, exec_lo
	s_delay_alu instid0(VALU_DEP_1)
	v_cmpx_gt_i64_e64 s[6:7], v[17:18]
	s_cbranch_execz .LBB135_68
; %bb.2:
	s_load_b32 s2, s[0:1], 0xc64
	v_mov_b32_e32 v1, v18
	s_mov_b32 s9, 0
	s_delay_alu instid0(VALU_DEP_1)
	v_dual_mov_b32 v20, v1 :: v_dual_mov_b32 v19, v0
	s_waitcnt lgkmcnt(0)
	s_and_b32 s8, s2, 0xffff
	s_branch .LBB135_5
.LBB135_3:                              ;   in Loop: Header=BB135_5 Depth=1
	s_or_b32 exec_lo, exec_lo, s11
	s_delay_alu instid0(VALU_DEP_1)
	v_dual_mov_b32 v12, v4 :: v_dual_mov_b32 v11, v3
.LBB135_4:                              ;   in Loop: Header=BB135_5 Depth=1
	s_or_b32 exec_lo, exec_lo, s2
	v_add_co_u32 v19, vcc_lo, v19, s8
	v_add_co_ci_u32_e32 v20, vcc_lo, 0, v20, vcc_lo
	s_clause 0x1
	global_store_b128 v[21:22], v[5:8], off
	global_store_b128 v[21:22], v[9:12], off offset:16
	v_lshlrev_b64 v[1:2], 2, v[19:20]
	s_delay_alu instid0(VALU_DEP_1) | instskip(SKIP_1) | instid1(VALU_DEP_1)
	v_cmp_le_i64_e32 vcc_lo, s[6:7], v[1:2]
	v_cmp_lt_u64_e64 s2, 0xffff, v[1:2]
	s_or_b32 s2, vcc_lo, s2
	s_delay_alu instid0(SALU_CYCLE_1) | instskip(NEXT) | instid1(SALU_CYCLE_1)
	s_and_b32 s2, exec_lo, s2
	s_or_b32 s9, s2, s9
	s_delay_alu instid0(SALU_CYCLE_1)
	s_and_not1_b32 exec_lo, exec_lo, s9
	s_cbranch_execz .LBB135_68
.LBB135_5:                              ; =>This Loop Header: Depth=1
                                        ;     Child Loop BB135_8 Depth 2
                                        ;     Child Loop BB135_21 Depth 2
	;; [unrolled: 1-line block ×4, first 2 shown]
	s_delay_alu instid0(VALU_DEP_1) | instskip(SKIP_1) | instid1(VALU_DEP_1)
	v_lshlrev_b64 v[1:2], 5, v[19:20]
	s_mov_b32 s2, exec_lo
	v_add_co_u32 v3, vcc_lo, s14, v1
	s_delay_alu instid0(VALU_DEP_2)
	v_add_co_ci_u32_e32 v4, vcc_lo, s15, v2, vcc_lo
	v_add_co_u32 v21, vcc_lo, s12, v1
	v_add_co_ci_u32_e32 v22, vcc_lo, s13, v2, vcc_lo
	s_clause 0x1
	global_load_b128 v[5:8], v[3:4], off
	global_load_b128 v[9:12], v[3:4], off offset:16
	s_clause 0x1
	global_load_b128 v[1:4], v[21:22], off offset:16
	global_load_b128 v[13:16], v[21:22], off
	s_waitcnt vmcnt(3)
	v_mul_lo_u32 v6, v6, s4
	v_mul_lo_u32 v17, v5, s5
	v_mad_u64_u32 v[23:24], null, v5, s4, 0
	s_delay_alu instid0(VALU_DEP_1) | instskip(NEXT) | instid1(VALU_DEP_1)
	v_add3_u32 v24, v24, v17, v6
                                        ; implicit-def: $vgpr5_vgpr6
	v_cmpx_lt_i64_e32 -1, v[23:24]
	s_xor_b32 s2, exec_lo, s2
	s_cbranch_execz .LBB135_11
; %bb.6:                                ;   in Loop: Header=BB135_5 Depth=1
	v_mov_b32_e32 v5, 1
	v_mov_b32_e32 v6, 0
	s_mov_b32 s10, exec_lo
	v_cmpx_ne_u64_e32 0, v[23:24]
	s_cbranch_execz .LBB135_10
; %bb.7:                                ;   in Loop: Header=BB135_5 Depth=1
	v_mov_b32_e32 v25, 1
	v_mov_b32_e32 v26, 0
	s_mov_b32 s11, 0
	.p2align	6
.LBB135_8:                              ;   Parent Loop BB135_5 Depth=1
                                        ; =>  This Inner Loop Header: Depth=2
	v_and_b32_e32 v5, 1, v23
	s_waitcnt vmcnt(0)
	v_mul_lo_u32 v17, v13, v14
	v_mad_u64_u32 v[27:28], null, v13, v13, 0
	s_delay_alu instid0(VALU_DEP_3) | instskip(SKIP_2) | instid1(VALU_DEP_4)
	v_cmp_eq_u32_e32 vcc_lo, 1, v5
	v_dual_cndmask_b32 v14, 0, v14 :: v_dual_cndmask_b32 v29, 1, v13
	v_cmp_gt_u64_e32 vcc_lo, 2, v[23:24]
	v_add3_u32 v28, v28, v17, v17
	s_delay_alu instid0(VALU_DEP_3) | instskip(NEXT) | instid1(VALU_DEP_4)
	v_mad_u64_u32 v[5:6], null, v29, v25, 0
	v_mul_lo_u32 v25, v14, v25
	v_lshrrev_b64 v[13:14], 1, v[23:24]
	s_or_b32 s11, vcc_lo, s11
	s_delay_alu instid0(VALU_DEP_1) | instskip(SKIP_1) | instid1(VALU_DEP_3)
	v_mov_b32_e32 v24, v14
	v_mul_lo_u32 v26, v29, v26
	v_mov_b32_e32 v23, v13
	s_delay_alu instid0(VALU_DEP_2) | instskip(SKIP_1) | instid1(VALU_DEP_2)
	v_add3_u32 v6, v6, v26, v25
	v_dual_mov_b32 v13, v27 :: v_dual_mov_b32 v14, v28
	v_dual_mov_b32 v26, v6 :: v_dual_mov_b32 v25, v5
	s_and_not1_b32 exec_lo, exec_lo, s11
	s_cbranch_execnz .LBB135_8
; %bb.9:                                ;   in Loop: Header=BB135_5 Depth=1
	s_or_b32 exec_lo, exec_lo, s11
.LBB135_10:                             ;   in Loop: Header=BB135_5 Depth=1
	s_delay_alu instid0(SALU_CYCLE_1)
	s_or_b32 exec_lo, exec_lo, s10
                                        ; implicit-def: $vgpr23_vgpr24
.LBB135_11:                             ;   in Loop: Header=BB135_5 Depth=1
	s_and_not1_saveexec_b32 s2, s2
	s_cbranch_execz .LBB135_18
; %bb.12:                               ;   in Loop: Header=BB135_5 Depth=1
	s_mov_b32 s10, 0
	s_mov_b32 s11, 0
	s_mov_b32 s16, exec_lo
	s_waitcnt vmcnt(0)
	v_cmpx_lt_i64_e32 0, v[13:14]
	s_xor_b32 s16, exec_lo, s16
	s_cbranch_execnz .LBB135_55
; %bb.13:                               ;   in Loop: Header=BB135_5 Depth=1
	s_and_not1_saveexec_b32 s16, s16
	s_cbranch_execnz .LBB135_56
.LBB135_14:                             ;   in Loop: Header=BB135_5 Depth=1
	s_or_b32 exec_lo, exec_lo, s16
	s_and_saveexec_b32 s16, s11
	s_delay_alu instid0(SALU_CYCLE_1)
	s_xor_b32 s11, exec_lo, s16
	s_cbranch_execnz .LBB135_57
.LBB135_15:                             ;   in Loop: Header=BB135_5 Depth=1
	s_or_b32 exec_lo, exec_lo, s11
	s_and_saveexec_b32 s11, s10
.LBB135_16:                             ;   in Loop: Header=BB135_5 Depth=1
	v_and_b32_e32 v17, 1, v23
	s_delay_alu instid0(VALU_DEP_1)
	v_cmp_eq_u64_e32 vcc_lo, 0, v[17:18]
	v_cndmask_b32_e64 v14, -1, 0, vcc_lo
	v_cndmask_b32_e64 v13, -1, 1, vcc_lo
.LBB135_17:                             ;   in Loop: Header=BB135_5 Depth=1
	s_or_b32 exec_lo, exec_lo, s11
	s_delay_alu instid0(VALU_DEP_1)
	v_dual_mov_b32 v5, v13 :: v_dual_mov_b32 v6, v14
.LBB135_18:                             ;   in Loop: Header=BB135_5 Depth=1
	s_or_b32 exec_lo, exec_lo, s2
	v_mul_lo_u32 v8, v8, s4
	v_mul_lo_u32 v17, v7, s5
	s_waitcnt vmcnt(0)
	v_mad_u64_u32 v[13:14], null, v7, s4, 0
	s_mov_b32 s2, exec_lo
	s_delay_alu instid0(VALU_DEP_1) | instskip(NEXT) | instid1(VALU_DEP_1)
	v_add3_u32 v14, v14, v17, v8
	v_cmpx_lt_i64_e32 -1, v[13:14]
	s_xor_b32 s2, exec_lo, s2
	s_cbranch_execz .LBB135_24
; %bb.19:                               ;   in Loop: Header=BB135_5 Depth=1
	v_mov_b32_e32 v7, 1
	v_mov_b32_e32 v8, 0
	s_mov_b32 s10, exec_lo
	v_cmpx_ne_u64_e32 0, v[13:14]
	s_cbranch_execz .LBB135_23
; %bb.20:                               ;   in Loop: Header=BB135_5 Depth=1
	v_mov_b32_e32 v23, 1
	v_mov_b32_e32 v24, 0
	s_mov_b32 s11, 0
	.p2align	6
.LBB135_21:                             ;   Parent Loop BB135_5 Depth=1
                                        ; =>  This Inner Loop Header: Depth=2
	v_and_b32_e32 v7, 1, v13
	v_mul_lo_u32 v25, v15, v16
	s_delay_alu instid0(VALU_DEP_2) | instskip(SKIP_3) | instid1(VALU_DEP_3)
	v_cmp_eq_u32_e32 vcc_lo, 1, v7
	v_dual_cndmask_b32 v26, 1, v15 :: v_dual_cndmask_b32 v27, 0, v16
	v_mad_u64_u32 v[16:17], null, v15, v15, 0
	v_cmp_gt_u64_e32 vcc_lo, 2, v[13:14]
	v_mul_lo_u32 v15, v26, v24
	v_mad_u64_u32 v[7:8], null, v26, v23, 0
	v_mul_lo_u32 v26, v27, v23
	v_lshrrev_b64 v[23:24], 1, v[13:14]
	v_add3_u32 v17, v17, v25, v25
	s_or_b32 s11, vcc_lo, s11
	s_delay_alu instid0(VALU_DEP_3) | instskip(SKIP_1) | instid1(VALU_DEP_3)
	v_add3_u32 v8, v8, v15, v26
	v_mov_b32_e32 v15, v16
	v_dual_mov_b32 v13, v23 :: v_dual_mov_b32 v16, v17
	v_mov_b32_e32 v14, v24
	s_delay_alu instid0(VALU_DEP_4)
	v_dual_mov_b32 v24, v8 :: v_dual_mov_b32 v23, v7
	s_and_not1_b32 exec_lo, exec_lo, s11
	s_cbranch_execnz .LBB135_21
; %bb.22:                               ;   in Loop: Header=BB135_5 Depth=1
	s_or_b32 exec_lo, exec_lo, s11
.LBB135_23:                             ;   in Loop: Header=BB135_5 Depth=1
	s_delay_alu instid0(SALU_CYCLE_1)
	s_or_b32 exec_lo, exec_lo, s10
                                        ; implicit-def: $vgpr13_vgpr14
                                        ; implicit-def: $vgpr15_vgpr16
.LBB135_24:                             ;   in Loop: Header=BB135_5 Depth=1
	s_and_not1_saveexec_b32 s2, s2
	s_cbranch_execz .LBB135_31
; %bb.25:                               ;   in Loop: Header=BB135_5 Depth=1
	s_mov_b32 s10, 0
	s_mov_b32 s11, 0
	s_mov_b32 s16, exec_lo
	v_cmpx_lt_i64_e32 0, v[15:16]
	s_xor_b32 s16, exec_lo, s16
	s_cbranch_execnz .LBB135_58
; %bb.26:                               ;   in Loop: Header=BB135_5 Depth=1
	s_and_not1_saveexec_b32 s16, s16
	s_cbranch_execnz .LBB135_59
.LBB135_27:                             ;   in Loop: Header=BB135_5 Depth=1
	s_or_b32 exec_lo, exec_lo, s16
	s_and_saveexec_b32 s16, s11
	s_delay_alu instid0(SALU_CYCLE_1)
	s_xor_b32 s11, exec_lo, s16
	s_cbranch_execnz .LBB135_60
.LBB135_28:                             ;   in Loop: Header=BB135_5 Depth=1
	s_or_b32 exec_lo, exec_lo, s11
	s_and_saveexec_b32 s11, s10
.LBB135_29:                             ;   in Loop: Header=BB135_5 Depth=1
	v_and_b32_e32 v17, 1, v13
	s_delay_alu instid0(VALU_DEP_1)
	v_cmp_eq_u64_e32 vcc_lo, 0, v[17:18]
	v_cndmask_b32_e64 v16, -1, 0, vcc_lo
	v_cndmask_b32_e64 v15, -1, 1, vcc_lo
.LBB135_30:                             ;   in Loop: Header=BB135_5 Depth=1
	s_or_b32 exec_lo, exec_lo, s11
	s_delay_alu instid0(VALU_DEP_1)
	v_dual_mov_b32 v7, v15 :: v_dual_mov_b32 v8, v16
.LBB135_31:                             ;   in Loop: Header=BB135_5 Depth=1
	s_or_b32 exec_lo, exec_lo, s2
	v_mul_lo_u32 v10, v10, s4
	v_mul_lo_u32 v15, v9, s5
	v_mad_u64_u32 v[13:14], null, v9, s4, 0
	s_mov_b32 s2, exec_lo
	s_delay_alu instid0(VALU_DEP_1) | instskip(NEXT) | instid1(VALU_DEP_1)
	v_add3_u32 v14, v14, v15, v10
                                        ; implicit-def: $vgpr9_vgpr10
	v_cmpx_lt_i64_e32 -1, v[13:14]
	s_xor_b32 s2, exec_lo, s2
	s_cbranch_execz .LBB135_37
; %bb.32:                               ;   in Loop: Header=BB135_5 Depth=1
	v_mov_b32_e32 v9, 1
	v_mov_b32_e32 v10, 0
	s_mov_b32 s10, exec_lo
	v_cmpx_ne_u64_e32 0, v[13:14]
	s_cbranch_execz .LBB135_36
; %bb.33:                               ;   in Loop: Header=BB135_5 Depth=1
	v_mov_b32_e32 v15, 1
	v_mov_b32_e32 v16, 0
	s_mov_b32 s11, 0
	.p2align	6
.LBB135_34:                             ;   Parent Loop BB135_5 Depth=1
                                        ; =>  This Inner Loop Header: Depth=2
	v_and_b32_e32 v9, 1, v13
	v_mul_lo_u32 v17, v1, v2
	v_mad_u64_u32 v[23:24], null, v1, v1, 0
	s_delay_alu instid0(VALU_DEP_3) | instskip(SKIP_2) | instid1(VALU_DEP_4)
	v_cmp_eq_u32_e32 vcc_lo, 1, v9
	v_dual_cndmask_b32 v2, 0, v2 :: v_dual_cndmask_b32 v25, 1, v1
	v_cmp_gt_u64_e32 vcc_lo, 2, v[13:14]
	v_add3_u32 v24, v24, v17, v17
	s_delay_alu instid0(VALU_DEP_3) | instskip(NEXT) | instid1(VALU_DEP_4)
	v_mad_u64_u32 v[9:10], null, v25, v15, 0
	v_mul_lo_u32 v15, v2, v15
	v_lshrrev_b64 v[1:2], 1, v[13:14]
	s_or_b32 s11, vcc_lo, s11
	s_delay_alu instid0(VALU_DEP_1) | instskip(SKIP_1) | instid1(VALU_DEP_3)
	v_mov_b32_e32 v14, v2
	v_mul_lo_u32 v16, v25, v16
	v_mov_b32_e32 v13, v1
	s_delay_alu instid0(VALU_DEP_2) | instskip(SKIP_1) | instid1(VALU_DEP_2)
	v_add3_u32 v10, v10, v16, v15
	v_dual_mov_b32 v1, v23 :: v_dual_mov_b32 v2, v24
	v_dual_mov_b32 v16, v10 :: v_dual_mov_b32 v15, v9
	s_and_not1_b32 exec_lo, exec_lo, s11
	s_cbranch_execnz .LBB135_34
; %bb.35:                               ;   in Loop: Header=BB135_5 Depth=1
	s_or_b32 exec_lo, exec_lo, s11
.LBB135_36:                             ;   in Loop: Header=BB135_5 Depth=1
	s_delay_alu instid0(SALU_CYCLE_1)
	s_or_b32 exec_lo, exec_lo, s10
                                        ; implicit-def: $vgpr13_vgpr14
.LBB135_37:                             ;   in Loop: Header=BB135_5 Depth=1
	s_and_not1_saveexec_b32 s2, s2
	s_cbranch_execz .LBB135_44
; %bb.38:                               ;   in Loop: Header=BB135_5 Depth=1
	s_mov_b32 s10, 0
	s_mov_b32 s11, 0
	s_mov_b32 s16, exec_lo
	v_cmpx_lt_i64_e32 0, v[1:2]
	s_xor_b32 s16, exec_lo, s16
	s_cbranch_execnz .LBB135_61
; %bb.39:                               ;   in Loop: Header=BB135_5 Depth=1
	s_and_not1_saveexec_b32 s16, s16
	s_cbranch_execnz .LBB135_62
.LBB135_40:                             ;   in Loop: Header=BB135_5 Depth=1
	s_or_b32 exec_lo, exec_lo, s16
	s_and_saveexec_b32 s16, s11
	s_delay_alu instid0(SALU_CYCLE_1)
	s_xor_b32 s11, exec_lo, s16
	s_cbranch_execnz .LBB135_63
.LBB135_41:                             ;   in Loop: Header=BB135_5 Depth=1
	s_or_b32 exec_lo, exec_lo, s11
	s_and_saveexec_b32 s11, s10
.LBB135_42:                             ;   in Loop: Header=BB135_5 Depth=1
	v_and_b32_e32 v17, 1, v13
	s_delay_alu instid0(VALU_DEP_1)
	v_cmp_eq_u64_e32 vcc_lo, 0, v[17:18]
	v_cndmask_b32_e64 v2, -1, 0, vcc_lo
	v_cndmask_b32_e64 v1, -1, 1, vcc_lo
.LBB135_43:                             ;   in Loop: Header=BB135_5 Depth=1
	s_or_b32 exec_lo, exec_lo, s11
	s_delay_alu instid0(VALU_DEP_1)
	v_dual_mov_b32 v10, v2 :: v_dual_mov_b32 v9, v1
.LBB135_44:                             ;   in Loop: Header=BB135_5 Depth=1
	s_or_b32 exec_lo, exec_lo, s2
	v_mul_lo_u32 v12, v12, s4
	v_mul_lo_u32 v13, v11, s5
	v_mad_u64_u32 v[1:2], null, v11, s4, 0
	s_mov_b32 s2, exec_lo
	s_delay_alu instid0(VALU_DEP_1) | instskip(NEXT) | instid1(VALU_DEP_1)
	v_add3_u32 v2, v2, v13, v12
	v_cmpx_lt_i64_e32 -1, v[1:2]
	s_xor_b32 s2, exec_lo, s2
	s_cbranch_execz .LBB135_50
; %bb.45:                               ;   in Loop: Header=BB135_5 Depth=1
	v_mov_b32_e32 v11, 1
	v_mov_b32_e32 v12, 0
	s_mov_b32 s10, exec_lo
	v_cmpx_ne_u64_e32 0, v[1:2]
	s_cbranch_execz .LBB135_49
; %bb.46:                               ;   in Loop: Header=BB135_5 Depth=1
	v_mov_b32_e32 v13, 1
	v_mov_b32_e32 v14, 0
	s_mov_b32 s11, 0
	.p2align	6
.LBB135_47:                             ;   Parent Loop BB135_5 Depth=1
                                        ; =>  This Inner Loop Header: Depth=2
	v_and_b32_e32 v11, 1, v1
	v_mul_lo_u32 v17, v3, v4
	v_mad_u64_u32 v[15:16], null, v3, v3, 0
	s_delay_alu instid0(VALU_DEP_3) | instskip(SKIP_1) | instid1(VALU_DEP_3)
	v_cmp_eq_u32_e32 vcc_lo, 1, v11
	v_dual_cndmask_b32 v4, 0, v4 :: v_dual_cndmask_b32 v23, 1, v3
	v_add3_u32 v16, v16, v17, v17
	v_cmp_gt_u64_e32 vcc_lo, 2, v[1:2]
	s_delay_alu instid0(VALU_DEP_3) | instskip(NEXT) | instid1(VALU_DEP_4)
	v_mad_u64_u32 v[11:12], null, v23, v13, 0
	v_mul_lo_u32 v13, v4, v13
	v_lshrrev_b64 v[3:4], 1, v[1:2]
	s_or_b32 s11, vcc_lo, s11
	s_delay_alu instid0(VALU_DEP_1) | instskip(SKIP_1) | instid1(VALU_DEP_1)
	v_dual_mov_b32 v1, v3 :: v_dual_mov_b32 v2, v4
	v_mul_lo_u32 v14, v23, v14
	v_add3_u32 v12, v12, v14, v13
	v_dual_mov_b32 v3, v15 :: v_dual_mov_b32 v4, v16
	s_delay_alu instid0(VALU_DEP_2)
	v_dual_mov_b32 v14, v12 :: v_dual_mov_b32 v13, v11
	s_and_not1_b32 exec_lo, exec_lo, s11
	s_cbranch_execnz .LBB135_47
; %bb.48:                               ;   in Loop: Header=BB135_5 Depth=1
	s_or_b32 exec_lo, exec_lo, s11
.LBB135_49:                             ;   in Loop: Header=BB135_5 Depth=1
	s_delay_alu instid0(SALU_CYCLE_1)
	s_or_b32 exec_lo, exec_lo, s10
                                        ; implicit-def: $vgpr1_vgpr2
                                        ; implicit-def: $vgpr3_vgpr4
.LBB135_50:                             ;   in Loop: Header=BB135_5 Depth=1
	s_and_not1_saveexec_b32 s2, s2
	s_cbranch_execz .LBB135_4
; %bb.51:                               ;   in Loop: Header=BB135_5 Depth=1
	s_mov_b32 s10, 0
	s_mov_b32 s11, 0
	s_mov_b32 s16, exec_lo
	v_cmpx_lt_i64_e32 0, v[3:4]
	s_xor_b32 s16, exec_lo, s16
	s_cbranch_execnz .LBB135_64
; %bb.52:                               ;   in Loop: Header=BB135_5 Depth=1
	s_and_not1_saveexec_b32 s16, s16
	s_cbranch_execnz .LBB135_65
.LBB135_53:                             ;   in Loop: Header=BB135_5 Depth=1
	s_or_b32 exec_lo, exec_lo, s16
	s_and_saveexec_b32 s16, s11
	s_delay_alu instid0(SALU_CYCLE_1)
	s_xor_b32 s11, exec_lo, s16
	s_cbranch_execnz .LBB135_66
.LBB135_54:                             ;   in Loop: Header=BB135_5 Depth=1
	s_or_b32 exec_lo, exec_lo, s11
	s_and_saveexec_b32 s11, s10
	s_cbranch_execz .LBB135_3
	s_branch .LBB135_67
.LBB135_55:                             ;   in Loop: Header=BB135_5 Depth=1
	v_cmp_ne_u64_e32 vcc_lo, 1, v[13:14]
	s_and_b32 s11, vcc_lo, exec_lo
	s_and_not1_saveexec_b32 s16, s16
	s_cbranch_execz .LBB135_14
.LBB135_56:                             ;   in Loop: Header=BB135_5 Depth=1
	v_cmp_ne_u64_e32 vcc_lo, -1, v[13:14]
	s_and_not1_b32 s11, s11, exec_lo
	s_mov_b32 s10, exec_lo
	s_and_b32 s17, vcc_lo, exec_lo
	s_delay_alu instid0(SALU_CYCLE_1) | instskip(SKIP_2) | instid1(SALU_CYCLE_1)
	s_or_b32 s11, s11, s17
	s_or_b32 exec_lo, exec_lo, s16
	s_and_saveexec_b32 s16, s11
	s_xor_b32 s11, exec_lo, s16
	s_cbranch_execz .LBB135_15
.LBB135_57:                             ;   in Loop: Header=BB135_5 Depth=1
	v_mov_b32_e32 v13, 0
	v_mov_b32_e32 v14, 0
	s_and_not1_b32 s10, s10, exec_lo
	s_or_b32 exec_lo, exec_lo, s11
	s_and_saveexec_b32 s11, s10
	s_cbranch_execnz .LBB135_16
	s_branch .LBB135_17
.LBB135_58:                             ;   in Loop: Header=BB135_5 Depth=1
	v_cmp_ne_u64_e32 vcc_lo, 1, v[15:16]
	s_and_b32 s11, vcc_lo, exec_lo
	s_and_not1_saveexec_b32 s16, s16
	s_cbranch_execz .LBB135_27
.LBB135_59:                             ;   in Loop: Header=BB135_5 Depth=1
	v_cmp_ne_u64_e32 vcc_lo, -1, v[15:16]
	s_and_not1_b32 s11, s11, exec_lo
	s_mov_b32 s10, exec_lo
                                        ; implicit-def: $vgpr15_vgpr16
	s_and_b32 s17, vcc_lo, exec_lo
	s_delay_alu instid0(SALU_CYCLE_1) | instskip(SKIP_2) | instid1(SALU_CYCLE_1)
	s_or_b32 s11, s11, s17
	s_or_b32 exec_lo, exec_lo, s16
	s_and_saveexec_b32 s16, s11
	s_xor_b32 s11, exec_lo, s16
	s_cbranch_execz .LBB135_28
.LBB135_60:                             ;   in Loop: Header=BB135_5 Depth=1
	v_mov_b32_e32 v15, 0
	v_mov_b32_e32 v16, 0
	s_and_not1_b32 s10, s10, exec_lo
	s_or_b32 exec_lo, exec_lo, s11
	s_and_saveexec_b32 s11, s10
	s_cbranch_execnz .LBB135_29
	s_branch .LBB135_30
.LBB135_61:                             ;   in Loop: Header=BB135_5 Depth=1
	v_cmp_ne_u64_e32 vcc_lo, 1, v[1:2]
	s_and_b32 s11, vcc_lo, exec_lo
	s_and_not1_saveexec_b32 s16, s16
	s_cbranch_execz .LBB135_40
.LBB135_62:                             ;   in Loop: Header=BB135_5 Depth=1
	v_cmp_ne_u64_e32 vcc_lo, -1, v[1:2]
	s_and_not1_b32 s11, s11, exec_lo
	s_mov_b32 s10, exec_lo
	s_and_b32 s17, vcc_lo, exec_lo
	s_delay_alu instid0(SALU_CYCLE_1) | instskip(SKIP_2) | instid1(SALU_CYCLE_1)
	s_or_b32 s11, s11, s17
	s_or_b32 exec_lo, exec_lo, s16
	s_and_saveexec_b32 s16, s11
	s_xor_b32 s11, exec_lo, s16
	s_cbranch_execz .LBB135_41
.LBB135_63:                             ;   in Loop: Header=BB135_5 Depth=1
	v_mov_b32_e32 v1, 0
	v_mov_b32_e32 v2, 0
	s_and_not1_b32 s10, s10, exec_lo
	s_or_b32 exec_lo, exec_lo, s11
	s_and_saveexec_b32 s11, s10
	s_cbranch_execnz .LBB135_42
	s_branch .LBB135_43
.LBB135_64:                             ;   in Loop: Header=BB135_5 Depth=1
	v_cmp_ne_u64_e32 vcc_lo, 1, v[3:4]
	s_and_b32 s11, vcc_lo, exec_lo
	s_and_not1_saveexec_b32 s16, s16
	s_cbranch_execz .LBB135_53
.LBB135_65:                             ;   in Loop: Header=BB135_5 Depth=1
	v_cmp_ne_u64_e32 vcc_lo, -1, v[3:4]
	s_and_not1_b32 s11, s11, exec_lo
	s_mov_b32 s10, exec_lo
                                        ; implicit-def: $vgpr3_vgpr4
	s_and_b32 s17, vcc_lo, exec_lo
	s_delay_alu instid0(SALU_CYCLE_1) | instskip(SKIP_2) | instid1(SALU_CYCLE_1)
	s_or_b32 s11, s11, s17
	s_or_b32 exec_lo, exec_lo, s16
	s_and_saveexec_b32 s16, s11
	s_xor_b32 s11, exec_lo, s16
	s_cbranch_execz .LBB135_54
.LBB135_66:                             ;   in Loop: Header=BB135_5 Depth=1
	v_mov_b32_e32 v3, 0
	v_mov_b32_e32 v4, 0
	s_and_not1_b32 s10, s10, exec_lo
	s_or_b32 exec_lo, exec_lo, s11
	s_and_saveexec_b32 s11, s10
	s_cbranch_execz .LBB135_3
.LBB135_67:                             ;   in Loop: Header=BB135_5 Depth=1
	v_and_b32_e32 v17, 1, v1
	s_delay_alu instid0(VALU_DEP_1)
	v_cmp_eq_u64_e32 vcc_lo, 0, v[17:18]
	v_cndmask_b32_e64 v4, -1, 0, vcc_lo
	v_cndmask_b32_e64 v3, -1, 1, vcc_lo
	s_branch .LBB135_3
.LBB135_68:
	s_or_b32 exec_lo, exec_lo, s3
	s_mov_b32 s2, 0
.LBB135_69:
	s_delay_alu instid0(SALU_CYCLE_1)
	s_and_not1_b32 vcc_lo, exec_lo, s2
	s_cbranch_vccnz .LBB135_153
; %bb.70:
	v_cmp_lt_i64_e64 s2, s[6:7], 1
	s_delay_alu instid0(VALU_DEP_1)
	s_and_b32 vcc_lo, exec_lo, s2
	s_cbranch_vccnz .LBB135_153
; %bb.71:
	s_load_b32 s0, s[0:1], 0xc64
	v_cmp_gt_u64_e64 s1, 0x10000, s[6:7]
	v_mov_b32_e32 v2, 0
	s_mov_b64 s[10:11], 0
	s_waitcnt lgkmcnt(0)
	s_and_b32 s16, s0, 0xffff
	s_delay_alu instid0(VALU_DEP_2)
	s_and_b32 s0, s1, exec_lo
	s_cselect_b32 s9, s7, 0
	s_cselect_b32 s8, s6, 0x10000
	s_lshl_b32 s17, s16, 1
	s_mul_i32 s18, s16, 3
	s_lshl_b32 s19, s16, 2
	s_branch .LBB135_73
.LBB135_72:                             ;   in Loop: Header=BB135_73 Depth=1
	s_or_b32 exec_lo, exec_lo, s0
	s_add_u32 s10, s10, s19
	s_addc_u32 s11, s11, 0
	s_delay_alu instid0(SALU_CYCLE_1) | instskip(SKIP_1) | instid1(VALU_DEP_1)
	v_cmp_ge_i64_e64 s0, s[10:11], s[6:7]
	v_cmp_lt_u64_e64 s1, 0xffff, s[10:11]
	s_or_b32 s0, s0, s1
	s_delay_alu instid0(SALU_CYCLE_1)
	s_and_b32 vcc_lo, exec_lo, s0
	s_cbranch_vccnz .LBB135_153
.LBB135_73:                             ; =>This Loop Header: Depth=1
                                        ;     Child Loop BB135_84 Depth 2
                                        ;     Child Loop BB135_97 Depth 2
	;; [unrolled: 1-line block ×4, first 2 shown]
	v_add_co_u32 v9, s0, s10, v0
	s_delay_alu instid0(VALU_DEP_1) | instskip(SKIP_2) | instid1(VALU_DEP_2)
	v_add_co_ci_u32_e64 v10, null, s11, 0, s0
	v_mov_b32_e32 v21, 0
	v_mov_b32_e32 v22, 0
	;; [unrolled: 1-line block ×3, first 2 shown]
	s_delay_alu instid0(VALU_DEP_4) | instskip(SKIP_1) | instid1(VALU_DEP_4)
	v_cmp_gt_u64_e32 vcc_lo, s[8:9], v[9:10]
	v_lshlrev_b64 v[3:4], 3, v[9:10]
	v_mov_b32_e32 v14, v22
	v_dual_mov_b32 v26, v22 :: v_dual_mov_b32 v25, v21
	s_and_saveexec_b32 s1, vcc_lo
	s_cbranch_execz .LBB135_75
; %bb.74:                               ;   in Loop: Header=BB135_73 Depth=1
	s_delay_alu instid0(VALU_DEP_3) | instskip(NEXT) | instid1(VALU_DEP_1)
	v_add_co_u32 v5, s0, s12, v3
	v_add_co_ci_u32_e64 v6, s0, s13, v4, s0
	v_add_co_u32 v7, s0, s14, v3
	s_delay_alu instid0(VALU_DEP_1)
	v_add_co_ci_u32_e64 v8, s0, s15, v4, s0
	global_load_b64 v[25:26], v[5:6], off
	global_load_b64 v[13:14], v[7:8], off
.LBB135_75:                             ;   in Loop: Header=BB135_73 Depth=1
	s_or_b32 exec_lo, exec_lo, s1
	v_add_co_u32 v5, s0, v9, s16
	s_delay_alu instid0(VALU_DEP_1) | instskip(SKIP_1) | instid1(VALU_DEP_2)
	v_add_co_ci_u32_e64 v6, s0, 0, v10, s0
	v_dual_mov_b32 v19, v21 :: v_dual_mov_b32 v20, v22
	v_cmp_gt_u64_e64 s0, s[8:9], v[5:6]
	v_lshlrev_b64 v[5:6], 3, v[5:6]
	s_delay_alu instid0(VALU_DEP_2)
	s_and_saveexec_b32 s2, s0
	s_cbranch_execz .LBB135_77
; %bb.76:                               ;   in Loop: Header=BB135_73 Depth=1
	s_delay_alu instid0(VALU_DEP_1) | instskip(NEXT) | instid1(VALU_DEP_1)
	v_add_co_u32 v7, s1, s12, v5
	v_add_co_ci_u32_e64 v8, s1, s13, v6, s1
	v_add_co_u32 v11, s1, s14, v5
	s_delay_alu instid0(VALU_DEP_1)
	v_add_co_ci_u32_e64 v12, s1, s15, v6, s1
	global_load_b64 v[21:22], v[7:8], off
	global_load_b64 v[19:20], v[11:12], off
.LBB135_77:                             ;   in Loop: Header=BB135_73 Depth=1
	s_or_b32 exec_lo, exec_lo, s2
	v_add_co_u32 v7, s1, v9, s17
	s_delay_alu instid0(VALU_DEP_1) | instskip(SKIP_2) | instid1(VALU_DEP_3)
	v_add_co_ci_u32_e64 v8, s1, 0, v10, s1
	v_mov_b32_e32 v11, 0
	v_mov_b32_e32 v12, 0
	v_cmp_gt_u64_e64 s1, s[8:9], v[7:8]
	v_lshlrev_b64 v[7:8], 3, v[7:8]
	s_delay_alu instid0(VALU_DEP_3) | instskip(SKIP_1) | instid1(VALU_DEP_4)
	v_dual_mov_b32 v18, v12 :: v_dual_mov_b32 v17, v11
	v_dual_mov_b32 v24, v12 :: v_dual_mov_b32 v23, v11
	s_and_saveexec_b32 s3, s1
	s_cbranch_execz .LBB135_79
; %bb.78:                               ;   in Loop: Header=BB135_73 Depth=1
	s_delay_alu instid0(VALU_DEP_3) | instskip(NEXT) | instid1(VALU_DEP_1)
	v_add_co_u32 v15, s2, s12, v7
	v_add_co_ci_u32_e64 v16, s2, s13, v8, s2
	v_add_co_u32 v23, s2, s14, v7
	s_delay_alu instid0(VALU_DEP_1)
	v_add_co_ci_u32_e64 v24, s2, s15, v8, s2
	global_load_b64 v[17:18], v[15:16], off
	global_load_b64 v[23:24], v[23:24], off
.LBB135_79:                             ;   in Loop: Header=BB135_73 Depth=1
	s_or_b32 exec_lo, exec_lo, s3
	v_add_co_u32 v9, s2, v9, s18
	s_delay_alu instid0(VALU_DEP_1) | instskip(SKIP_1) | instid1(VALU_DEP_2)
	v_add_co_ci_u32_e64 v10, s2, 0, v10, s2
	v_dual_mov_b32 v16, v12 :: v_dual_mov_b32 v15, v11
	v_cmp_gt_u64_e64 s2, s[8:9], v[9:10]
	v_lshlrev_b64 v[9:10], 3, v[9:10]
	s_delay_alu instid0(VALU_DEP_2)
	s_and_saveexec_b32 s20, s2
	s_cbranch_execz .LBB135_81
; %bb.80:                               ;   in Loop: Header=BB135_73 Depth=1
	s_delay_alu instid0(VALU_DEP_1) | instskip(NEXT) | instid1(VALU_DEP_1)
	v_add_co_u32 v11, s3, s12, v9
	v_add_co_ci_u32_e64 v12, s3, s13, v10, s3
	v_add_co_u32 v15, s3, s14, v9
	s_delay_alu instid0(VALU_DEP_1)
	v_add_co_ci_u32_e64 v16, s3, s15, v10, s3
	global_load_b64 v[11:12], v[11:12], off
	global_load_b64 v[15:16], v[15:16], off
.LBB135_81:                             ;   in Loop: Header=BB135_73 Depth=1
	s_or_b32 exec_lo, exec_lo, s20
	s_waitcnt vmcnt(0)
	v_mul_lo_u32 v1, v14, s4
	v_mul_lo_u32 v14, v13, s5
	v_mad_u64_u32 v[27:28], null, v13, s4, 0
	s_mov_b32 s20, exec_lo
	s_delay_alu instid0(VALU_DEP_1) | instskip(NEXT) | instid1(VALU_DEP_1)
	v_add3_u32 v28, v28, v14, v1
                                        ; implicit-def: $vgpr13_vgpr14
	v_cmpx_lt_i64_e32 -1, v[27:28]
	s_xor_b32 s20, exec_lo, s20
	s_cbranch_execz .LBB135_87
; %bb.82:                               ;   in Loop: Header=BB135_73 Depth=1
	v_mov_b32_e32 v13, 1
	v_mov_b32_e32 v14, 0
	s_mov_b32 s21, exec_lo
	v_cmpx_ne_u64_e32 0, v[27:28]
	s_cbranch_execz .LBB135_86
; %bb.83:                               ;   in Loop: Header=BB135_73 Depth=1
	v_mov_b32_e32 v29, 1
	v_mov_b32_e32 v30, 0
	s_mov_b32 s22, 0
	s_set_inst_prefetch_distance 0x1
	.p2align	6
.LBB135_84:                             ;   Parent Loop BB135_73 Depth=1
                                        ; =>  This Inner Loop Header: Depth=2
	v_and_b32_e32 v1, 1, v27
	v_mad_u64_u32 v[31:32], null, v25, v25, 0
	s_delay_alu instid0(VALU_DEP_2) | instskip(SKIP_1) | instid1(VALU_DEP_2)
	v_cmp_eq_u32_e64 s3, 1, v1
	v_mul_lo_u32 v1, v25, v26
	v_cndmask_b32_e64 v33, 1, v25, s3
	v_cndmask_b32_e64 v26, 0, v26, s3
	v_cmp_gt_u64_e64 s3, 2, v[27:28]
	s_delay_alu instid0(VALU_DEP_4) | instskip(NEXT) | instid1(VALU_DEP_4)
	v_add3_u32 v32, v32, v1, v1
	v_mul_lo_u32 v30, v33, v30
	v_mad_u64_u32 v[13:14], null, v33, v29, 0
	v_mul_lo_u32 v29, v26, v29
	v_lshrrev_b64 v[25:26], 1, v[27:28]
	s_or_b32 s22, s3, s22
	s_delay_alu instid0(VALU_DEP_1) | instskip(NEXT) | instid1(VALU_DEP_3)
	v_mov_b32_e32 v28, v26
	v_add3_u32 v14, v14, v30, v29
	s_delay_alu instid0(VALU_DEP_3) | instskip(SKIP_1) | instid1(VALU_DEP_3)
	v_mov_b32_e32 v27, v25
	v_dual_mov_b32 v25, v31 :: v_dual_mov_b32 v26, v32
	v_dual_mov_b32 v30, v14 :: v_dual_mov_b32 v29, v13
	s_and_not1_b32 exec_lo, exec_lo, s22
	s_cbranch_execnz .LBB135_84
; %bb.85:                               ;   in Loop: Header=BB135_73 Depth=1
	s_set_inst_prefetch_distance 0x2
	s_or_b32 exec_lo, exec_lo, s22
.LBB135_86:                             ;   in Loop: Header=BB135_73 Depth=1
	s_delay_alu instid0(SALU_CYCLE_1)
	s_or_b32 exec_lo, exec_lo, s21
                                        ; implicit-def: $vgpr27_vgpr28
                                        ; implicit-def: $vgpr25_vgpr26
.LBB135_87:                             ;   in Loop: Header=BB135_73 Depth=1
	s_and_not1_saveexec_b32 s20, s20
	s_cbranch_execz .LBB135_94
; %bb.88:                               ;   in Loop: Header=BB135_73 Depth=1
	s_mov_b32 s21, 0
	s_mov_b32 s22, 0
	s_mov_b32 s23, exec_lo
	v_cmpx_lt_i64_e32 0, v[25:26]
	s_xor_b32 s23, exec_lo, s23
	s_cbranch_execnz .LBB135_141
; %bb.89:                               ;   in Loop: Header=BB135_73 Depth=1
	s_and_not1_saveexec_b32 s23, s23
	s_cbranch_execnz .LBB135_142
.LBB135_90:                             ;   in Loop: Header=BB135_73 Depth=1
	s_or_b32 exec_lo, exec_lo, s23
	s_and_saveexec_b32 s3, s22
	s_delay_alu instid0(SALU_CYCLE_1)
	s_xor_b32 s3, exec_lo, s3
	s_cbranch_execnz .LBB135_143
.LBB135_91:                             ;   in Loop: Header=BB135_73 Depth=1
	s_or_b32 exec_lo, exec_lo, s3
	s_and_saveexec_b32 s22, s21
.LBB135_92:                             ;   in Loop: Header=BB135_73 Depth=1
	v_and_b32_e32 v1, 1, v27
	s_delay_alu instid0(VALU_DEP_1) | instskip(NEXT) | instid1(VALU_DEP_1)
	v_cmp_eq_u64_e64 s3, 0, v[1:2]
	v_cndmask_b32_e64 v26, -1, 0, s3
	v_cndmask_b32_e64 v25, -1, 1, s3
.LBB135_93:                             ;   in Loop: Header=BB135_73 Depth=1
	s_or_b32 exec_lo, exec_lo, s22
	s_delay_alu instid0(VALU_DEP_1)
	v_dual_mov_b32 v13, v25 :: v_dual_mov_b32 v14, v26
.LBB135_94:                             ;   in Loop: Header=BB135_73 Depth=1
	s_or_b32 exec_lo, exec_lo, s20
	v_mul_lo_u32 v1, v20, s4
	v_mul_lo_u32 v20, v19, s5
	v_mad_u64_u32 v[25:26], null, v19, s4, 0
	s_mov_b32 s20, exec_lo
	s_delay_alu instid0(VALU_DEP_1) | instskip(NEXT) | instid1(VALU_DEP_1)
	v_add3_u32 v26, v26, v20, v1
                                        ; implicit-def: $vgpr19_vgpr20
	v_cmpx_lt_i64_e32 -1, v[25:26]
	s_xor_b32 s20, exec_lo, s20
	s_cbranch_execz .LBB135_100
; %bb.95:                               ;   in Loop: Header=BB135_73 Depth=1
	v_mov_b32_e32 v19, 1
	v_mov_b32_e32 v20, 0
	s_mov_b32 s21, exec_lo
	v_cmpx_ne_u64_e32 0, v[25:26]
	s_cbranch_execz .LBB135_99
; %bb.96:                               ;   in Loop: Header=BB135_73 Depth=1
	v_mov_b32_e32 v27, 1
	v_mov_b32_e32 v28, 0
	s_mov_b32 s22, 0
	s_set_inst_prefetch_distance 0x1
	.p2align	6
.LBB135_97:                             ;   Parent Loop BB135_73 Depth=1
                                        ; =>  This Inner Loop Header: Depth=2
	v_and_b32_e32 v1, 1, v25
	v_mad_u64_u32 v[29:30], null, v21, v21, 0
	s_delay_alu instid0(VALU_DEP_2) | instskip(SKIP_1) | instid1(VALU_DEP_2)
	v_cmp_eq_u32_e64 s3, 1, v1
	v_mul_lo_u32 v1, v21, v22
	v_cndmask_b32_e64 v31, 1, v21, s3
	v_cndmask_b32_e64 v22, 0, v22, s3
	v_cmp_gt_u64_e64 s3, 2, v[25:26]
	s_delay_alu instid0(VALU_DEP_4) | instskip(NEXT) | instid1(VALU_DEP_4)
	v_add3_u32 v30, v30, v1, v1
	v_mul_lo_u32 v28, v31, v28
	v_mad_u64_u32 v[19:20], null, v31, v27, 0
	v_mul_lo_u32 v27, v22, v27
	v_lshrrev_b64 v[21:22], 1, v[25:26]
	s_or_b32 s22, s3, s22
	s_delay_alu instid0(VALU_DEP_1) | instskip(NEXT) | instid1(VALU_DEP_3)
	v_mov_b32_e32 v26, v22
	v_add3_u32 v20, v20, v28, v27
	s_delay_alu instid0(VALU_DEP_3) | instskip(SKIP_1) | instid1(VALU_DEP_3)
	v_mov_b32_e32 v25, v21
	v_dual_mov_b32 v21, v29 :: v_dual_mov_b32 v22, v30
	v_dual_mov_b32 v28, v20 :: v_dual_mov_b32 v27, v19
	s_and_not1_b32 exec_lo, exec_lo, s22
	s_cbranch_execnz .LBB135_97
; %bb.98:                               ;   in Loop: Header=BB135_73 Depth=1
	s_set_inst_prefetch_distance 0x2
	s_or_b32 exec_lo, exec_lo, s22
.LBB135_99:                             ;   in Loop: Header=BB135_73 Depth=1
	s_delay_alu instid0(SALU_CYCLE_1)
	s_or_b32 exec_lo, exec_lo, s21
                                        ; implicit-def: $vgpr25_vgpr26
                                        ; implicit-def: $vgpr21_vgpr22
.LBB135_100:                            ;   in Loop: Header=BB135_73 Depth=1
	s_and_not1_saveexec_b32 s20, s20
	s_cbranch_execz .LBB135_107
; %bb.101:                              ;   in Loop: Header=BB135_73 Depth=1
	s_mov_b32 s21, 0
	s_mov_b32 s22, 0
	s_mov_b32 s23, exec_lo
	v_cmpx_lt_i64_e32 0, v[21:22]
	s_xor_b32 s23, exec_lo, s23
	s_cbranch_execnz .LBB135_144
; %bb.102:                              ;   in Loop: Header=BB135_73 Depth=1
	s_and_not1_saveexec_b32 s23, s23
	s_cbranch_execnz .LBB135_145
.LBB135_103:                            ;   in Loop: Header=BB135_73 Depth=1
	s_or_b32 exec_lo, exec_lo, s23
	s_and_saveexec_b32 s3, s22
	s_delay_alu instid0(SALU_CYCLE_1)
	s_xor_b32 s3, exec_lo, s3
	s_cbranch_execnz .LBB135_146
.LBB135_104:                            ;   in Loop: Header=BB135_73 Depth=1
	s_or_b32 exec_lo, exec_lo, s3
	s_and_saveexec_b32 s22, s21
.LBB135_105:                            ;   in Loop: Header=BB135_73 Depth=1
	v_and_b32_e32 v1, 1, v25
	s_delay_alu instid0(VALU_DEP_1) | instskip(NEXT) | instid1(VALU_DEP_1)
	v_cmp_eq_u64_e64 s3, 0, v[1:2]
	v_cndmask_b32_e64 v22, -1, 0, s3
	v_cndmask_b32_e64 v21, -1, 1, s3
.LBB135_106:                            ;   in Loop: Header=BB135_73 Depth=1
	s_or_b32 exec_lo, exec_lo, s22
	s_delay_alu instid0(VALU_DEP_1)
	v_dual_mov_b32 v19, v21 :: v_dual_mov_b32 v20, v22
.LBB135_107:                            ;   in Loop: Header=BB135_73 Depth=1
	s_or_b32 exec_lo, exec_lo, s20
	v_mul_lo_u32 v1, v24, s4
	v_mul_lo_u32 v21, v23, s5
	v_mad_u64_u32 v[24:25], null, v23, s4, 0
	s_mov_b32 s20, exec_lo
	s_delay_alu instid0(VALU_DEP_1) | instskip(NEXT) | instid1(VALU_DEP_1)
	v_add3_u32 v25, v25, v21, v1
                                        ; implicit-def: $vgpr21_vgpr22
	v_cmpx_lt_i64_e32 -1, v[24:25]
	s_xor_b32 s20, exec_lo, s20
	s_cbranch_execz .LBB135_113
; %bb.108:                              ;   in Loop: Header=BB135_73 Depth=1
	v_mov_b32_e32 v21, 1
	v_mov_b32_e32 v22, 0
	s_mov_b32 s21, exec_lo
	v_cmpx_ne_u64_e32 0, v[24:25]
	s_cbranch_execz .LBB135_112
; %bb.109:                              ;   in Loop: Header=BB135_73 Depth=1
	v_mov_b32_e32 v26, 1
	v_mov_b32_e32 v27, 0
	s_mov_b32 s22, 0
	s_set_inst_prefetch_distance 0x1
	.p2align	6
.LBB135_110:                            ;   Parent Loop BB135_73 Depth=1
                                        ; =>  This Inner Loop Header: Depth=2
	v_and_b32_e32 v1, 1, v24
	v_mad_u64_u32 v[28:29], null, v17, v17, 0
	s_delay_alu instid0(VALU_DEP_2) | instskip(SKIP_1) | instid1(VALU_DEP_2)
	v_cmp_eq_u32_e64 s3, 1, v1
	v_mul_lo_u32 v1, v17, v18
	v_cndmask_b32_e64 v23, 1, v17, s3
	v_cndmask_b32_e64 v18, 0, v18, s3
	v_cmp_gt_u64_e64 s3, 2, v[24:25]
	s_delay_alu instid0(VALU_DEP_4) | instskip(NEXT) | instid1(VALU_DEP_4)
	v_add3_u32 v29, v29, v1, v1
	v_mul_lo_u32 v27, v23, v27
	v_mad_u64_u32 v[21:22], null, v23, v26, 0
	v_mul_lo_u32 v23, v18, v26
	v_lshrrev_b64 v[17:18], 1, v[24:25]
	s_or_b32 s22, s3, s22
	s_delay_alu instid0(VALU_DEP_1) | instskip(NEXT) | instid1(VALU_DEP_3)
	v_mov_b32_e32 v25, v18
	v_add3_u32 v22, v22, v27, v23
	s_delay_alu instid0(VALU_DEP_3) | instskip(NEXT) | instid1(VALU_DEP_2)
	v_dual_mov_b32 v24, v17 :: v_dual_mov_b32 v17, v28
	v_dual_mov_b32 v18, v29 :: v_dual_mov_b32 v27, v22
	v_mov_b32_e32 v26, v21
	s_and_not1_b32 exec_lo, exec_lo, s22
	s_cbranch_execnz .LBB135_110
; %bb.111:                              ;   in Loop: Header=BB135_73 Depth=1
	s_set_inst_prefetch_distance 0x2
	s_or_b32 exec_lo, exec_lo, s22
.LBB135_112:                            ;   in Loop: Header=BB135_73 Depth=1
	s_delay_alu instid0(SALU_CYCLE_1)
	s_or_b32 exec_lo, exec_lo, s21
                                        ; implicit-def: $vgpr24_vgpr25
                                        ; implicit-def: $vgpr17_vgpr18
.LBB135_113:                            ;   in Loop: Header=BB135_73 Depth=1
	s_and_not1_saveexec_b32 s20, s20
	s_cbranch_execz .LBB135_120
; %bb.114:                              ;   in Loop: Header=BB135_73 Depth=1
	s_mov_b32 s21, 0
	s_mov_b32 s22, 0
	s_mov_b32 s23, exec_lo
	v_cmpx_lt_i64_e32 0, v[17:18]
	s_xor_b32 s23, exec_lo, s23
	s_cbranch_execnz .LBB135_147
; %bb.115:                              ;   in Loop: Header=BB135_73 Depth=1
	s_and_not1_saveexec_b32 s23, s23
	s_cbranch_execnz .LBB135_148
.LBB135_116:                            ;   in Loop: Header=BB135_73 Depth=1
	s_or_b32 exec_lo, exec_lo, s23
	s_and_saveexec_b32 s3, s22
	s_delay_alu instid0(SALU_CYCLE_1)
	s_xor_b32 s3, exec_lo, s3
	s_cbranch_execnz .LBB135_149
.LBB135_117:                            ;   in Loop: Header=BB135_73 Depth=1
	s_or_b32 exec_lo, exec_lo, s3
	s_and_saveexec_b32 s22, s21
.LBB135_118:                            ;   in Loop: Header=BB135_73 Depth=1
	v_and_b32_e32 v1, 1, v24
	s_delay_alu instid0(VALU_DEP_1) | instskip(NEXT) | instid1(VALU_DEP_1)
	v_cmp_eq_u64_e64 s3, 0, v[1:2]
	v_cndmask_b32_e64 v18, -1, 0, s3
	v_cndmask_b32_e64 v17, -1, 1, s3
.LBB135_119:                            ;   in Loop: Header=BB135_73 Depth=1
	s_or_b32 exec_lo, exec_lo, s22
	s_delay_alu instid0(VALU_DEP_1)
	v_dual_mov_b32 v22, v18 :: v_dual_mov_b32 v21, v17
.LBB135_120:                            ;   in Loop: Header=BB135_73 Depth=1
	s_or_b32 exec_lo, exec_lo, s20
	v_mul_lo_u32 v1, v16, s4
	v_mul_lo_u32 v18, v15, s5
	v_mad_u64_u32 v[16:17], null, v15, s4, 0
	s_mov_b32 s20, exec_lo
                                        ; implicit-def: $vgpr23_vgpr24
	s_delay_alu instid0(VALU_DEP_1) | instskip(NEXT) | instid1(VALU_DEP_1)
	v_add3_u32 v17, v17, v18, v1
	v_cmpx_lt_i64_e32 -1, v[16:17]
	s_xor_b32 s20, exec_lo, s20
	s_cbranch_execnz .LBB135_126
; %bb.121:                              ;   in Loop: Header=BB135_73 Depth=1
	s_and_not1_saveexec_b32 s20, s20
	s_cbranch_execnz .LBB135_131
.LBB135_122:                            ;   in Loop: Header=BB135_73 Depth=1
	s_or_b32 exec_lo, exec_lo, s20
	s_and_saveexec_b32 s3, vcc_lo
	s_delay_alu instid0(SALU_CYCLE_1)
	s_xor_b32 s3, exec_lo, s3
	s_cbranch_execnz .LBB135_137
.LBB135_123:                            ;   in Loop: Header=BB135_73 Depth=1
	s_or_b32 exec_lo, exec_lo, s3
	s_and_saveexec_b32 s3, s0
	s_cbranch_execnz .LBB135_138
.LBB135_124:                            ;   in Loop: Header=BB135_73 Depth=1
	s_or_b32 exec_lo, exec_lo, s3
	s_and_saveexec_b32 s0, s1
	s_cbranch_execnz .LBB135_139
.LBB135_125:                            ;   in Loop: Header=BB135_73 Depth=1
	s_or_b32 exec_lo, exec_lo, s0
	s_and_saveexec_b32 s0, s2
	s_cbranch_execz .LBB135_72
	s_branch .LBB135_140
.LBB135_126:                            ;   in Loop: Header=BB135_73 Depth=1
	v_mov_b32_e32 v23, 1
	v_mov_b32_e32 v24, 0
	s_mov_b32 s21, exec_lo
	v_cmpx_ne_u64_e32 0, v[16:17]
	s_cbranch_execz .LBB135_130
; %bb.127:                              ;   in Loop: Header=BB135_73 Depth=1
	v_mov_b32_e32 v25, 1
	v_mov_b32_e32 v26, 0
	s_mov_b32 s22, 0
	s_set_inst_prefetch_distance 0x1
	.p2align	6
.LBB135_128:                            ;   Parent Loop BB135_73 Depth=1
                                        ; =>  This Inner Loop Header: Depth=2
	v_and_b32_e32 v1, 1, v16
	v_mad_u64_u32 v[27:28], null, v11, v11, 0
	s_delay_alu instid0(VALU_DEP_2) | instskip(SKIP_1) | instid1(VALU_DEP_2)
	v_cmp_eq_u32_e64 s3, 1, v1
	v_mul_lo_u32 v1, v11, v12
	v_cndmask_b32_e64 v15, 1, v11, s3
	v_cndmask_b32_e64 v12, 0, v12, s3
	v_cmp_gt_u64_e64 s3, 2, v[16:17]
	s_delay_alu instid0(VALU_DEP_4) | instskip(NEXT) | instid1(VALU_DEP_4)
	v_add3_u32 v28, v28, v1, v1
	v_mul_lo_u32 v18, v15, v26
	v_mad_u64_u32 v[23:24], null, v15, v25, 0
	v_mul_lo_u32 v15, v12, v25
	v_lshrrev_b64 v[11:12], 1, v[16:17]
	s_or_b32 s22, s3, s22
	s_delay_alu instid0(VALU_DEP_1) | instskip(NEXT) | instid1(VALU_DEP_3)
	v_dual_mov_b32 v17, v12 :: v_dual_mov_b32 v16, v11
	v_add3_u32 v24, v24, v18, v15
	v_dual_mov_b32 v11, v27 :: v_dual_mov_b32 v12, v28
	s_delay_alu instid0(VALU_DEP_2)
	v_dual_mov_b32 v26, v24 :: v_dual_mov_b32 v25, v23
	s_and_not1_b32 exec_lo, exec_lo, s22
	s_cbranch_execnz .LBB135_128
; %bb.129:                              ;   in Loop: Header=BB135_73 Depth=1
	s_set_inst_prefetch_distance 0x2
	s_or_b32 exec_lo, exec_lo, s22
.LBB135_130:                            ;   in Loop: Header=BB135_73 Depth=1
	s_delay_alu instid0(SALU_CYCLE_1)
	s_or_b32 exec_lo, exec_lo, s21
                                        ; implicit-def: $vgpr16_vgpr17
                                        ; implicit-def: $vgpr11_vgpr12
	s_and_not1_saveexec_b32 s20, s20
	s_cbranch_execz .LBB135_122
.LBB135_131:                            ;   in Loop: Header=BB135_73 Depth=1
	s_mov_b32 s21, 0
	s_mov_b32 s22, 0
	s_mov_b32 s23, exec_lo
	v_cmpx_lt_i64_e32 0, v[11:12]
	s_xor_b32 s23, exec_lo, s23
	s_cbranch_execnz .LBB135_150
; %bb.132:                              ;   in Loop: Header=BB135_73 Depth=1
	s_and_not1_saveexec_b32 s23, s23
	s_cbranch_execnz .LBB135_151
.LBB135_133:                            ;   in Loop: Header=BB135_73 Depth=1
	s_or_b32 exec_lo, exec_lo, s23
	s_and_saveexec_b32 s3, s22
	s_delay_alu instid0(SALU_CYCLE_1)
	s_xor_b32 s3, exec_lo, s3
	s_cbranch_execnz .LBB135_152
.LBB135_134:                            ;   in Loop: Header=BB135_73 Depth=1
	s_or_b32 exec_lo, exec_lo, s3
	s_and_saveexec_b32 s22, s21
.LBB135_135:                            ;   in Loop: Header=BB135_73 Depth=1
	v_and_b32_e32 v1, 1, v16
	s_delay_alu instid0(VALU_DEP_1) | instskip(NEXT) | instid1(VALU_DEP_1)
	v_cmp_eq_u64_e64 s3, 0, v[1:2]
	v_cndmask_b32_e64 v12, -1, 0, s3
	v_cndmask_b32_e64 v11, -1, 1, s3
.LBB135_136:                            ;   in Loop: Header=BB135_73 Depth=1
	s_or_b32 exec_lo, exec_lo, s22
	s_delay_alu instid0(VALU_DEP_1) | instskip(SKIP_2) | instid1(SALU_CYCLE_1)
	v_dual_mov_b32 v24, v12 :: v_dual_mov_b32 v23, v11
	s_or_b32 exec_lo, exec_lo, s20
	s_and_saveexec_b32 s3, vcc_lo
	s_xor_b32 s3, exec_lo, s3
	s_cbranch_execz .LBB135_123
.LBB135_137:                            ;   in Loop: Header=BB135_73 Depth=1
	v_add_co_u32 v3, vcc_lo, s12, v3
	v_add_co_ci_u32_e32 v4, vcc_lo, s13, v4, vcc_lo
	global_store_b64 v[3:4], v[13:14], off
	s_or_b32 exec_lo, exec_lo, s3
	s_and_saveexec_b32 s3, s0
	s_cbranch_execz .LBB135_124
.LBB135_138:                            ;   in Loop: Header=BB135_73 Depth=1
	v_add_co_u32 v3, vcc_lo, s12, v5
	v_add_co_ci_u32_e32 v4, vcc_lo, s13, v6, vcc_lo
	global_store_b64 v[3:4], v[19:20], off
	s_or_b32 exec_lo, exec_lo, s3
	s_and_saveexec_b32 s0, s1
	s_cbranch_execz .LBB135_125
.LBB135_139:                            ;   in Loop: Header=BB135_73 Depth=1
	v_add_co_u32 v3, vcc_lo, s12, v7
	v_add_co_ci_u32_e32 v4, vcc_lo, s13, v8, vcc_lo
	global_store_b64 v[3:4], v[21:22], off
	s_or_b32 exec_lo, exec_lo, s0
	s_and_saveexec_b32 s0, s2
	s_cbranch_execz .LBB135_72
.LBB135_140:                            ;   in Loop: Header=BB135_73 Depth=1
	v_add_co_u32 v3, vcc_lo, s12, v9
	v_add_co_ci_u32_e32 v4, vcc_lo, s13, v10, vcc_lo
	global_store_b64 v[3:4], v[23:24], off
	s_branch .LBB135_72
.LBB135_141:                            ;   in Loop: Header=BB135_73 Depth=1
	v_cmp_ne_u64_e64 s3, 1, v[25:26]
	s_delay_alu instid0(VALU_DEP_1)
	s_and_b32 s22, s3, exec_lo
	s_and_not1_saveexec_b32 s23, s23
	s_cbranch_execz .LBB135_90
.LBB135_142:                            ;   in Loop: Header=BB135_73 Depth=1
	v_cmp_ne_u64_e64 s3, -1, v[25:26]
	s_and_not1_b32 s22, s22, exec_lo
	s_mov_b32 s21, exec_lo
                                        ; implicit-def: $vgpr25_vgpr26
	s_delay_alu instid0(VALU_DEP_1) | instskip(NEXT) | instid1(SALU_CYCLE_1)
	s_and_b32 s3, s3, exec_lo
	s_or_b32 s22, s22, s3
	s_or_b32 exec_lo, exec_lo, s23
	s_and_saveexec_b32 s3, s22
	s_delay_alu instid0(SALU_CYCLE_1)
	s_xor_b32 s3, exec_lo, s3
	s_cbranch_execz .LBB135_91
.LBB135_143:                            ;   in Loop: Header=BB135_73 Depth=1
	v_mov_b32_e32 v25, 0
	v_mov_b32_e32 v26, 0
	s_and_not1_b32 s21, s21, exec_lo
	s_or_b32 exec_lo, exec_lo, s3
	s_and_saveexec_b32 s22, s21
	s_cbranch_execnz .LBB135_92
	s_branch .LBB135_93
.LBB135_144:                            ;   in Loop: Header=BB135_73 Depth=1
	v_cmp_ne_u64_e64 s3, 1, v[21:22]
	s_delay_alu instid0(VALU_DEP_1)
	s_and_b32 s22, s3, exec_lo
	s_and_not1_saveexec_b32 s23, s23
	s_cbranch_execz .LBB135_103
.LBB135_145:                            ;   in Loop: Header=BB135_73 Depth=1
	v_cmp_ne_u64_e64 s3, -1, v[21:22]
	s_and_not1_b32 s22, s22, exec_lo
	s_mov_b32 s21, exec_lo
                                        ; implicit-def: $vgpr21_vgpr22
	s_delay_alu instid0(VALU_DEP_1) | instskip(NEXT) | instid1(SALU_CYCLE_1)
	s_and_b32 s3, s3, exec_lo
	s_or_b32 s22, s22, s3
	s_or_b32 exec_lo, exec_lo, s23
	s_and_saveexec_b32 s3, s22
	s_delay_alu instid0(SALU_CYCLE_1)
	s_xor_b32 s3, exec_lo, s3
	s_cbranch_execz .LBB135_104
.LBB135_146:                            ;   in Loop: Header=BB135_73 Depth=1
	v_mov_b32_e32 v21, 0
	v_mov_b32_e32 v22, 0
	s_and_not1_b32 s21, s21, exec_lo
	s_or_b32 exec_lo, exec_lo, s3
	s_and_saveexec_b32 s22, s21
	s_cbranch_execnz .LBB135_105
	s_branch .LBB135_106
.LBB135_147:                            ;   in Loop: Header=BB135_73 Depth=1
	v_cmp_ne_u64_e64 s3, 1, v[17:18]
	s_delay_alu instid0(VALU_DEP_1)
	s_and_b32 s22, s3, exec_lo
	s_and_not1_saveexec_b32 s23, s23
	s_cbranch_execz .LBB135_116
.LBB135_148:                            ;   in Loop: Header=BB135_73 Depth=1
	v_cmp_ne_u64_e64 s3, -1, v[17:18]
	s_and_not1_b32 s22, s22, exec_lo
	s_mov_b32 s21, exec_lo
                                        ; implicit-def: $vgpr17_vgpr18
	s_delay_alu instid0(VALU_DEP_1) | instskip(NEXT) | instid1(SALU_CYCLE_1)
	s_and_b32 s3, s3, exec_lo
	s_or_b32 s22, s22, s3
	s_or_b32 exec_lo, exec_lo, s23
	s_and_saveexec_b32 s3, s22
	s_delay_alu instid0(SALU_CYCLE_1)
	s_xor_b32 s3, exec_lo, s3
	s_cbranch_execz .LBB135_117
.LBB135_149:                            ;   in Loop: Header=BB135_73 Depth=1
	v_mov_b32_e32 v17, 0
	v_mov_b32_e32 v18, 0
	s_and_not1_b32 s21, s21, exec_lo
	s_or_b32 exec_lo, exec_lo, s3
	s_and_saveexec_b32 s22, s21
	s_cbranch_execnz .LBB135_118
	s_branch .LBB135_119
.LBB135_150:                            ;   in Loop: Header=BB135_73 Depth=1
	v_cmp_ne_u64_e64 s3, 1, v[11:12]
	s_delay_alu instid0(VALU_DEP_1)
	s_and_b32 s22, s3, exec_lo
	s_and_not1_saveexec_b32 s23, s23
	s_cbranch_execz .LBB135_133
.LBB135_151:                            ;   in Loop: Header=BB135_73 Depth=1
	v_cmp_ne_u64_e64 s3, -1, v[11:12]
	s_and_not1_b32 s22, s22, exec_lo
	s_mov_b32 s21, exec_lo
                                        ; implicit-def: $vgpr11_vgpr12
	s_delay_alu instid0(VALU_DEP_1) | instskip(NEXT) | instid1(SALU_CYCLE_1)
	s_and_b32 s3, s3, exec_lo
	s_or_b32 s22, s22, s3
	s_or_b32 exec_lo, exec_lo, s23
	s_and_saveexec_b32 s3, s22
	s_delay_alu instid0(SALU_CYCLE_1)
	s_xor_b32 s3, exec_lo, s3
	s_cbranch_execz .LBB135_134
.LBB135_152:                            ;   in Loop: Header=BB135_73 Depth=1
	v_mov_b32_e32 v11, 0
	v_mov_b32_e32 v12, 0
	s_and_not1_b32 s21, s21, exec_lo
	s_or_b32 exec_lo, exec_lo, s3
	s_and_saveexec_b32 s22, s21
	s_cbranch_execnz .LBB135_135
	s_branch .LBB135_136
.LBB135_153:
	s_nop 0
	s_sendmsg sendmsg(MSG_DEALLOC_VGPRS)
	s_endpgm
	.section	.rodata,"a",@progbits
	.p2align	6, 0x0
	.amdhsa_kernel _ZN2at6native12_GLOBAL__N_125multi_tensor_apply_kernelINS1_18TensorListMetadataILi2EEENS1_24BinaryOpListAlphaFunctorIlLi2ELi2ELi0EEEJNS1_13power_functorIlEElEEEvT_T0_DpT1_
		.amdhsa_group_segment_fixed_size 0
		.amdhsa_private_segment_fixed_size 0
		.amdhsa_kernarg_size 3416
		.amdhsa_user_sgpr_count 15
		.amdhsa_user_sgpr_dispatch_ptr 0
		.amdhsa_user_sgpr_queue_ptr 0
		.amdhsa_user_sgpr_kernarg_segment_ptr 1
		.amdhsa_user_sgpr_dispatch_id 0
		.amdhsa_user_sgpr_private_segment_size 0
		.amdhsa_wavefront_size32 1
		.amdhsa_uses_dynamic_stack 0
		.amdhsa_enable_private_segment 0
		.amdhsa_system_sgpr_workgroup_id_x 1
		.amdhsa_system_sgpr_workgroup_id_y 0
		.amdhsa_system_sgpr_workgroup_id_z 0
		.amdhsa_system_sgpr_workgroup_info 0
		.amdhsa_system_vgpr_workitem_id 0
		.amdhsa_next_free_vgpr 34
		.amdhsa_next_free_sgpr 24
		.amdhsa_reserve_vcc 1
		.amdhsa_float_round_mode_32 0
		.amdhsa_float_round_mode_16_64 0
		.amdhsa_float_denorm_mode_32 3
		.amdhsa_float_denorm_mode_16_64 3
		.amdhsa_dx10_clamp 1
		.amdhsa_ieee_mode 1
		.amdhsa_fp16_overflow 0
		.amdhsa_workgroup_processor_mode 1
		.amdhsa_memory_ordered 1
		.amdhsa_forward_progress 0
		.amdhsa_shared_vgpr_count 0
		.amdhsa_exception_fp_ieee_invalid_op 0
		.amdhsa_exception_fp_denorm_src 0
		.amdhsa_exception_fp_ieee_div_zero 0
		.amdhsa_exception_fp_ieee_overflow 0
		.amdhsa_exception_fp_ieee_underflow 0
		.amdhsa_exception_fp_ieee_inexact 0
		.amdhsa_exception_int_div_zero 0
	.end_amdhsa_kernel
	.section	.text._ZN2at6native12_GLOBAL__N_125multi_tensor_apply_kernelINS1_18TensorListMetadataILi2EEENS1_24BinaryOpListAlphaFunctorIlLi2ELi2ELi0EEEJNS1_13power_functorIlEElEEEvT_T0_DpT1_,"axG",@progbits,_ZN2at6native12_GLOBAL__N_125multi_tensor_apply_kernelINS1_18TensorListMetadataILi2EEENS1_24BinaryOpListAlphaFunctorIlLi2ELi2ELi0EEEJNS1_13power_functorIlEElEEEvT_T0_DpT1_,comdat
.Lfunc_end135:
	.size	_ZN2at6native12_GLOBAL__N_125multi_tensor_apply_kernelINS1_18TensorListMetadataILi2EEENS1_24BinaryOpListAlphaFunctorIlLi2ELi2ELi0EEEJNS1_13power_functorIlEElEEEvT_T0_DpT1_, .Lfunc_end135-_ZN2at6native12_GLOBAL__N_125multi_tensor_apply_kernelINS1_18TensorListMetadataILi2EEENS1_24BinaryOpListAlphaFunctorIlLi2ELi2ELi0EEEJNS1_13power_functorIlEElEEEvT_T0_DpT1_
                                        ; -- End function
	.section	.AMDGPU.csdata,"",@progbits
; Kernel info:
; codeLenInByte = 4952
; NumSgprs: 26
; NumVgprs: 34
; ScratchSize: 0
; MemoryBound: 1
; FloatMode: 240
; IeeeMode: 1
; LDSByteSize: 0 bytes/workgroup (compile time only)
; SGPRBlocks: 3
; VGPRBlocks: 4
; NumSGPRsForWavesPerEU: 26
; NumVGPRsForWavesPerEU: 34
; Occupancy: 16
; WaveLimiterHint : 0
; COMPUTE_PGM_RSRC2:SCRATCH_EN: 0
; COMPUTE_PGM_RSRC2:USER_SGPR: 15
; COMPUTE_PGM_RSRC2:TRAP_HANDLER: 0
; COMPUTE_PGM_RSRC2:TGID_X_EN: 1
; COMPUTE_PGM_RSRC2:TGID_Y_EN: 0
; COMPUTE_PGM_RSRC2:TGID_Z_EN: 0
; COMPUTE_PGM_RSRC2:TIDIG_COMP_CNT: 0
	.section	.text._ZN2at6native12_GLOBAL__N_125multi_tensor_apply_kernelINS1_18TensorListMetadataILi2EEENS1_24BinaryOpListAlphaFunctorIsLi2ELi2ELi0EEEJNS1_13power_functorIsEEsEEEvT_T0_DpT1_,"axG",@progbits,_ZN2at6native12_GLOBAL__N_125multi_tensor_apply_kernelINS1_18TensorListMetadataILi2EEENS1_24BinaryOpListAlphaFunctorIsLi2ELi2ELi0EEEJNS1_13power_functorIsEEsEEEvT_T0_DpT1_,comdat
	.globl	_ZN2at6native12_GLOBAL__N_125multi_tensor_apply_kernelINS1_18TensorListMetadataILi2EEENS1_24BinaryOpListAlphaFunctorIsLi2ELi2ELi0EEEJNS1_13power_functorIsEEsEEEvT_T0_DpT1_ ; -- Begin function _ZN2at6native12_GLOBAL__N_125multi_tensor_apply_kernelINS1_18TensorListMetadataILi2EEENS1_24BinaryOpListAlphaFunctorIsLi2ELi2ELi0EEEJNS1_13power_functorIsEEsEEEvT_T0_DpT1_
	.p2align	8
	.type	_ZN2at6native12_GLOBAL__N_125multi_tensor_apply_kernelINS1_18TensorListMetadataILi2EEENS1_24BinaryOpListAlphaFunctorIsLi2ELi2ELi0EEEJNS1_13power_functorIsEEsEEEvT_T0_DpT1_,@function
_ZN2at6native12_GLOBAL__N_125multi_tensor_apply_kernelINS1_18TensorListMetadataILi2EEENS1_24BinaryOpListAlphaFunctorIsLi2ELi2ELi0EEEJNS1_13power_functorIsEEsEEEvT_T0_DpT1_: ; @_ZN2at6native12_GLOBAL__N_125multi_tensor_apply_kernelINS1_18TensorListMetadataILi2EEENS1_24BinaryOpListAlphaFunctorIsLi2ELi2ELi0EEEJNS1_13power_functorIsEEsEEEvT_T0_DpT1_
; %bb.0:
	v_mov_b32_e32 v1, s15
	s_mul_i32 s4, s15, 3
	s_mul_hi_u32 s3, s15, 3
	s_mov_b32 s17, 0
	s_load_b32 s2, s[0:1], 0xc48
	global_load_u8 v1, v1, s[0:1] offset:1536
	s_mov_b32 s19, s17
	s_waitcnt lgkmcnt(0)
	s_lshr_b32 s10, s2, 16
	s_add_u32 s2, s0, s15
	s_addc_u32 s5, s1, 0
	s_add_u32 s2, s2, s4
	s_addc_u32 s3, s5, s3
	s_load_b32 s2, s[2:3], 0x740
	s_waitcnt vmcnt(0)
	v_readfirstlane_b32 s4, v1
	s_delay_alu instid0(VALU_DEP_1)
	s_lshl_b32 s3, s4, 3
	s_clause 0x2
	s_load_b64 s[4:5], s[0:1], s3 offset:0x0
	s_load_b64 s[6:7], s[0:1], s3 offset:0x200
	s_load_b64 s[8:9], s[0:1], s3 offset:0x400
	s_waitcnt lgkmcnt(0)
	s_ashr_i32 s3, s2, 31
	s_delay_alu instid0(SALU_CYCLE_1) | instskip(NEXT) | instid1(SALU_CYCLE_1)
	s_lshl_b64 s[14:15], s[2:3], 17
	s_add_u32 s11, s4, s14
	s_addc_u32 s12, s5, s15
	s_and_b32 s16, s11, 7
	s_add_u32 s13, s6, s14
	s_addc_u32 s14, s7, s15
	s_and_b32 s18, s8, 3
	s_and_b32 s4, s13, 7
	s_mov_b32 s5, s17
	s_or_b64 s[6:7], s[16:17], s[18:19]
	s_lshl_b64 s[2:3], s[2:3], 16
	s_or_b64 s[6:7], s[4:5], s[6:7]
	s_sub_u32 s4, s8, s2
	s_subb_u32 s5, s9, s3
	s_cmp_eq_u64 s[6:7], 0
	s_mov_b32 s2, -1
	s_cbranch_scc0 .LBB136_69
; %bb.1:
	v_dual_mov_b32 v2, 0 :: v_dual_lshlrev_b32 v1, 2, v0
	s_mov_b32 s3, exec_lo
	s_delay_alu instid0(VALU_DEP_1)
	v_cmpx_gt_i64_e64 s[4:5], v[1:2]
	s_cbranch_execz .LBB136_68
; %bb.2:
	s_load_b32 s2, s[0:1], 0xc5c
	v_mov_b32_e32 v1, v2
	s_mov_b32 s7, 0
	s_delay_alu instid0(VALU_DEP_1)
	v_mov_b32_e32 v2, v1
	v_mov_b32_e32 v1, v0
	s_waitcnt lgkmcnt(0)
	s_and_b32 s6, s2, 0xffff
	s_branch .LBB136_5
.LBB136_3:                              ;   in Loop: Header=BB136_5 Depth=1
	s_or_b32 exec_lo, exec_lo, s9
	s_delay_alu instid0(VALU_DEP_1)
	v_mov_b32_e32 v10, v8
.LBB136_4:                              ;   in Loop: Header=BB136_5 Depth=1
	s_or_b32 exec_lo, exec_lo, s2
	v_add_co_u32 v1, vcc_lo, v1, s6
	v_add_co_ci_u32_e32 v2, vcc_lo, 0, v2, vcc_lo
	v_and_b32_e32 v6, 0xffff, v9
	v_lshlrev_b32_e32 v5, 16, v5
	v_and_b32_e32 v7, 0xffff, v7
	s_delay_alu instid0(VALU_DEP_4) | instskip(SKIP_1) | instid1(VALU_DEP_4)
	v_lshlrev_b64 v[11:12], 2, v[1:2]
	v_lshlrev_b32_e32 v8, 16, v10
	v_or_b32_e32 v5, v5, v6
	s_delay_alu instid0(VALU_DEP_2) | instskip(NEXT) | instid1(VALU_DEP_4)
	v_or3_b32 v6, v7, 0, v8
	v_cmp_le_i64_e32 vcc_lo, s[4:5], v[11:12]
	v_cmp_lt_u64_e64 s2, 0xffff, v[11:12]
	s_delay_alu instid0(VALU_DEP_4) | instskip(SKIP_2) | instid1(SALU_CYCLE_1)
	v_or3_b32 v5, 0, v5, 0
	global_store_b64 v[3:4], v[5:6], off
	s_or_b32 s2, vcc_lo, s2
	s_and_b32 s2, exec_lo, s2
	s_delay_alu instid0(SALU_CYCLE_1) | instskip(NEXT) | instid1(SALU_CYCLE_1)
	s_or_b32 s7, s2, s7
	s_and_not1_b32 exec_lo, exec_lo, s7
	s_cbranch_execz .LBB136_68
.LBB136_5:                              ; =>This Loop Header: Depth=1
                                        ;     Child Loop BB136_8 Depth 2
                                        ;     Child Loop BB136_24 Depth 2
	;; [unrolled: 1-line block ×4, first 2 shown]
	s_delay_alu instid0(VALU_DEP_1) | instskip(SKIP_1) | instid1(VALU_DEP_1)
	v_lshlrev_b64 v[3:4], 3, v[1:2]
	s_mov_b32 s2, exec_lo
                                        ; implicit-def: $vgpr9
	v_add_co_u32 v5, vcc_lo, s13, v3
	s_delay_alu instid0(VALU_DEP_2)
	v_add_co_ci_u32_e32 v6, vcc_lo, s14, v4, vcc_lo
	v_add_co_u32 v3, vcc_lo, s11, v3
	v_add_co_ci_u32_e32 v4, vcc_lo, s12, v4, vcc_lo
	global_load_b64 v[5:6], v[5:6], off
	global_load_b64 v[7:8], v[3:4], off
	s_waitcnt vmcnt(1)
	v_mul_lo_u16 v10, v5, s10
	s_delay_alu instid0(VALU_DEP_1)
	v_cmpx_lt_i16_e32 -1, v10
	s_xor_b32 s2, exec_lo, s2
	s_cbranch_execz .LBB136_11
; %bb.6:                                ;   in Loop: Header=BB136_5 Depth=1
	v_mov_b32_e32 v9, 1
	s_mov_b32 s8, exec_lo
	v_cmpx_ne_u16_e32 0, v10
	s_cbranch_execz .LBB136_10
; %bb.7:                                ;   in Loop: Header=BB136_5 Depth=1
	v_mov_b32_e32 v9, 1
	s_waitcnt vmcnt(0)
	v_mov_b32_e32 v11, v7
	s_mov_b32 s9, 0
	.p2align	6
.LBB136_8:                              ;   Parent Loop BB136_5 Depth=1
                                        ; =>  This Inner Loop Header: Depth=2
	v_lshrrev_b16 v12, 15, v10
	s_delay_alu instid0(VALU_DEP_1) | instskip(NEXT) | instid1(VALU_DEP_1)
	v_add_nc_u16 v12, v10, v12
	v_ashrrev_i16 v12, 1, v12
	v_and_b32_e32 v13, 1, v10
	v_add_nc_u16 v10, v10, 1
	s_delay_alu instid0(VALU_DEP_2) | instskip(SKIP_1) | instid1(VALU_DEP_3)
	v_cmp_eq_u32_e32 vcc_lo, 1, v13
	v_cndmask_b32_e32 v13, 1, v11, vcc_lo
	v_cmp_gt_u16_e32 vcc_lo, 3, v10
	v_mov_b32_e32 v10, v12
	v_mul_lo_u16 v11, v11, v11
	s_delay_alu instid0(VALU_DEP_4) | instskip(SKIP_1) | instid1(SALU_CYCLE_1)
	v_mul_lo_u16 v9, v13, v9
	s_or_b32 s9, vcc_lo, s9
	s_and_not1_b32 exec_lo, exec_lo, s9
	s_cbranch_execnz .LBB136_8
; %bb.9:                                ;   in Loop: Header=BB136_5 Depth=1
	s_or_b32 exec_lo, exec_lo, s9
.LBB136_10:                             ;   in Loop: Header=BB136_5 Depth=1
	s_delay_alu instid0(SALU_CYCLE_1)
	s_or_b32 exec_lo, exec_lo, s8
                                        ; implicit-def: $vgpr10
.LBB136_11:                             ;   in Loop: Header=BB136_5 Depth=1
	s_and_not1_saveexec_b32 s2, s2
	s_cbranch_execz .LBB136_21
; %bb.12:                               ;   in Loop: Header=BB136_5 Depth=1
	s_mov_b32 s8, 0
	s_mov_b32 s9, 0
	s_mov_b32 s15, exec_lo
	s_waitcnt vmcnt(0)
	v_cmpx_lt_i16_e32 0, v7
	s_xor_b32 s15, exec_lo, s15
; %bb.13:                               ;   in Loop: Header=BB136_5 Depth=1
	v_cmp_ne_u16_e32 vcc_lo, 1, v7
	s_and_b32 s9, vcc_lo, exec_lo
; %bb.14:                               ;   in Loop: Header=BB136_5 Depth=1
	s_and_not1_saveexec_b32 s15, s15
; %bb.15:                               ;   in Loop: Header=BB136_5 Depth=1
	v_cmp_ne_u16_e32 vcc_lo, -1, v7
	s_and_not1_b32 s9, s9, exec_lo
	s_mov_b32 s8, exec_lo
	s_and_b32 s16, vcc_lo, exec_lo
	s_delay_alu instid0(SALU_CYCLE_1)
	s_or_b32 s9, s9, s16
; %bb.16:                               ;   in Loop: Header=BB136_5 Depth=1
	s_or_b32 exec_lo, exec_lo, s15
	v_mov_b32_e32 v9, v7
	s_and_saveexec_b32 s15, s9
	s_delay_alu instid0(SALU_CYCLE_1)
	s_xor_b32 s9, exec_lo, s15
; %bb.17:                               ;   in Loop: Header=BB136_5 Depth=1
	v_mov_b32_e32 v9, 0
	s_and_not1_b32 s8, s8, exec_lo
; %bb.18:                               ;   in Loop: Header=BB136_5 Depth=1
	s_or_b32 exec_lo, exec_lo, s9
	s_and_saveexec_b32 s9, s8
; %bb.19:                               ;   in Loop: Header=BB136_5 Depth=1
	v_and_b32_e32 v9, 1, v10
	s_delay_alu instid0(VALU_DEP_1)
	v_cmp_eq_u16_e32 vcc_lo, 0, v9
	v_cndmask_b32_e64 v9, -1, 1, vcc_lo
; %bb.20:                               ;   in Loop: Header=BB136_5 Depth=1
	s_or_b32 exec_lo, exec_lo, s9
.LBB136_21:                             ;   in Loop: Header=BB136_5 Depth=1
	s_delay_alu instid0(SALU_CYCLE_1) | instskip(SKIP_4) | instid1(VALU_DEP_2)
	s_or_b32 exec_lo, exec_lo, s2
	v_lshrrev_b32_e32 v5, 16, v5
	s_waitcnt vmcnt(0)
	v_lshrrev_b32_e32 v7, 16, v7
	s_mov_b32 s2, exec_lo
	v_mul_lo_u16 v10, v5, s10
                                        ; implicit-def: $vgpr5
	s_delay_alu instid0(VALU_DEP_1)
	v_cmpx_lt_i16_e32 -1, v10
	s_xor_b32 s2, exec_lo, s2
	s_cbranch_execz .LBB136_27
; %bb.22:                               ;   in Loop: Header=BB136_5 Depth=1
	v_mov_b32_e32 v5, 1
	s_mov_b32 s8, exec_lo
	v_cmpx_ne_u16_e32 0, v10
	s_cbranch_execz .LBB136_26
; %bb.23:                               ;   in Loop: Header=BB136_5 Depth=1
	v_perm_b32 v5, v7, 1, 0x5040100
	s_mov_b32 s9, 0
	.p2align	6
.LBB136_24:                             ;   Parent Loop BB136_5 Depth=1
                                        ; =>  This Inner Loop Header: Depth=2
	s_delay_alu instid0(VALU_DEP_1) | instskip(NEXT) | instid1(VALU_DEP_2)
	v_and_b32_e32 v7, 1, v10
	v_lshrrev_b32_e32 v11, 16, v5
	v_lshrrev_b16 v12, 15, v10
	s_delay_alu instid0(VALU_DEP_3) | instskip(NEXT) | instid1(VALU_DEP_3)
	v_cmp_eq_u32_e32 vcc_lo, 1, v7
	v_cndmask_b32_e32 v7, 1, v11, vcc_lo
	s_delay_alu instid0(VALU_DEP_3) | instskip(SKIP_1) | instid1(VALU_DEP_3)
	v_add_nc_u16 v11, v10, v12
	v_add_nc_u16 v10, v10, 1
	v_bfi_b32 v7, 0xffff, v7, v5
	s_delay_alu instid0(VALU_DEP_3) | instskip(NEXT) | instid1(VALU_DEP_3)
	v_ashrrev_i16 v11, 1, v11
	v_cmp_gt_u16_e32 vcc_lo, 3, v10
	s_delay_alu instid0(VALU_DEP_3) | instskip(NEXT) | instid1(VALU_DEP_3)
	v_pk_mul_lo_u16 v5, v7, v5
	v_mov_b32_e32 v10, v11
	s_or_b32 s9, vcc_lo, s9
	s_delay_alu instid0(SALU_CYCLE_1)
	s_and_not1_b32 exec_lo, exec_lo, s9
	s_cbranch_execnz .LBB136_24
; %bb.25:                               ;   in Loop: Header=BB136_5 Depth=1
	s_or_b32 exec_lo, exec_lo, s9
.LBB136_26:                             ;   in Loop: Header=BB136_5 Depth=1
	s_delay_alu instid0(SALU_CYCLE_1)
	s_or_b32 exec_lo, exec_lo, s8
                                        ; implicit-def: $vgpr10
                                        ; implicit-def: $vgpr7
.LBB136_27:                             ;   in Loop: Header=BB136_5 Depth=1
	s_and_not1_saveexec_b32 s2, s2
	s_cbranch_execz .LBB136_34
; %bb.28:                               ;   in Loop: Header=BB136_5 Depth=1
	s_mov_b32 s8, 0
	s_mov_b32 s9, 0
	s_mov_b32 s15, exec_lo
	v_cmpx_lt_i16_e32 0, v7
	s_xor_b32 s15, exec_lo, s15
	s_cbranch_execnz .LBB136_61
; %bb.29:                               ;   in Loop: Header=BB136_5 Depth=1
	s_and_not1_saveexec_b32 s15, s15
	s_cbranch_execnz .LBB136_62
.LBB136_30:                             ;   in Loop: Header=BB136_5 Depth=1
	s_or_b32 exec_lo, exec_lo, s15
	s_and_saveexec_b32 s15, s9
	s_delay_alu instid0(SALU_CYCLE_1)
	s_xor_b32 s9, exec_lo, s15
	s_cbranch_execnz .LBB136_63
.LBB136_31:                             ;   in Loop: Header=BB136_5 Depth=1
	s_or_b32 exec_lo, exec_lo, s9
	s_and_saveexec_b32 s9, s8
.LBB136_32:                             ;   in Loop: Header=BB136_5 Depth=1
	v_and_b32_e32 v5, 1, v10
	s_delay_alu instid0(VALU_DEP_1)
	v_cmp_eq_u16_e32 vcc_lo, 0, v5
	v_cndmask_b32_e64 v7, -1, 1, vcc_lo
.LBB136_33:                             ;   in Loop: Header=BB136_5 Depth=1
	s_or_b32 exec_lo, exec_lo, s9
	s_delay_alu instid0(VALU_DEP_1)
	v_mov_b32_e32 v5, v7
.LBB136_34:                             ;   in Loop: Header=BB136_5 Depth=1
	s_or_b32 exec_lo, exec_lo, s2
	v_mul_lo_u16 v10, v6, s10
	s_mov_b32 s2, exec_lo
                                        ; implicit-def: $vgpr7
	s_delay_alu instid0(VALU_DEP_1)
	v_cmpx_lt_i16_e32 -1, v10
	s_xor_b32 s2, exec_lo, s2
	s_cbranch_execz .LBB136_40
; %bb.35:                               ;   in Loop: Header=BB136_5 Depth=1
	v_mov_b32_e32 v7, 1
	s_mov_b32 s8, exec_lo
	v_cmpx_ne_u16_e32 0, v10
	s_cbranch_execz .LBB136_39
; %bb.36:                               ;   in Loop: Header=BB136_5 Depth=1
	v_perm_b32 v7, v8, 1, 0x5040100
	s_mov_b32 s9, 0
	.p2align	6
.LBB136_37:                             ;   Parent Loop BB136_5 Depth=1
                                        ; =>  This Inner Loop Header: Depth=2
	s_delay_alu instid0(VALU_DEP_1) | instskip(NEXT) | instid1(VALU_DEP_2)
	v_and_b32_e32 v11, 1, v10
	v_lshrrev_b32_e32 v12, 16, v7
	v_lshrrev_b16 v13, 15, v10
	s_delay_alu instid0(VALU_DEP_3) | instskip(NEXT) | instid1(VALU_DEP_3)
	v_cmp_eq_u32_e32 vcc_lo, 1, v11
	v_cndmask_b32_e32 v11, 1, v12, vcc_lo
	s_delay_alu instid0(VALU_DEP_3) | instskip(SKIP_1) | instid1(VALU_DEP_3)
	v_add_nc_u16 v12, v10, v13
	v_add_nc_u16 v10, v10, 1
	v_bfi_b32 v11, 0xffff, v11, v7
	s_delay_alu instid0(VALU_DEP_3) | instskip(NEXT) | instid1(VALU_DEP_3)
	v_ashrrev_i16 v12, 1, v12
	v_cmp_gt_u16_e32 vcc_lo, 3, v10
	s_delay_alu instid0(VALU_DEP_3) | instskip(NEXT) | instid1(VALU_DEP_3)
	v_pk_mul_lo_u16 v7, v11, v7
	v_mov_b32_e32 v10, v12
	s_or_b32 s9, vcc_lo, s9
	s_delay_alu instid0(SALU_CYCLE_1)
	s_and_not1_b32 exec_lo, exec_lo, s9
	s_cbranch_execnz .LBB136_37
; %bb.38:                               ;   in Loop: Header=BB136_5 Depth=1
	s_or_b32 exec_lo, exec_lo, s9
.LBB136_39:                             ;   in Loop: Header=BB136_5 Depth=1
	s_delay_alu instid0(SALU_CYCLE_1)
	s_or_b32 exec_lo, exec_lo, s8
                                        ; implicit-def: $vgpr10
.LBB136_40:                             ;   in Loop: Header=BB136_5 Depth=1
	s_and_not1_saveexec_b32 s2, s2
	s_cbranch_execz .LBB136_50
; %bb.41:                               ;   in Loop: Header=BB136_5 Depth=1
	s_mov_b32 s8, 0
	s_mov_b32 s9, 0
	s_mov_b32 s15, exec_lo
	v_cmpx_lt_i16_e32 0, v8
	s_xor_b32 s15, exec_lo, s15
; %bb.42:                               ;   in Loop: Header=BB136_5 Depth=1
	v_cmp_ne_u16_e32 vcc_lo, 1, v8
	s_and_b32 s9, vcc_lo, exec_lo
; %bb.43:                               ;   in Loop: Header=BB136_5 Depth=1
	s_and_not1_saveexec_b32 s15, s15
; %bb.44:                               ;   in Loop: Header=BB136_5 Depth=1
	v_cmp_ne_u16_e32 vcc_lo, -1, v8
	s_and_not1_b32 s9, s9, exec_lo
	s_mov_b32 s8, exec_lo
	s_and_b32 s16, vcc_lo, exec_lo
	s_delay_alu instid0(SALU_CYCLE_1)
	s_or_b32 s9, s9, s16
; %bb.45:                               ;   in Loop: Header=BB136_5 Depth=1
	s_or_b32 exec_lo, exec_lo, s15
	v_mov_b32_e32 v7, v8
	s_and_saveexec_b32 s15, s9
	s_delay_alu instid0(SALU_CYCLE_1)
	s_xor_b32 s9, exec_lo, s15
; %bb.46:                               ;   in Loop: Header=BB136_5 Depth=1
	v_mov_b32_e32 v7, 0
	s_and_not1_b32 s8, s8, exec_lo
; %bb.47:                               ;   in Loop: Header=BB136_5 Depth=1
	s_or_b32 exec_lo, exec_lo, s9
	s_and_saveexec_b32 s9, s8
; %bb.48:                               ;   in Loop: Header=BB136_5 Depth=1
	v_and_b32_e32 v7, 1, v10
	s_delay_alu instid0(VALU_DEP_1)
	v_cmp_eq_u16_e32 vcc_lo, 0, v7
	v_cndmask_b32_e64 v7, -1, 1, vcc_lo
; %bb.49:                               ;   in Loop: Header=BB136_5 Depth=1
	s_or_b32 exec_lo, exec_lo, s9
.LBB136_50:                             ;   in Loop: Header=BB136_5 Depth=1
	s_delay_alu instid0(SALU_CYCLE_1) | instskip(SKIP_3) | instid1(VALU_DEP_2)
	s_or_b32 exec_lo, exec_lo, s2
	v_lshrrev_b32_e32 v6, 16, v6
	v_lshrrev_b32_e32 v8, 16, v8
	s_mov_b32 s2, exec_lo
                                        ; implicit-def: $vgpr10
	v_mul_lo_u16 v6, v6, s10
	s_delay_alu instid0(VALU_DEP_1)
	v_cmpx_lt_i16_e32 -1, v6
	s_xor_b32 s2, exec_lo, s2
	s_cbranch_execz .LBB136_56
; %bb.51:                               ;   in Loop: Header=BB136_5 Depth=1
	v_mov_b32_e32 v10, 1
	s_mov_b32 s8, exec_lo
	v_cmpx_ne_u16_e32 0, v6
	s_cbranch_execz .LBB136_55
; %bb.52:                               ;   in Loop: Header=BB136_5 Depth=1
	v_perm_b32 v10, v8, 1, 0x5040100
	s_mov_b32 s9, 0
	.p2align	6
.LBB136_53:                             ;   Parent Loop BB136_5 Depth=1
                                        ; =>  This Inner Loop Header: Depth=2
	s_delay_alu instid0(VALU_DEP_1) | instskip(NEXT) | instid1(VALU_DEP_2)
	v_and_b32_e32 v8, 1, v6
	v_lshrrev_b32_e32 v11, 16, v10
	v_lshrrev_b16 v12, 15, v6
	s_delay_alu instid0(VALU_DEP_3) | instskip(NEXT) | instid1(VALU_DEP_3)
	v_cmp_eq_u32_e32 vcc_lo, 1, v8
	v_cndmask_b32_e32 v8, 1, v11, vcc_lo
	s_delay_alu instid0(VALU_DEP_3) | instskip(SKIP_1) | instid1(VALU_DEP_3)
	v_add_nc_u16 v11, v6, v12
	v_add_nc_u16 v6, v6, 1
	v_bfi_b32 v8, 0xffff, v8, v10
	s_delay_alu instid0(VALU_DEP_3) | instskip(NEXT) | instid1(VALU_DEP_3)
	v_ashrrev_i16 v11, 1, v11
	v_cmp_gt_u16_e32 vcc_lo, 3, v6
	s_delay_alu instid0(VALU_DEP_3) | instskip(NEXT) | instid1(VALU_DEP_3)
	v_pk_mul_lo_u16 v10, v8, v10
	v_mov_b32_e32 v6, v11
	s_or_b32 s9, vcc_lo, s9
	s_delay_alu instid0(SALU_CYCLE_1)
	s_and_not1_b32 exec_lo, exec_lo, s9
	s_cbranch_execnz .LBB136_53
; %bb.54:                               ;   in Loop: Header=BB136_5 Depth=1
	s_or_b32 exec_lo, exec_lo, s9
.LBB136_55:                             ;   in Loop: Header=BB136_5 Depth=1
	s_delay_alu instid0(SALU_CYCLE_1)
	s_or_b32 exec_lo, exec_lo, s8
                                        ; implicit-def: $vgpr6
                                        ; implicit-def: $vgpr8
.LBB136_56:                             ;   in Loop: Header=BB136_5 Depth=1
	s_and_not1_saveexec_b32 s2, s2
	s_cbranch_execz .LBB136_4
; %bb.57:                               ;   in Loop: Header=BB136_5 Depth=1
	s_mov_b32 s8, 0
	s_mov_b32 s9, 0
	s_mov_b32 s15, exec_lo
	v_cmpx_lt_i16_e32 0, v8
	s_xor_b32 s15, exec_lo, s15
	s_cbranch_execnz .LBB136_64
; %bb.58:                               ;   in Loop: Header=BB136_5 Depth=1
	s_and_not1_saveexec_b32 s15, s15
	s_cbranch_execnz .LBB136_65
.LBB136_59:                             ;   in Loop: Header=BB136_5 Depth=1
	s_or_b32 exec_lo, exec_lo, s15
	s_and_saveexec_b32 s15, s9
	s_delay_alu instid0(SALU_CYCLE_1)
	s_xor_b32 s9, exec_lo, s15
	s_cbranch_execnz .LBB136_66
.LBB136_60:                             ;   in Loop: Header=BB136_5 Depth=1
	s_or_b32 exec_lo, exec_lo, s9
	s_and_saveexec_b32 s9, s8
	s_cbranch_execz .LBB136_3
	s_branch .LBB136_67
.LBB136_61:                             ;   in Loop: Header=BB136_5 Depth=1
	v_cmp_ne_u16_e32 vcc_lo, 1, v7
	s_and_b32 s9, vcc_lo, exec_lo
	s_and_not1_saveexec_b32 s15, s15
	s_cbranch_execz .LBB136_30
.LBB136_62:                             ;   in Loop: Header=BB136_5 Depth=1
	v_cmp_ne_u16_e32 vcc_lo, -1, v7
	s_and_not1_b32 s9, s9, exec_lo
	s_mov_b32 s8, exec_lo
                                        ; implicit-def: $vgpr7
	s_and_b32 s16, vcc_lo, exec_lo
	s_delay_alu instid0(SALU_CYCLE_1) | instskip(SKIP_2) | instid1(SALU_CYCLE_1)
	s_or_b32 s9, s9, s16
	s_or_b32 exec_lo, exec_lo, s15
	s_and_saveexec_b32 s15, s9
	s_xor_b32 s9, exec_lo, s15
	s_cbranch_execz .LBB136_31
.LBB136_63:                             ;   in Loop: Header=BB136_5 Depth=1
	v_mov_b32_e32 v7, 0
	s_and_not1_b32 s8, s8, exec_lo
	s_or_b32 exec_lo, exec_lo, s9
	s_and_saveexec_b32 s9, s8
	s_cbranch_execnz .LBB136_32
	s_branch .LBB136_33
.LBB136_64:                             ;   in Loop: Header=BB136_5 Depth=1
	v_cmp_ne_u16_e32 vcc_lo, 1, v8
	s_and_b32 s9, vcc_lo, exec_lo
	s_and_not1_saveexec_b32 s15, s15
	s_cbranch_execz .LBB136_59
.LBB136_65:                             ;   in Loop: Header=BB136_5 Depth=1
	v_cmp_ne_u16_e32 vcc_lo, -1, v8
	s_and_not1_b32 s9, s9, exec_lo
	s_mov_b32 s8, exec_lo
                                        ; implicit-def: $vgpr8
	s_and_b32 s16, vcc_lo, exec_lo
	s_delay_alu instid0(SALU_CYCLE_1) | instskip(SKIP_2) | instid1(SALU_CYCLE_1)
	s_or_b32 s9, s9, s16
	s_or_b32 exec_lo, exec_lo, s15
	s_and_saveexec_b32 s15, s9
	s_xor_b32 s9, exec_lo, s15
	s_cbranch_execz .LBB136_60
.LBB136_66:                             ;   in Loop: Header=BB136_5 Depth=1
	v_mov_b32_e32 v8, 0
	s_and_not1_b32 s8, s8, exec_lo
	s_or_b32 exec_lo, exec_lo, s9
	s_and_saveexec_b32 s9, s8
	s_cbranch_execz .LBB136_3
.LBB136_67:                             ;   in Loop: Header=BB136_5 Depth=1
	v_and_b32_e32 v6, 1, v6
	s_delay_alu instid0(VALU_DEP_1)
	v_cmp_eq_u16_e32 vcc_lo, 0, v6
	v_cndmask_b32_e64 v8, -1, 1, vcc_lo
	s_branch .LBB136_3
.LBB136_68:
	s_or_b32 exec_lo, exec_lo, s3
	s_mov_b32 s2, 0
.LBB136_69:
	s_delay_alu instid0(SALU_CYCLE_1)
	s_and_not1_b32 vcc_lo, exec_lo, s2
	s_cbranch_vccnz .LBB136_153
; %bb.70:
	v_cmp_lt_i64_e64 s2, s[4:5], 1
	s_delay_alu instid0(VALU_DEP_1)
	s_and_b32 vcc_lo, exec_lo, s2
	s_cbranch_vccnz .LBB136_153
; %bb.71:
	s_load_b32 s0, s[0:1], 0xc5c
	v_cmp_gt_u64_e64 s1, 0x10000, s[4:5]
	s_mov_b32 s15, 0
	s_mov_b64 s[8:9], 0
	s_waitcnt lgkmcnt(0)
	s_and_b32 s16, s0, 0xffff
	s_delay_alu instid0(VALU_DEP_1)
	s_and_b32 s0, s1, exec_lo
	s_cselect_b32 s7, s5, 0
	s_cselect_b32 s6, s4, 0x10000
	s_lshl_b32 s17, s16, 1
	s_mul_i32 s18, s16, 3
	s_lshl_b32 s19, s16, 2
	s_branch .LBB136_73
.LBB136_72:                             ;   in Loop: Header=BB136_73 Depth=1
	s_or_b32 exec_lo, exec_lo, s0
	s_add_u32 s8, s8, s19
	s_addc_u32 s9, s9, 0
	s_delay_alu instid0(SALU_CYCLE_1) | instskip(SKIP_1) | instid1(VALU_DEP_1)
	v_cmp_ge_i64_e64 s0, s[8:9], s[4:5]
	v_cmp_lt_u64_e64 s1, 0xffff, s[8:9]
	s_or_b32 s0, s0, s1
	s_delay_alu instid0(SALU_CYCLE_1)
	s_and_b32 vcc_lo, exec_lo, s0
	s_cbranch_vccnz .LBB136_153
.LBB136_73:                             ; =>This Loop Header: Depth=1
                                        ;     Child Loop BB136_84 Depth 2
                                        ;     Child Loop BB136_100 Depth 2
	;; [unrolled: 1-line block ×4, first 2 shown]
	v_add_co_u32 v7, s0, s8, v0
	s_delay_alu instid0(VALU_DEP_1) | instskip(SKIP_2) | instid1(VALU_DEP_3)
	v_add_co_ci_u32_e64 v8, null, s9, 0, s0
	v_mov_b32_e32 v9, 0
	v_dual_mov_b32 v10, 0 :: v_dual_mov_b32 v11, 0
	v_cmp_gt_u64_e32 vcc_lo, s[6:7], v[7:8]
	v_lshlrev_b64 v[1:2], 1, v[7:8]
	s_and_saveexec_b32 s1, vcc_lo
	s_cbranch_execz .LBB136_75
; %bb.74:                               ;   in Loop: Header=BB136_73 Depth=1
	s_delay_alu instid0(VALU_DEP_1) | instskip(NEXT) | instid1(VALU_DEP_1)
	v_add_co_u32 v3, s0, s11, v1
	v_add_co_ci_u32_e64 v4, s0, s12, v2, s0
	v_mov_b32_e32 v10, s15
	global_load_u16 v5, v[3:4], off
	v_add_co_u32 v3, s0, s13, v1
	s_delay_alu instid0(VALU_DEP_1)
	v_add_co_ci_u32_e64 v4, s0, s14, v2, s0
	global_load_u16 v11, v[3:4], off
	s_waitcnt vmcnt(1)
	v_and_b32_e32 v9, 0xffff, v5
.LBB136_75:                             ;   in Loop: Header=BB136_73 Depth=1
	s_or_b32 exec_lo, exec_lo, s1
	v_add_co_u32 v3, s0, v7, s16
	s_delay_alu instid0(VALU_DEP_1) | instskip(SKIP_1) | instid1(VALU_DEP_2)
	v_add_co_ci_u32_e64 v4, s0, 0, v8, s0
	v_dual_mov_b32 v13, 0 :: v_dual_mov_b32 v14, 0
	v_cmp_gt_u64_e64 s0, s[6:7], v[3:4]
	v_lshlrev_b64 v[3:4], 1, v[3:4]
	s_delay_alu instid0(VALU_DEP_2)
	s_and_saveexec_b32 s2, s0
	s_cbranch_execz .LBB136_77
; %bb.76:                               ;   in Loop: Header=BB136_73 Depth=1
	s_delay_alu instid0(VALU_DEP_1) | instskip(NEXT) | instid1(VALU_DEP_1)
	v_add_co_u32 v5, s1, s11, v3
	v_add_co_ci_u32_e64 v6, s1, s12, v4, s1
	global_load_u16 v12, v[5:6], off
	v_add_co_u32 v5, s1, s13, v3
	s_delay_alu instid0(VALU_DEP_1)
	v_add_co_ci_u32_e64 v6, s1, s14, v4, s1
	global_load_u16 v14, v[5:6], off
	s_waitcnt vmcnt(1)
	v_lshl_or_b32 v9, v12, 16, v9
.LBB136_77:                             ;   in Loop: Header=BB136_73 Depth=1
	s_or_b32 exec_lo, exec_lo, s2
	v_add_co_u32 v5, s1, v7, s17
	s_delay_alu instid0(VALU_DEP_1) | instskip(NEXT) | instid1(VALU_DEP_1)
	v_add_co_ci_u32_e64 v6, s1, 0, v8, s1
	v_cmp_gt_u64_e64 s1, s[6:7], v[5:6]
	v_lshlrev_b64 v[5:6], 1, v[5:6]
	s_delay_alu instid0(VALU_DEP_2)
	s_and_saveexec_b32 s3, s1
	s_cbranch_execz .LBB136_79
; %bb.78:                               ;   in Loop: Header=BB136_73 Depth=1
	s_delay_alu instid0(VALU_DEP_1) | instskip(NEXT) | instid1(VALU_DEP_1)
	v_add_co_u32 v12, s2, s11, v5
	v_add_co_ci_u32_e64 v13, s2, s12, v6, s2
	global_load_u16 v15, v[12:13], off
	v_add_co_u32 v12, s2, s13, v5
	s_delay_alu instid0(VALU_DEP_1)
	v_add_co_ci_u32_e64 v13, s2, s14, v6, s2
	global_load_u16 v13, v[12:13], off
	s_waitcnt vmcnt(1)
	v_or_b32_e32 v10, v15, v10
.LBB136_79:                             ;   in Loop: Header=BB136_73 Depth=1
	s_or_b32 exec_lo, exec_lo, s3
	v_add_co_u32 v7, s2, v7, s18
	s_delay_alu instid0(VALU_DEP_1) | instskip(SKIP_1) | instid1(VALU_DEP_2)
	v_add_co_ci_u32_e64 v8, s2, 0, v8, s2
	v_mov_b32_e32 v12, 0
	v_cmp_gt_u64_e64 s2, s[6:7], v[7:8]
	v_lshlrev_b64 v[7:8], 1, v[7:8]
	s_delay_alu instid0(VALU_DEP_2)
	s_and_saveexec_b32 s20, s2
	s_cbranch_execz .LBB136_81
; %bb.80:                               ;   in Loop: Header=BB136_73 Depth=1
	s_delay_alu instid0(VALU_DEP_1) | instskip(NEXT) | instid1(VALU_DEP_1)
	v_add_co_u32 v15, s3, s11, v7
	v_add_co_ci_u32_e64 v16, s3, s12, v8, s3
	v_mov_b32_e32 v17, 0
	global_load_d16_hi_b16 v17, v[15:16], off
	v_add_co_u32 v15, s3, s13, v7
	s_delay_alu instid0(VALU_DEP_1)
	v_add_co_ci_u32_e64 v16, s3, s14, v8, s3
	global_load_u16 v12, v[15:16], off
	s_waitcnt vmcnt(1)
	v_or_b32_e32 v10, v17, v10
.LBB136_81:                             ;   in Loop: Header=BB136_73 Depth=1
	s_or_b32 exec_lo, exec_lo, s20
	s_waitcnt vmcnt(0)
	v_mul_lo_u16 v15, v11, s10
	s_mov_b32 s20, exec_lo
                                        ; implicit-def: $vgpr11
	s_delay_alu instid0(VALU_DEP_1)
	v_cmpx_lt_i16_e32 -1, v15
	s_xor_b32 s20, exec_lo, s20
	s_cbranch_execz .LBB136_87
; %bb.82:                               ;   in Loop: Header=BB136_73 Depth=1
	v_mov_b32_e32 v11, 1
	s_mov_b32 s21, exec_lo
	v_cmpx_ne_u16_e32 0, v15
	s_cbranch_execz .LBB136_86
; %bb.83:                               ;   in Loop: Header=BB136_73 Depth=1
	v_perm_b32 v11, v9, 1, 0x5040100
	s_mov_b32 s22, 0
	.p2align	6
.LBB136_84:                             ;   Parent Loop BB136_73 Depth=1
                                        ; =>  This Inner Loop Header: Depth=2
	s_delay_alu instid0(VALU_DEP_1) | instskip(NEXT) | instid1(VALU_DEP_2)
	v_and_b32_e32 v16, 1, v15
	v_lshrrev_b32_e32 v17, 16, v11
	v_lshrrev_b16 v18, 15, v15
	s_delay_alu instid0(VALU_DEP_3) | instskip(NEXT) | instid1(VALU_DEP_1)
	v_cmp_eq_u32_e64 s3, 1, v16
	v_cndmask_b32_e64 v16, 1, v17, s3
	s_delay_alu instid0(VALU_DEP_3) | instskip(SKIP_1) | instid1(VALU_DEP_3)
	v_add_nc_u16 v17, v15, v18
	v_add_nc_u16 v15, v15, 1
	v_bfi_b32 v16, 0xffff, v16, v11
	s_delay_alu instid0(VALU_DEP_3) | instskip(NEXT) | instid1(VALU_DEP_3)
	v_ashrrev_i16 v17, 1, v17
	v_cmp_gt_u16_e64 s3, 3, v15
	s_delay_alu instid0(VALU_DEP_3) | instskip(NEXT) | instid1(VALU_DEP_3)
	v_pk_mul_lo_u16 v11, v16, v11
	v_mov_b32_e32 v15, v17
	s_delay_alu instid0(VALU_DEP_3) | instskip(NEXT) | instid1(SALU_CYCLE_1)
	s_or_b32 s22, s3, s22
	s_and_not1_b32 exec_lo, exec_lo, s22
	s_cbranch_execnz .LBB136_84
; %bb.85:                               ;   in Loop: Header=BB136_73 Depth=1
	s_or_b32 exec_lo, exec_lo, s22
.LBB136_86:                             ;   in Loop: Header=BB136_73 Depth=1
	s_delay_alu instid0(SALU_CYCLE_1)
	s_or_b32 exec_lo, exec_lo, s21
                                        ; implicit-def: $vgpr15
.LBB136_87:                             ;   in Loop: Header=BB136_73 Depth=1
	s_and_not1_saveexec_b32 s20, s20
	s_cbranch_execz .LBB136_97
; %bb.88:                               ;   in Loop: Header=BB136_73 Depth=1
	s_mov_b32 s21, 0
	s_mov_b32 s22, 0
	s_mov_b32 s23, exec_lo
	v_cmpx_lt_i16_e32 0, v9
	s_xor_b32 s23, exec_lo, s23
; %bb.89:                               ;   in Loop: Header=BB136_73 Depth=1
	v_cmp_ne_u16_e64 s3, 1, v9
	s_delay_alu instid0(VALU_DEP_1)
	s_and_b32 s22, s3, exec_lo
; %bb.90:                               ;   in Loop: Header=BB136_73 Depth=1
	s_and_not1_saveexec_b32 s23, s23
; %bb.91:                               ;   in Loop: Header=BB136_73 Depth=1
	v_cmp_ne_u16_e64 s3, -1, v9
	s_and_not1_b32 s22, s22, exec_lo
	s_mov_b32 s21, exec_lo
	s_delay_alu instid0(VALU_DEP_1) | instskip(NEXT) | instid1(SALU_CYCLE_1)
	s_and_b32 s3, s3, exec_lo
	s_or_b32 s22, s22, s3
; %bb.92:                               ;   in Loop: Header=BB136_73 Depth=1
	s_or_b32 exec_lo, exec_lo, s23
	v_mov_b32_e32 v11, v9
	s_and_saveexec_b32 s3, s22
	s_delay_alu instid0(SALU_CYCLE_1)
	s_xor_b32 s3, exec_lo, s3
; %bb.93:                               ;   in Loop: Header=BB136_73 Depth=1
	v_mov_b32_e32 v11, 0
	s_and_not1_b32 s21, s21, exec_lo
; %bb.94:                               ;   in Loop: Header=BB136_73 Depth=1
	s_or_b32 exec_lo, exec_lo, s3
	s_and_saveexec_b32 s22, s21
; %bb.95:                               ;   in Loop: Header=BB136_73 Depth=1
	v_and_b32_e32 v11, 1, v15
	s_delay_alu instid0(VALU_DEP_1) | instskip(NEXT) | instid1(VALU_DEP_1)
	v_cmp_eq_u16_e64 s3, 0, v11
	v_cndmask_b32_e64 v11, -1, 1, s3
; %bb.96:                               ;   in Loop: Header=BB136_73 Depth=1
	s_or_b32 exec_lo, exec_lo, s22
.LBB136_97:                             ;   in Loop: Header=BB136_73 Depth=1
	s_delay_alu instid0(SALU_CYCLE_1) | instskip(SKIP_3) | instid1(VALU_DEP_2)
	s_or_b32 exec_lo, exec_lo, s20
	v_mul_lo_u16 v14, v14, s10
	v_lshrrev_b32_e32 v15, 16, v9
	s_mov_b32 s20, exec_lo
                                        ; implicit-def: $vgpr9
	v_cmpx_lt_i16_e32 -1, v14
	s_xor_b32 s20, exec_lo, s20
	s_cbranch_execz .LBB136_103
; %bb.98:                               ;   in Loop: Header=BB136_73 Depth=1
	v_mov_b32_e32 v9, 1
	s_mov_b32 s21, exec_lo
	v_cmpx_ne_u16_e32 0, v14
	s_cbranch_execz .LBB136_102
; %bb.99:                               ;   in Loop: Header=BB136_73 Depth=1
	v_perm_b32 v9, v15, 1, 0x5040100
	s_mov_b32 s22, 0
	.p2align	6
.LBB136_100:                            ;   Parent Loop BB136_73 Depth=1
                                        ; =>  This Inner Loop Header: Depth=2
	s_delay_alu instid0(VALU_DEP_1) | instskip(NEXT) | instid1(VALU_DEP_2)
	v_and_b32_e32 v15, 1, v14
	v_lshrrev_b32_e32 v16, 16, v9
	v_lshrrev_b16 v17, 15, v14
	s_delay_alu instid0(VALU_DEP_3) | instskip(NEXT) | instid1(VALU_DEP_1)
	v_cmp_eq_u32_e64 s3, 1, v15
	v_cndmask_b32_e64 v15, 1, v16, s3
	s_delay_alu instid0(VALU_DEP_3) | instskip(SKIP_1) | instid1(VALU_DEP_3)
	v_add_nc_u16 v16, v14, v17
	v_add_nc_u16 v14, v14, 1
	v_bfi_b32 v15, 0xffff, v15, v9
	s_delay_alu instid0(VALU_DEP_3) | instskip(NEXT) | instid1(VALU_DEP_3)
	v_ashrrev_i16 v16, 1, v16
	v_cmp_gt_u16_e64 s3, 3, v14
	s_delay_alu instid0(VALU_DEP_3) | instskip(NEXT) | instid1(VALU_DEP_3)
	v_pk_mul_lo_u16 v9, v15, v9
	v_mov_b32_e32 v14, v16
	s_delay_alu instid0(VALU_DEP_3) | instskip(NEXT) | instid1(SALU_CYCLE_1)
	s_or_b32 s22, s3, s22
	s_and_not1_b32 exec_lo, exec_lo, s22
	s_cbranch_execnz .LBB136_100
; %bb.101:                              ;   in Loop: Header=BB136_73 Depth=1
	s_or_b32 exec_lo, exec_lo, s22
.LBB136_102:                            ;   in Loop: Header=BB136_73 Depth=1
	s_delay_alu instid0(SALU_CYCLE_1)
	s_or_b32 exec_lo, exec_lo, s21
                                        ; implicit-def: $vgpr14
                                        ; implicit-def: $vgpr15
.LBB136_103:                            ;   in Loop: Header=BB136_73 Depth=1
	s_and_not1_saveexec_b32 s20, s20
	s_cbranch_execz .LBB136_110
; %bb.104:                              ;   in Loop: Header=BB136_73 Depth=1
	s_mov_b32 s21, 0
	s_mov_b32 s22, 0
	s_mov_b32 s23, exec_lo
	v_cmpx_lt_i16_e32 0, v15
	s_xor_b32 s23, exec_lo, s23
	s_cbranch_execnz .LBB136_147
; %bb.105:                              ;   in Loop: Header=BB136_73 Depth=1
	s_and_not1_saveexec_b32 s23, s23
	s_cbranch_execnz .LBB136_148
.LBB136_106:                            ;   in Loop: Header=BB136_73 Depth=1
	s_or_b32 exec_lo, exec_lo, s23
	s_and_saveexec_b32 s3, s22
	s_delay_alu instid0(SALU_CYCLE_1)
	s_xor_b32 s3, exec_lo, s3
	s_cbranch_execnz .LBB136_149
.LBB136_107:                            ;   in Loop: Header=BB136_73 Depth=1
	s_or_b32 exec_lo, exec_lo, s3
	s_and_saveexec_b32 s22, s21
.LBB136_108:                            ;   in Loop: Header=BB136_73 Depth=1
	v_and_b32_e32 v9, 1, v14
	s_delay_alu instid0(VALU_DEP_1) | instskip(NEXT) | instid1(VALU_DEP_1)
	v_cmp_eq_u16_e64 s3, 0, v9
	v_cndmask_b32_e64 v15, -1, 1, s3
.LBB136_109:                            ;   in Loop: Header=BB136_73 Depth=1
	s_or_b32 exec_lo, exec_lo, s22
	s_delay_alu instid0(VALU_DEP_1)
	v_mov_b32_e32 v9, v15
.LBB136_110:                            ;   in Loop: Header=BB136_73 Depth=1
	s_or_b32 exec_lo, exec_lo, s20
	v_mul_lo_u16 v14, v13, s10
	s_mov_b32 s20, exec_lo
                                        ; implicit-def: $vgpr13
	s_delay_alu instid0(VALU_DEP_1)
	v_cmpx_lt_i16_e32 -1, v14
	s_xor_b32 s20, exec_lo, s20
	s_cbranch_execz .LBB136_116
; %bb.111:                              ;   in Loop: Header=BB136_73 Depth=1
	v_mov_b32_e32 v13, 1
	s_mov_b32 s21, exec_lo
	v_cmpx_ne_u16_e32 0, v14
	s_cbranch_execz .LBB136_115
; %bb.112:                              ;   in Loop: Header=BB136_73 Depth=1
	v_perm_b32 v13, v10, 1, 0x5040100
	s_mov_b32 s22, 0
	.p2align	6
.LBB136_113:                            ;   Parent Loop BB136_73 Depth=1
                                        ; =>  This Inner Loop Header: Depth=2
	s_delay_alu instid0(VALU_DEP_1) | instskip(NEXT) | instid1(VALU_DEP_2)
	v_and_b32_e32 v15, 1, v14
	v_lshrrev_b32_e32 v16, 16, v13
	v_lshrrev_b16 v17, 15, v14
	s_delay_alu instid0(VALU_DEP_3) | instskip(NEXT) | instid1(VALU_DEP_1)
	v_cmp_eq_u32_e64 s3, 1, v15
	v_cndmask_b32_e64 v15, 1, v16, s3
	s_delay_alu instid0(VALU_DEP_3) | instskip(SKIP_1) | instid1(VALU_DEP_3)
	v_add_nc_u16 v16, v14, v17
	v_add_nc_u16 v14, v14, 1
	v_bfi_b32 v15, 0xffff, v15, v13
	s_delay_alu instid0(VALU_DEP_3) | instskip(NEXT) | instid1(VALU_DEP_3)
	v_ashrrev_i16 v16, 1, v16
	v_cmp_gt_u16_e64 s3, 3, v14
	s_delay_alu instid0(VALU_DEP_3) | instskip(NEXT) | instid1(VALU_DEP_3)
	v_pk_mul_lo_u16 v13, v15, v13
	v_mov_b32_e32 v14, v16
	s_delay_alu instid0(VALU_DEP_3) | instskip(NEXT) | instid1(SALU_CYCLE_1)
	s_or_b32 s22, s3, s22
	s_and_not1_b32 exec_lo, exec_lo, s22
	s_cbranch_execnz .LBB136_113
; %bb.114:                              ;   in Loop: Header=BB136_73 Depth=1
	s_or_b32 exec_lo, exec_lo, s22
.LBB136_115:                            ;   in Loop: Header=BB136_73 Depth=1
	s_delay_alu instid0(SALU_CYCLE_1)
	s_or_b32 exec_lo, exec_lo, s21
                                        ; implicit-def: $vgpr14
.LBB136_116:                            ;   in Loop: Header=BB136_73 Depth=1
	s_and_not1_saveexec_b32 s20, s20
	s_cbranch_execz .LBB136_126
; %bb.117:                              ;   in Loop: Header=BB136_73 Depth=1
	s_mov_b32 s21, 0
	s_mov_b32 s22, 0
	s_mov_b32 s23, exec_lo
	v_cmpx_lt_i16_e32 0, v10
	s_xor_b32 s23, exec_lo, s23
; %bb.118:                              ;   in Loop: Header=BB136_73 Depth=1
	v_cmp_ne_u16_e64 s3, 1, v10
	s_delay_alu instid0(VALU_DEP_1)
	s_and_b32 s22, s3, exec_lo
; %bb.119:                              ;   in Loop: Header=BB136_73 Depth=1
	s_and_not1_saveexec_b32 s23, s23
; %bb.120:                              ;   in Loop: Header=BB136_73 Depth=1
	v_cmp_ne_u16_e64 s3, -1, v10
	s_and_not1_b32 s22, s22, exec_lo
	s_mov_b32 s21, exec_lo
	s_delay_alu instid0(VALU_DEP_1) | instskip(NEXT) | instid1(SALU_CYCLE_1)
	s_and_b32 s3, s3, exec_lo
	s_or_b32 s22, s22, s3
; %bb.121:                              ;   in Loop: Header=BB136_73 Depth=1
	s_or_b32 exec_lo, exec_lo, s23
	v_mov_b32_e32 v13, v10
	s_and_saveexec_b32 s3, s22
	s_delay_alu instid0(SALU_CYCLE_1)
	s_xor_b32 s3, exec_lo, s3
; %bb.122:                              ;   in Loop: Header=BB136_73 Depth=1
	v_mov_b32_e32 v13, 0
	s_and_not1_b32 s21, s21, exec_lo
; %bb.123:                              ;   in Loop: Header=BB136_73 Depth=1
	s_or_b32 exec_lo, exec_lo, s3
	s_and_saveexec_b32 s22, s21
; %bb.124:                              ;   in Loop: Header=BB136_73 Depth=1
	v_and_b32_e32 v13, 1, v14
	s_delay_alu instid0(VALU_DEP_1) | instskip(NEXT) | instid1(VALU_DEP_1)
	v_cmp_eq_u16_e64 s3, 0, v13
	v_cndmask_b32_e64 v13, -1, 1, s3
; %bb.125:                              ;   in Loop: Header=BB136_73 Depth=1
	s_or_b32 exec_lo, exec_lo, s22
.LBB136_126:                            ;   in Loop: Header=BB136_73 Depth=1
	s_delay_alu instid0(SALU_CYCLE_1) | instskip(SKIP_3) | instid1(VALU_DEP_2)
	s_or_b32 exec_lo, exec_lo, s20
	v_mul_lo_u16 v12, v12, s10
	v_lshrrev_b32_e32 v14, 16, v10
	s_mov_b32 s20, exec_lo
                                        ; implicit-def: $vgpr10
	v_cmpx_lt_i16_e32 -1, v12
	s_xor_b32 s20, exec_lo, s20
	s_cbranch_execnz .LBB136_132
; %bb.127:                              ;   in Loop: Header=BB136_73 Depth=1
	s_and_not1_saveexec_b32 s20, s20
	s_cbranch_execnz .LBB136_137
.LBB136_128:                            ;   in Loop: Header=BB136_73 Depth=1
	s_or_b32 exec_lo, exec_lo, s20
	s_and_saveexec_b32 s3, vcc_lo
	s_delay_alu instid0(SALU_CYCLE_1)
	s_xor_b32 s3, exec_lo, s3
	s_cbranch_execnz .LBB136_143
.LBB136_129:                            ;   in Loop: Header=BB136_73 Depth=1
	s_or_b32 exec_lo, exec_lo, s3
	s_and_saveexec_b32 s3, s0
	s_cbranch_execnz .LBB136_144
.LBB136_130:                            ;   in Loop: Header=BB136_73 Depth=1
	s_or_b32 exec_lo, exec_lo, s3
	s_and_saveexec_b32 s0, s1
	s_cbranch_execnz .LBB136_145
.LBB136_131:                            ;   in Loop: Header=BB136_73 Depth=1
	s_or_b32 exec_lo, exec_lo, s0
	s_and_saveexec_b32 s0, s2
	s_cbranch_execz .LBB136_72
	s_branch .LBB136_146
.LBB136_132:                            ;   in Loop: Header=BB136_73 Depth=1
	v_mov_b32_e32 v10, 1
	s_mov_b32 s21, exec_lo
	v_cmpx_ne_u16_e32 0, v12
	s_cbranch_execz .LBB136_136
; %bb.133:                              ;   in Loop: Header=BB136_73 Depth=1
	v_perm_b32 v10, v14, 1, 0x5040100
	s_mov_b32 s22, 0
	.p2align	6
.LBB136_134:                            ;   Parent Loop BB136_73 Depth=1
                                        ; =>  This Inner Loop Header: Depth=2
	s_delay_alu instid0(VALU_DEP_1) | instskip(NEXT) | instid1(VALU_DEP_2)
	v_and_b32_e32 v14, 1, v12
	v_lshrrev_b32_e32 v15, 16, v10
	v_lshrrev_b16 v16, 15, v12
	s_delay_alu instid0(VALU_DEP_3) | instskip(NEXT) | instid1(VALU_DEP_1)
	v_cmp_eq_u32_e64 s3, 1, v14
	v_cndmask_b32_e64 v14, 1, v15, s3
	s_delay_alu instid0(VALU_DEP_3) | instskip(SKIP_1) | instid1(VALU_DEP_3)
	v_add_nc_u16 v15, v12, v16
	v_add_nc_u16 v12, v12, 1
	v_bfi_b32 v14, 0xffff, v14, v10
	s_delay_alu instid0(VALU_DEP_3) | instskip(NEXT) | instid1(VALU_DEP_3)
	v_ashrrev_i16 v15, 1, v15
	v_cmp_gt_u16_e64 s3, 3, v12
	s_delay_alu instid0(VALU_DEP_3) | instskip(NEXT) | instid1(VALU_DEP_3)
	v_pk_mul_lo_u16 v10, v14, v10
	v_mov_b32_e32 v12, v15
	s_delay_alu instid0(VALU_DEP_3) | instskip(NEXT) | instid1(SALU_CYCLE_1)
	s_or_b32 s22, s3, s22
	s_and_not1_b32 exec_lo, exec_lo, s22
	s_cbranch_execnz .LBB136_134
; %bb.135:                              ;   in Loop: Header=BB136_73 Depth=1
	s_or_b32 exec_lo, exec_lo, s22
.LBB136_136:                            ;   in Loop: Header=BB136_73 Depth=1
	s_delay_alu instid0(SALU_CYCLE_1)
	s_or_b32 exec_lo, exec_lo, s21
                                        ; implicit-def: $vgpr12
                                        ; implicit-def: $vgpr14
	s_and_not1_saveexec_b32 s20, s20
	s_cbranch_execz .LBB136_128
.LBB136_137:                            ;   in Loop: Header=BB136_73 Depth=1
	s_mov_b32 s21, 0
	s_mov_b32 s22, 0
	s_mov_b32 s23, exec_lo
	v_cmpx_lt_i16_e32 0, v14
	s_xor_b32 s23, exec_lo, s23
	s_cbranch_execnz .LBB136_150
; %bb.138:                              ;   in Loop: Header=BB136_73 Depth=1
	s_and_not1_saveexec_b32 s23, s23
	s_cbranch_execnz .LBB136_151
.LBB136_139:                            ;   in Loop: Header=BB136_73 Depth=1
	s_or_b32 exec_lo, exec_lo, s23
	s_and_saveexec_b32 s3, s22
	s_delay_alu instid0(SALU_CYCLE_1)
	s_xor_b32 s3, exec_lo, s3
	s_cbranch_execnz .LBB136_152
.LBB136_140:                            ;   in Loop: Header=BB136_73 Depth=1
	s_or_b32 exec_lo, exec_lo, s3
	s_and_saveexec_b32 s22, s21
.LBB136_141:                            ;   in Loop: Header=BB136_73 Depth=1
	v_and_b32_e32 v10, 1, v12
	s_delay_alu instid0(VALU_DEP_1) | instskip(NEXT) | instid1(VALU_DEP_1)
	v_cmp_eq_u16_e64 s3, 0, v10
	v_cndmask_b32_e64 v14, -1, 1, s3
.LBB136_142:                            ;   in Loop: Header=BB136_73 Depth=1
	s_or_b32 exec_lo, exec_lo, s22
	s_delay_alu instid0(VALU_DEP_1) | instskip(SKIP_2) | instid1(SALU_CYCLE_1)
	v_mov_b32_e32 v10, v14
	s_or_b32 exec_lo, exec_lo, s20
	s_and_saveexec_b32 s3, vcc_lo
	s_xor_b32 s3, exec_lo, s3
	s_cbranch_execz .LBB136_129
.LBB136_143:                            ;   in Loop: Header=BB136_73 Depth=1
	v_add_co_u32 v1, vcc_lo, s11, v1
	v_add_co_ci_u32_e32 v2, vcc_lo, s12, v2, vcc_lo
	global_store_b16 v[1:2], v11, off
	s_or_b32 exec_lo, exec_lo, s3
	s_and_saveexec_b32 s3, s0
	s_cbranch_execz .LBB136_130
.LBB136_144:                            ;   in Loop: Header=BB136_73 Depth=1
	v_add_co_u32 v1, vcc_lo, s11, v3
	v_add_co_ci_u32_e32 v2, vcc_lo, s12, v4, vcc_lo
	global_store_b16 v[1:2], v9, off
	s_or_b32 exec_lo, exec_lo, s3
	s_and_saveexec_b32 s0, s1
	s_cbranch_execz .LBB136_131
.LBB136_145:                            ;   in Loop: Header=BB136_73 Depth=1
	v_add_co_u32 v1, vcc_lo, s11, v5
	v_add_co_ci_u32_e32 v2, vcc_lo, s12, v6, vcc_lo
	global_store_b16 v[1:2], v13, off
	s_or_b32 exec_lo, exec_lo, s0
	s_and_saveexec_b32 s0, s2
	s_cbranch_execz .LBB136_72
.LBB136_146:                            ;   in Loop: Header=BB136_73 Depth=1
	v_add_co_u32 v1, vcc_lo, s11, v7
	v_add_co_ci_u32_e32 v2, vcc_lo, s12, v8, vcc_lo
	global_store_b16 v[1:2], v10, off
	s_branch .LBB136_72
.LBB136_147:                            ;   in Loop: Header=BB136_73 Depth=1
	v_cmp_ne_u16_e64 s3, 1, v15
	s_delay_alu instid0(VALU_DEP_1)
	s_and_b32 s22, s3, exec_lo
	s_and_not1_saveexec_b32 s23, s23
	s_cbranch_execz .LBB136_106
.LBB136_148:                            ;   in Loop: Header=BB136_73 Depth=1
	v_cmp_ne_u16_e64 s3, -1, v15
	s_and_not1_b32 s22, s22, exec_lo
	s_mov_b32 s21, exec_lo
                                        ; implicit-def: $vgpr15
	s_delay_alu instid0(VALU_DEP_1) | instskip(NEXT) | instid1(SALU_CYCLE_1)
	s_and_b32 s3, s3, exec_lo
	s_or_b32 s22, s22, s3
	s_or_b32 exec_lo, exec_lo, s23
	s_and_saveexec_b32 s3, s22
	s_delay_alu instid0(SALU_CYCLE_1)
	s_xor_b32 s3, exec_lo, s3
	s_cbranch_execz .LBB136_107
.LBB136_149:                            ;   in Loop: Header=BB136_73 Depth=1
	v_mov_b32_e32 v15, 0
	s_and_not1_b32 s21, s21, exec_lo
	s_or_b32 exec_lo, exec_lo, s3
	s_and_saveexec_b32 s22, s21
	s_cbranch_execnz .LBB136_108
	s_branch .LBB136_109
.LBB136_150:                            ;   in Loop: Header=BB136_73 Depth=1
	v_cmp_ne_u16_e64 s3, 1, v14
	s_delay_alu instid0(VALU_DEP_1)
	s_and_b32 s22, s3, exec_lo
	s_and_not1_saveexec_b32 s23, s23
	s_cbranch_execz .LBB136_139
.LBB136_151:                            ;   in Loop: Header=BB136_73 Depth=1
	v_cmp_ne_u16_e64 s3, -1, v14
	s_and_not1_b32 s22, s22, exec_lo
	s_mov_b32 s21, exec_lo
                                        ; implicit-def: $vgpr14
	s_delay_alu instid0(VALU_DEP_1) | instskip(NEXT) | instid1(SALU_CYCLE_1)
	s_and_b32 s3, s3, exec_lo
	s_or_b32 s22, s22, s3
	s_or_b32 exec_lo, exec_lo, s23
	s_and_saveexec_b32 s3, s22
	s_delay_alu instid0(SALU_CYCLE_1)
	s_xor_b32 s3, exec_lo, s3
	s_cbranch_execz .LBB136_140
.LBB136_152:                            ;   in Loop: Header=BB136_73 Depth=1
	v_mov_b32_e32 v14, 0
	s_and_not1_b32 s21, s21, exec_lo
	s_or_b32 exec_lo, exec_lo, s3
	s_and_saveexec_b32 s22, s21
	s_cbranch_execnz .LBB136_141
	s_branch .LBB136_142
.LBB136_153:
	s_nop 0
	s_sendmsg sendmsg(MSG_DEALLOC_VGPRS)
	s_endpgm
	.section	.rodata,"a",@progbits
	.p2align	6, 0x0
	.amdhsa_kernel _ZN2at6native12_GLOBAL__N_125multi_tensor_apply_kernelINS1_18TensorListMetadataILi2EEENS1_24BinaryOpListAlphaFunctorIsLi2ELi2ELi0EEEJNS1_13power_functorIsEEsEEEvT_T0_DpT1_
		.amdhsa_group_segment_fixed_size 0
		.amdhsa_private_segment_fixed_size 0
		.amdhsa_kernarg_size 3408
		.amdhsa_user_sgpr_count 15
		.amdhsa_user_sgpr_dispatch_ptr 0
		.amdhsa_user_sgpr_queue_ptr 0
		.amdhsa_user_sgpr_kernarg_segment_ptr 1
		.amdhsa_user_sgpr_dispatch_id 0
		.amdhsa_user_sgpr_private_segment_size 0
		.amdhsa_wavefront_size32 1
		.amdhsa_uses_dynamic_stack 0
		.amdhsa_enable_private_segment 0
		.amdhsa_system_sgpr_workgroup_id_x 1
		.amdhsa_system_sgpr_workgroup_id_y 0
		.amdhsa_system_sgpr_workgroup_id_z 0
		.amdhsa_system_sgpr_workgroup_info 0
		.amdhsa_system_vgpr_workitem_id 0
		.amdhsa_next_free_vgpr 19
		.amdhsa_next_free_sgpr 24
		.amdhsa_reserve_vcc 1
		.amdhsa_float_round_mode_32 0
		.amdhsa_float_round_mode_16_64 0
		.amdhsa_float_denorm_mode_32 3
		.amdhsa_float_denorm_mode_16_64 3
		.amdhsa_dx10_clamp 1
		.amdhsa_ieee_mode 1
		.amdhsa_fp16_overflow 0
		.amdhsa_workgroup_processor_mode 1
		.amdhsa_memory_ordered 1
		.amdhsa_forward_progress 0
		.amdhsa_shared_vgpr_count 0
		.amdhsa_exception_fp_ieee_invalid_op 0
		.amdhsa_exception_fp_denorm_src 0
		.amdhsa_exception_fp_ieee_div_zero 0
		.amdhsa_exception_fp_ieee_overflow 0
		.amdhsa_exception_fp_ieee_underflow 0
		.amdhsa_exception_fp_ieee_inexact 0
		.amdhsa_exception_int_div_zero 0
	.end_amdhsa_kernel
	.section	.text._ZN2at6native12_GLOBAL__N_125multi_tensor_apply_kernelINS1_18TensorListMetadataILi2EEENS1_24BinaryOpListAlphaFunctorIsLi2ELi2ELi0EEEJNS1_13power_functorIsEEsEEEvT_T0_DpT1_,"axG",@progbits,_ZN2at6native12_GLOBAL__N_125multi_tensor_apply_kernelINS1_18TensorListMetadataILi2EEENS1_24BinaryOpListAlphaFunctorIsLi2ELi2ELi0EEEJNS1_13power_functorIsEEsEEEvT_T0_DpT1_,comdat
.Lfunc_end136:
	.size	_ZN2at6native12_GLOBAL__N_125multi_tensor_apply_kernelINS1_18TensorListMetadataILi2EEENS1_24BinaryOpListAlphaFunctorIsLi2ELi2ELi0EEEJNS1_13power_functorIsEEsEEEvT_T0_DpT1_, .Lfunc_end136-_ZN2at6native12_GLOBAL__N_125multi_tensor_apply_kernelINS1_18TensorListMetadataILi2EEENS1_24BinaryOpListAlphaFunctorIsLi2ELi2ELi0EEEJNS1_13power_functorIsEEsEEEvT_T0_DpT1_
                                        ; -- End function
	.section	.AMDGPU.csdata,"",@progbits
; Kernel info:
; codeLenInByte = 4196
; NumSgprs: 26
; NumVgprs: 19
; ScratchSize: 0
; MemoryBound: 0
; FloatMode: 240
; IeeeMode: 1
; LDSByteSize: 0 bytes/workgroup (compile time only)
; SGPRBlocks: 3
; VGPRBlocks: 2
; NumSGPRsForWavesPerEU: 26
; NumVGPRsForWavesPerEU: 19
; Occupancy: 16
; WaveLimiterHint : 0
; COMPUTE_PGM_RSRC2:SCRATCH_EN: 0
; COMPUTE_PGM_RSRC2:USER_SGPR: 15
; COMPUTE_PGM_RSRC2:TRAP_HANDLER: 0
; COMPUTE_PGM_RSRC2:TGID_X_EN: 1
; COMPUTE_PGM_RSRC2:TGID_Y_EN: 0
; COMPUTE_PGM_RSRC2:TGID_Z_EN: 0
; COMPUTE_PGM_RSRC2:TIDIG_COMP_CNT: 0
	.section	.text._ZN2at6native12_GLOBAL__N_125multi_tensor_apply_kernelINS1_18TensorListMetadataILi2EEENS1_24BinaryOpListAlphaFunctorIdLi2ELi2ELi0EEEJNS1_13power_functorIdEEdEEEvT_T0_DpT1_,"axG",@progbits,_ZN2at6native12_GLOBAL__N_125multi_tensor_apply_kernelINS1_18TensorListMetadataILi2EEENS1_24BinaryOpListAlphaFunctorIdLi2ELi2ELi0EEEJNS1_13power_functorIdEEdEEEvT_T0_DpT1_,comdat
	.globl	_ZN2at6native12_GLOBAL__N_125multi_tensor_apply_kernelINS1_18TensorListMetadataILi2EEENS1_24BinaryOpListAlphaFunctorIdLi2ELi2ELi0EEEJNS1_13power_functorIdEEdEEEvT_T0_DpT1_ ; -- Begin function _ZN2at6native12_GLOBAL__N_125multi_tensor_apply_kernelINS1_18TensorListMetadataILi2EEENS1_24BinaryOpListAlphaFunctorIdLi2ELi2ELi0EEEJNS1_13power_functorIdEEdEEEvT_T0_DpT1_
	.p2align	8
	.type	_ZN2at6native12_GLOBAL__N_125multi_tensor_apply_kernelINS1_18TensorListMetadataILi2EEENS1_24BinaryOpListAlphaFunctorIdLi2ELi2ELi0EEEJNS1_13power_functorIdEEdEEEvT_T0_DpT1_,@function
_ZN2at6native12_GLOBAL__N_125multi_tensor_apply_kernelINS1_18TensorListMetadataILi2EEENS1_24BinaryOpListAlphaFunctorIdLi2ELi2ELi0EEEJNS1_13power_functorIdEEdEEEvT_T0_DpT1_: ; @_ZN2at6native12_GLOBAL__N_125multi_tensor_apply_kernelINS1_18TensorListMetadataILi2EEENS1_24BinaryOpListAlphaFunctorIdLi2ELi2ELi0EEEJNS1_13power_functorIdEEdEEEvT_T0_DpT1_
; %bb.0:
	v_mov_b32_e32 v1, s15
	s_add_u32 s2, s0, s15
	s_mul_hi_u32 s3, s15, 3
	s_mul_i32 s15, s15, 3
	s_addc_u32 s4, s1, 0
	global_load_u8 v1, v1, s[0:1] offset:1536
	s_add_u32 s2, s2, s15
	s_addc_u32 s3, s4, s3
	s_mov_b32 s13, 0
	s_load_b32 s2, s[2:3], 0x740
	s_mov_b32 s17, s13
	s_mov_b32 s19, s13
	s_waitcnt vmcnt(0)
	v_readfirstlane_b32 s3, v1
	s_delay_alu instid0(VALU_DEP_1)
	s_lshl_b32 s3, s3, 3
	s_clause 0x3
	s_load_b64 s[6:7], s[0:1], s3 offset:0x0
	s_load_b64 s[14:15], s[0:1], s3 offset:0x200
	;; [unrolled: 1-line block ×3, first 2 shown]
	s_load_b64 s[8:9], s[0:1], 0xc50
	s_waitcnt lgkmcnt(0)
	s_ashr_i32 s3, s2, 31
	s_delay_alu instid0(SALU_CYCLE_1) | instskip(NEXT) | instid1(SALU_CYCLE_1)
	s_lshl_b64 s[10:11], s[2:3], 19
	s_add_u32 s33, s6, s10
	s_addc_u32 s72, s7, s11
	s_and_b32 s12, s33, 31
	s_add_u32 s73, s14, s10
	s_addc_u32 s74, s15, s11
	s_and_b32 s16, s4, 3
	s_and_b32 s18, s73, 31
	s_or_b64 s[12:13], s[12:13], s[16:17]
	s_lshl_b64 s[2:3], s[2:3], 16
	s_or_b64 s[16:17], s[18:19], s[12:13]
	s_sub_u32 s12, s4, s2
	s_subb_u32 s13, s5, s3
	s_cmp_eq_u64 s[16:17], 0
	s_mov_b32 s2, -1
	s_cbranch_scc0 .LBB137_5
; %bb.1:
	v_mov_b32_e32 v13, 0
	v_lshlrev_b32_e32 v1, 2, v0
	s_mov_b32 s75, exec_lo
	s_delay_alu instid0(VALU_DEP_2) | instskip(NEXT) | instid1(VALU_DEP_1)
	v_mov_b32_e32 v2, v13
	v_cmpx_gt_i64_e64 s[12:13], v[1:2]
	s_cbranch_execz .LBB137_4
; %bb.2:
	s_load_b32 s2, s[0:1], 0xc64
	v_dual_mov_b32 v16, v13 :: v_dual_lshlrev_b32 v21, 5, v0
	s_mov_b32 s16, 0x55555555
	s_mov_b32 s18, 0x968915a9
	;; [unrolled: 1-line block ×17, first 2 shown]
	s_waitcnt lgkmcnt(0)
	s_and_b32 s2, s2, 0xffff
	s_mov_b32 s54, 0x7c89e6b0
	v_add_lshl_u32 v15, v0, s2, 2
	s_mov_b32 s56, 0x14761f6e
	s_mov_b32 s58, 0x1852b7b0
	;; [unrolled: 1-line block ×14, first 2 shown]
	s_lshl_b32 s77, s2, 2
	s_lshl_b32 s78, s2, 5
	s_mov_b32 s31, 0x3fcc71c7
	s_mov_b32 s35, 0x3fd24924
	;; [unrolled: 1-line block ×23, first 2 shown]
.LBB137_3:                              ; =>This Inner Loop Header: Depth=1
	v_add_co_u32 v17, s2, s33, v21
	s_delay_alu instid0(VALU_DEP_1) | instskip(SKIP_1) | instid1(VALU_DEP_1)
	v_add_co_ci_u32_e64 v18, null, s72, 0, s2
	v_add_co_u32 v19, s2, s73, v21
	v_add_co_ci_u32_e64 v20, null, s74, 0, s2
	s_clause 0x1
	global_load_b128 v[5:8], v[17:18], off offset:16
	global_load_b128 v[1:4], v[17:18], off
	s_clause 0x1
	global_load_b128 v[9:12], v[19:20], off offset:16
	global_load_b128 v[22:25], v[19:20], off
	s_waitcnt vmcnt(2)
	v_cmp_eq_f64_e32 vcc_lo, 1.0, v[1:2]
	s_waitcnt vmcnt(1)
	v_mul_f64 v[9:10], v[9:10], s[8:9]
	s_waitcnt vmcnt(0)
	v_mul_f64 v[19:20], v[22:23], s[8:9]
	s_delay_alu instid0(VALU_DEP_1) | instskip(NEXT) | instid1(VALU_DEP_2)
	v_cndmask_b32_e64 v23, v20, 0x3ff00000, vcc_lo
	v_cndmask_b32_e64 v22, v19, 0, vcc_lo
	v_and_b32_e32 v20, 0x7fffffff, v20
	v_cndmask_b32_e64 v19, v19, 0, vcc_lo
	s_delay_alu instid0(VALU_DEP_3) | instskip(NEXT) | instid1(VALU_DEP_3)
	v_cmp_eq_f64_e64 s2, 0, v[22:23]
	v_cndmask_b32_e64 v20, v20, 0x3ff00000, vcc_lo
	s_delay_alu instid0(VALU_DEP_1) | instskip(NEXT) | instid1(VALU_DEP_3)
	v_cmp_eq_f64_e32 vcc_lo, 0x7ff00000, v[19:20]
	v_cndmask_b32_e64 v26, v1, 0, s2
	v_and_b32_e32 v1, 0x7fffffff, v2
	v_cndmask_b32_e64 v27, v2, 0x3ff00000, s2
	s_delay_alu instid0(VALU_DEP_2) | instskip(NEXT) | instid1(VALU_DEP_4)
	v_cndmask_b32_e64 v2, v1, 0x3ff00000, s2
	v_mov_b32_e32 v1, v26
	s_delay_alu instid0(VALU_DEP_1) | instskip(SKIP_2) | instid1(VALU_DEP_3)
	v_frexp_mant_f64_e32 v[28:29], v[1:2]
	v_frexp_exp_i32_f64_e32 v30, v[1:2]
	v_cmp_gt_f64_e64 s5, 1.0, v[1:2]
	v_cmp_gt_f64_e64 s2, s[16:17], v[28:29]
	s_delay_alu instid0(VALU_DEP_1) | instskip(NEXT) | instid1(VALU_DEP_1)
	v_cndmask_b32_e64 v14, 0x3ff00000, 2.0, s2
	v_mul_f64 v[28:29], v[28:29], v[13:14]
	v_subrev_co_ci_u32_e64 v14, s2, 0, v30, s2
	s_delay_alu instid0(VALU_DEP_2) | instskip(SKIP_1) | instid1(VALU_DEP_2)
	v_add_f64 v[32:33], v[28:29], 1.0
	v_add_f64 v[30:31], v[28:29], -1.0
	v_add_f64 v[34:35], v[32:33], -1.0
	s_delay_alu instid0(VALU_DEP_1) | instskip(SKIP_3) | instid1(VALU_DEP_1)
	v_add_f64 v[28:29], v[28:29], -v[34:35]
	v_rcp_f64_e32 v[34:35], v[32:33]
	s_waitcnt_depctr 0xfff
	v_fma_f64 v[36:37], -v[32:33], v[34:35], 1.0
	v_fma_f64 v[34:35], v[36:37], v[34:35], v[34:35]
	s_delay_alu instid0(VALU_DEP_1) | instskip(NEXT) | instid1(VALU_DEP_1)
	v_fma_f64 v[36:37], -v[32:33], v[34:35], 1.0
	v_fma_f64 v[34:35], v[36:37], v[34:35], v[34:35]
	s_delay_alu instid0(VALU_DEP_1) | instskip(NEXT) | instid1(VALU_DEP_1)
	v_mul_f64 v[36:37], v[30:31], v[34:35]
	v_mul_f64 v[38:39], v[32:33], v[36:37]
	s_delay_alu instid0(VALU_DEP_1) | instskip(NEXT) | instid1(VALU_DEP_1)
	v_fma_f64 v[32:33], v[36:37], v[32:33], -v[38:39]
	v_fma_f64 v[28:29], v[36:37], v[28:29], v[32:33]
	s_delay_alu instid0(VALU_DEP_1) | instskip(NEXT) | instid1(VALU_DEP_1)
	v_add_f64 v[32:33], v[38:39], v[28:29]
	v_add_f64 v[40:41], v[30:31], -v[32:33]
	v_add_f64 v[38:39], v[32:33], -v[38:39]
	s_delay_alu instid0(VALU_DEP_2) | instskip(NEXT) | instid1(VALU_DEP_2)
	v_add_f64 v[30:31], v[30:31], -v[40:41]
	v_add_f64 v[28:29], v[38:39], -v[28:29]
	v_cvt_f64_i32_e32 v[38:39], v14
	s_delay_alu instid0(VALU_DEP_3) | instskip(NEXT) | instid1(VALU_DEP_1)
	v_add_f64 v[30:31], v[30:31], -v[32:33]
	v_add_f64 v[28:29], v[28:29], v[30:31]
	s_delay_alu instid0(VALU_DEP_1) | instskip(NEXT) | instid1(VALU_DEP_4)
	v_add_f64 v[28:29], v[40:41], v[28:29]
	v_mul_f64 v[40:41], v[38:39], s[38:39]
	s_delay_alu instid0(VALU_DEP_2) | instskip(NEXT) | instid1(VALU_DEP_2)
	v_mul_f64 v[28:29], v[34:35], v[28:29]
	v_fma_f64 v[42:43], v[38:39], s[38:39], -v[40:41]
	s_delay_alu instid0(VALU_DEP_2) | instskip(NEXT) | instid1(VALU_DEP_2)
	v_add_f64 v[30:31], v[36:37], v[28:29]
	v_fma_f64 v[38:39], v[38:39], s[40:41], v[42:43]
	s_delay_alu instid0(VALU_DEP_2) | instskip(NEXT) | instid1(VALU_DEP_2)
	v_add_f64 v[32:33], v[30:31], -v[36:37]
	v_add_f64 v[42:43], v[40:41], v[38:39]
	s_delay_alu instid0(VALU_DEP_2) | instskip(SKIP_1) | instid1(VALU_DEP_3)
	v_add_f64 v[28:29], v[28:29], -v[32:33]
	v_mul_f64 v[32:33], v[30:31], v[30:31]
	v_add_f64 v[40:41], v[42:43], -v[40:41]
	s_delay_alu instid0(VALU_DEP_3) | instskip(NEXT) | instid1(VALU_DEP_3)
	v_add_f64 v[36:37], v[28:29], v[28:29]
	v_fma_f64 v[34:35], v[30:31], v[30:31], -v[32:33]
	v_ldexp_f64 v[44:45], v[28:29], 1
	s_delay_alu instid0(VALU_DEP_4) | instskip(SKIP_1) | instid1(VALU_DEP_4)
	v_add_f64 v[38:39], v[38:39], -v[40:41]
	v_ldexp_f64 v[40:41], v[30:31], 1
	v_fma_f64 v[34:35], v[30:31], v[36:37], v[34:35]
	s_delay_alu instid0(VALU_DEP_1) | instskip(NEXT) | instid1(VALU_DEP_1)
	v_add_f64 v[36:37], v[32:33], v[34:35]
	v_add_f64 v[32:33], v[36:37], -v[32:33]
	v_mul_f64 v[46:47], v[30:31], v[36:37]
	s_delay_alu instid0(VALU_DEP_2) | instskip(SKIP_1) | instid1(VALU_DEP_3)
	v_add_f64 v[32:33], v[34:35], -v[32:33]
	v_fma_f64 v[34:35], v[36:37], s[20:21], s[18:19]
	v_fma_f64 v[48:49], v[36:37], v[30:31], -v[46:47]
	s_delay_alu instid0(VALU_DEP_2) | instskip(NEXT) | instid1(VALU_DEP_2)
	v_fma_f64 v[34:35], v[36:37], v[34:35], s[22:23]
	v_fma_f64 v[28:29], v[36:37], v[28:29], v[48:49]
	s_delay_alu instid0(VALU_DEP_2) | instskip(NEXT) | instid1(VALU_DEP_2)
	v_fma_f64 v[34:35], v[36:37], v[34:35], s[24:25]
	v_fma_f64 v[28:29], v[32:33], v[30:31], v[28:29]
	s_delay_alu instid0(VALU_DEP_2) | instskip(NEXT) | instid1(VALU_DEP_2)
	v_fma_f64 v[34:35], v[36:37], v[34:35], s[26:27]
	v_add_f64 v[30:31], v[46:47], v[28:29]
	s_delay_alu instid0(VALU_DEP_2) | instskip(NEXT) | instid1(VALU_DEP_2)
	v_fma_f64 v[34:35], v[36:37], v[34:35], s[28:29]
	v_add_f64 v[46:47], v[30:31], -v[46:47]
	s_delay_alu instid0(VALU_DEP_2) | instskip(NEXT) | instid1(VALU_DEP_2)
	v_fma_f64 v[34:35], v[36:37], v[34:35], s[30:31]
	v_add_f64 v[28:29], v[28:29], -v[46:47]
	s_delay_alu instid0(VALU_DEP_2) | instskip(NEXT) | instid1(VALU_DEP_1)
	v_fma_f64 v[34:35], v[36:37], v[34:35], s[34:35]
	v_fma_f64 v[34:35], v[36:37], v[34:35], s[36:37]
	s_delay_alu instid0(VALU_DEP_1) | instskip(NEXT) | instid1(VALU_DEP_1)
	v_mul_f64 v[46:47], v[36:37], v[34:35]
	v_fma_f64 v[36:37], v[36:37], v[34:35], -v[46:47]
	s_delay_alu instid0(VALU_DEP_1) | instskip(NEXT) | instid1(VALU_DEP_1)
	v_fma_f64 v[32:33], v[32:33], v[34:35], v[36:37]
	v_add_f64 v[34:35], v[46:47], v[32:33]
	s_delay_alu instid0(VALU_DEP_1) | instskip(NEXT) | instid1(VALU_DEP_1)
	v_add_f64 v[36:37], v[34:35], -v[46:47]
	v_add_f64 v[32:33], v[32:33], -v[36:37]
	v_add_f64 v[36:37], v[34:35], s[16:17]
	s_delay_alu instid0(VALU_DEP_2) | instskip(NEXT) | instid1(VALU_DEP_2)
	v_add_f64 v[32:33], v[32:33], s[44:45]
	v_add_f64 v[46:47], v[36:37], s[42:43]
	s_delay_alu instid0(VALU_DEP_1) | instskip(NEXT) | instid1(VALU_DEP_1)
	v_add_f64 v[34:35], v[34:35], -v[46:47]
	v_add_f64 v[32:33], v[32:33], v[34:35]
	s_delay_alu instid0(VALU_DEP_1) | instskip(NEXT) | instid1(VALU_DEP_1)
	v_add_f64 v[34:35], v[36:37], v[32:33]
	v_add_f64 v[36:37], v[36:37], -v[34:35]
	s_delay_alu instid0(VALU_DEP_1) | instskip(SKIP_1) | instid1(VALU_DEP_1)
	v_add_f64 v[32:33], v[32:33], v[36:37]
	v_mul_f64 v[36:37], v[30:31], v[34:35]
	v_fma_f64 v[46:47], v[30:31], v[34:35], -v[36:37]
	s_delay_alu instid0(VALU_DEP_1) | instskip(NEXT) | instid1(VALU_DEP_1)
	v_fma_f64 v[30:31], v[30:31], v[32:33], v[46:47]
	v_fma_f64 v[28:29], v[28:29], v[34:35], v[30:31]
	s_delay_alu instid0(VALU_DEP_1) | instskip(NEXT) | instid1(VALU_DEP_1)
	v_add_f64 v[30:31], v[36:37], v[28:29]
	v_add_f64 v[32:33], v[30:31], -v[36:37]
	s_delay_alu instid0(VALU_DEP_1) | instskip(SKIP_1) | instid1(VALU_DEP_2)
	v_add_f64 v[28:29], v[28:29], -v[32:33]
	v_add_f64 v[32:33], v[40:41], v[30:31]
	v_add_f64 v[28:29], v[44:45], v[28:29]
	s_delay_alu instid0(VALU_DEP_2) | instskip(NEXT) | instid1(VALU_DEP_1)
	v_add_f64 v[34:35], v[32:33], -v[40:41]
	v_add_f64 v[30:31], v[30:31], -v[34:35]
	s_delay_alu instid0(VALU_DEP_1) | instskip(NEXT) | instid1(VALU_DEP_1)
	v_add_f64 v[28:29], v[28:29], v[30:31]
	v_add_f64 v[30:31], v[32:33], v[28:29]
	s_delay_alu instid0(VALU_DEP_1) | instskip(NEXT) | instid1(VALU_DEP_1)
	v_add_f64 v[32:33], v[30:31], -v[32:33]
	v_add_f64 v[28:29], v[28:29], -v[32:33]
	v_add_f64 v[32:33], v[42:43], v[30:31]
	s_delay_alu instid0(VALU_DEP_1) | instskip(NEXT) | instid1(VALU_DEP_1)
	v_add_f64 v[34:35], v[32:33], -v[42:43]
	v_add_f64 v[36:37], v[32:33], -v[34:35]
	;; [unrolled: 1-line block ×3, first 2 shown]
	v_add_f64 v[34:35], v[38:39], v[28:29]
	s_delay_alu instid0(VALU_DEP_3) | instskip(NEXT) | instid1(VALU_DEP_1)
	v_add_f64 v[36:37], v[42:43], -v[36:37]
	v_add_f64 v[30:31], v[30:31], v[36:37]
	s_delay_alu instid0(VALU_DEP_3) | instskip(NEXT) | instid1(VALU_DEP_2)
	v_add_f64 v[36:37], v[34:35], -v[38:39]
	v_add_f64 v[30:31], v[34:35], v[30:31]
	s_delay_alu instid0(VALU_DEP_2) | instskip(SKIP_1) | instid1(VALU_DEP_3)
	v_add_f64 v[40:41], v[34:35], -v[36:37]
	v_add_f64 v[28:29], v[28:29], -v[36:37]
	v_add_f64 v[34:35], v[32:33], v[30:31]
	s_delay_alu instid0(VALU_DEP_3) | instskip(NEXT) | instid1(VALU_DEP_2)
	v_add_f64 v[38:39], v[38:39], -v[40:41]
	v_add_f64 v[32:33], v[34:35], -v[32:33]
	s_delay_alu instid0(VALU_DEP_2) | instskip(NEXT) | instid1(VALU_DEP_2)
	v_add_f64 v[28:29], v[28:29], v[38:39]
	v_add_f64 v[30:31], v[30:31], -v[32:33]
	s_delay_alu instid0(VALU_DEP_1) | instskip(NEXT) | instid1(VALU_DEP_1)
	v_add_f64 v[28:29], v[28:29], v[30:31]
	v_add_f64 v[30:31], v[34:35], v[28:29]
	s_delay_alu instid0(VALU_DEP_1) | instskip(NEXT) | instid1(VALU_DEP_1)
	v_add_f64 v[32:33], v[30:31], -v[34:35]
	v_add_f64 v[28:29], v[28:29], -v[32:33]
	v_mul_f64 v[32:33], v[22:23], v[30:31]
	s_delay_alu instid0(VALU_DEP_1) | instskip(SKIP_1) | instid1(VALU_DEP_2)
	v_fma_f64 v[30:31], v[22:23], v[30:31], -v[32:33]
	v_cmp_class_f64_e64 s2, v[32:33], 0x204
	v_fma_f64 v[28:29], v[22:23], v[28:29], v[30:31]
	s_delay_alu instid0(VALU_DEP_1) | instskip(NEXT) | instid1(VALU_DEP_1)
	v_add_f64 v[30:31], v[32:33], v[28:29]
	v_add_f64 v[34:35], v[30:31], -v[32:33]
	s_delay_alu instid0(VALU_DEP_4) | instskip(SKIP_1) | instid1(VALU_DEP_1)
	v_cndmask_b32_e64 v31, v31, v33, s2
	v_cndmask_b32_e64 v30, v30, v32, s2
	v_mul_f64 v[32:33], v[30:31], s[46:47]
	v_cmp_neq_f64_e64 s2, 0x7ff00000, |v[30:31]|
	v_cmp_ngt_f64_e64 s3, 0xc090cc00, v[30:31]
	v_add_f64 v[28:29], v[28:29], -v[34:35]
	s_delay_alu instid0(VALU_DEP_4) | instskip(NEXT) | instid1(VALU_DEP_2)
	v_rndne_f64_e32 v[32:33], v[32:33]
	v_cndmask_b32_e64 v29, 0, v29, s2
	s_delay_alu instid0(VALU_DEP_3) | instskip(SKIP_1) | instid1(VALU_DEP_4)
	v_cndmask_b32_e64 v28, 0, v28, s2
	v_cmp_lt_f64_e64 s2, 0x40900000, v[30:31]
	v_fma_f64 v[34:35], v[32:33], s[68:69], v[30:31]
	v_cvt_i32_f64_e32 v14, v[32:33]
	s_delay_alu instid0(VALU_DEP_2) | instskip(NEXT) | instid1(VALU_DEP_1)
	v_fma_f64 v[34:35], v[32:33], s[70:71], v[34:35]
	v_fma_f64 v[36:37], v[34:35], s[50:51], s[48:49]
	s_delay_alu instid0(VALU_DEP_1) | instskip(NEXT) | instid1(VALU_DEP_1)
	v_fma_f64 v[36:37], v[34:35], v[36:37], s[52:53]
	v_fma_f64 v[36:37], v[34:35], v[36:37], s[54:55]
	s_delay_alu instid0(VALU_DEP_1) | instskip(NEXT) | instid1(VALU_DEP_1)
	;; [unrolled: 3-line block ×5, first 2 shown]
	v_fma_f64 v[36:37], v[34:35], v[36:37], 1.0
	v_fma_f64 v[34:35], v[34:35], v[36:37], 1.0
	s_delay_alu instid0(VALU_DEP_1) | instskip(NEXT) | instid1(VALU_DEP_1)
	v_ldexp_f64 v[32:33], v[34:35], v14
	v_cndmask_b32_e64 v14, v32, 0, s2
	s_delay_alu instid0(VALU_DEP_2) | instskip(SKIP_1) | instid1(VALU_DEP_3)
	v_cndmask_b32_e64 v34, v33, 0x7ff00000, s2
	v_and_b32_e32 v33, 0x7fffffff, v33
	v_cndmask_b32_e64 v30, 0, v14, s3
	s_delay_alu instid0(VALU_DEP_3) | instskip(NEXT) | instid1(VALU_DEP_3)
	v_cndmask_b32_e64 v31, 0, v34, s3
	v_cmp_eq_f64_e64 s4, 0x7ff00000, v[32:33]
	s_delay_alu instid0(VALU_DEP_2) | instskip(NEXT) | instid1(VALU_DEP_2)
	v_fma_f64 v[28:29], v[30:31], v[28:29], v[30:31]
	s_or_b32 s2, s2, s4
	v_cmp_gt_f64_e64 s4, 0, v[26:27]
	s_and_b32 s2, s3, s2
	s_delay_alu instid0(VALU_DEP_2) | instid1(SALU_CYCLE_1)
	v_cndmask_b32_e64 v14, v28, v30, s2
	s_delay_alu instid0(VALU_DEP_3) | instskip(SKIP_1) | instid1(VALU_DEP_1)
	v_cndmask_b32_e64 v32, v29, v31, s2
	v_trunc_f64_e32 v[28:29], v[22:23]
	v_cmp_eq_f64_e64 s2, v[28:29], v[22:23]
	v_mul_f64 v[28:29], v[22:23], 0.5
	s_delay_alu instid0(VALU_DEP_1) | instskip(NEXT) | instid1(VALU_DEP_1)
	v_trunc_f64_e32 v[30:31], v[28:29]
	v_cmp_neq_f64_e64 s3, v[30:31], v[28:29]
	s_delay_alu instid0(VALU_DEP_4) | instskip(NEXT) | instid1(VALU_DEP_1)
	v_cndmask_b32_e64 v29, 0, v14, s2
	v_cndmask_b32_e64 v14, v14, v29, s4
	s_delay_alu instid0(VALU_DEP_3) | instskip(NEXT) | instid1(SALU_CYCLE_1)
	s_and_b32 s3, s2, s3
	v_cndmask_b32_e64 v28, 0x3ff00000, v27, s3
	s_delay_alu instid0(VALU_DEP_1) | instskip(NEXT) | instid1(VALU_DEP_1)
	v_bfi_b32 v28, 0x7fffffff, v32, v28
	v_cndmask_b32_e64 v30, 0x7ff80000, v28, s2
	v_cmp_eq_f64_e64 s2, 1.0, v[1:2]
	s_delay_alu instid0(VALU_DEP_2) | instskip(SKIP_1) | instid1(VALU_DEP_1)
	v_cndmask_b32_e64 v28, v28, v30, s4
	v_cmp_neq_f64_e64 s4, v[22:23], v[19:20]
	s_xor_b32 s4, s4, s5
	s_delay_alu instid0(SALU_CYCLE_1) | instskip(SKIP_2) | instid1(VALU_DEP_3)
	v_cndmask_b32_e64 v19, v19, 0, s4
	v_cndmask_b32_e64 v20, v20, 0, s4
	v_cmp_gt_f64_e64 s4, 0, v[22:23]
	v_cndmask_b32_e64 v19, v19, v26, s2
	s_delay_alu instid0(VALU_DEP_3) | instskip(SKIP_1) | instid1(VALU_DEP_2)
	v_cndmask_b32_e64 v20, v20, v2, s2
	v_cmp_eq_f64_e64 s2, 0, v[26:27]
	v_dual_cndmask_b32 v14, v14, v19 :: v_dual_cndmask_b32 v19, v28, v20
	v_cmp_eq_f64_e32 vcc_lo, 0x7ff00000, v[1:2]
	v_cndmask_b32_e64 v2, 0, v27, s3
	s_delay_alu instid0(VALU_DEP_4) | instskip(SKIP_1) | instid1(SALU_CYCLE_1)
	s_or_b32 vcc_lo, vcc_lo, s2
	s_xor_b32 s2, s4, s2
	v_cndmask_b32_e64 v1, 0x7ff00000, 0, s2
	s_delay_alu instid0(VALU_DEP_1) | instskip(NEXT) | instid1(VALU_DEP_1)
	v_bfi_b32 v1, 0x7fffffff, v1, v2
	v_cndmask_b32_e32 v2, v19, v1, vcc_lo
	v_cndmask_b32_e64 v1, v14, 0, vcc_lo
	v_cmp_o_f64_e32 vcc_lo, v[26:27], v[22:23]
	v_mul_f64 v[19:20], v[24:25], s[8:9]
	s_delay_alu instid0(VALU_DEP_3) | instskip(SKIP_2) | instid1(VALU_DEP_4)
	v_cndmask_b32_e32 v1, 0, v1, vcc_lo
	v_cndmask_b32_e32 v2, 0x7ff80000, v2, vcc_lo
	v_cmp_eq_f64_e32 vcc_lo, 1.0, v[3:4]
	v_cndmask_b32_e64 v23, v20, 0x3ff00000, vcc_lo
	v_cndmask_b32_e64 v22, v19, 0, vcc_lo
	;; [unrolled: 1-line block ×3, first 2 shown]
	v_and_b32_e32 v20, 0x7fffffff, v20
	s_delay_alu instid0(VALU_DEP_3) | instskip(NEXT) | instid1(VALU_DEP_2)
	v_cmp_eq_f64_e64 s2, 0, v[22:23]
	v_cndmask_b32_e64 v20, v20, 0x3ff00000, vcc_lo
	s_delay_alu instid0(VALU_DEP_1) | instskip(NEXT) | instid1(VALU_DEP_3)
	v_cmp_eq_f64_e32 vcc_lo, 0x7ff00000, v[19:20]
	v_cndmask_b32_e64 v24, v3, 0, s2
	v_and_b32_e32 v3, 0x7fffffff, v4
	v_cndmask_b32_e64 v25, v4, 0x3ff00000, s2
	s_delay_alu instid0(VALU_DEP_2) | instskip(NEXT) | instid1(VALU_DEP_4)
	v_cndmask_b32_e64 v4, v3, 0x3ff00000, s2
	v_mov_b32_e32 v3, v24
	s_delay_alu instid0(VALU_DEP_1) | instskip(SKIP_2) | instid1(VALU_DEP_3)
	v_frexp_mant_f64_e32 v[26:27], v[3:4]
	v_frexp_exp_i32_f64_e32 v28, v[3:4]
	v_cmp_gt_f64_e64 s5, 1.0, v[3:4]
	v_cmp_gt_f64_e64 s2, s[16:17], v[26:27]
	s_delay_alu instid0(VALU_DEP_1) | instskip(NEXT) | instid1(VALU_DEP_1)
	v_cndmask_b32_e64 v14, 0x3ff00000, 2.0, s2
	v_mul_f64 v[26:27], v[26:27], v[13:14]
	v_subrev_co_ci_u32_e64 v14, s2, 0, v28, s2
	s_delay_alu instid0(VALU_DEP_2) | instskip(SKIP_1) | instid1(VALU_DEP_2)
	v_add_f64 v[30:31], v[26:27], 1.0
	v_add_f64 v[28:29], v[26:27], -1.0
	v_add_f64 v[32:33], v[30:31], -1.0
	s_delay_alu instid0(VALU_DEP_1) | instskip(SKIP_3) | instid1(VALU_DEP_1)
	v_add_f64 v[26:27], v[26:27], -v[32:33]
	v_rcp_f64_e32 v[32:33], v[30:31]
	s_waitcnt_depctr 0xfff
	v_fma_f64 v[34:35], -v[30:31], v[32:33], 1.0
	v_fma_f64 v[32:33], v[34:35], v[32:33], v[32:33]
	s_delay_alu instid0(VALU_DEP_1) | instskip(NEXT) | instid1(VALU_DEP_1)
	v_fma_f64 v[34:35], -v[30:31], v[32:33], 1.0
	v_fma_f64 v[32:33], v[34:35], v[32:33], v[32:33]
	s_delay_alu instid0(VALU_DEP_1) | instskip(NEXT) | instid1(VALU_DEP_1)
	v_mul_f64 v[34:35], v[28:29], v[32:33]
	v_mul_f64 v[36:37], v[30:31], v[34:35]
	s_delay_alu instid0(VALU_DEP_1) | instskip(NEXT) | instid1(VALU_DEP_1)
	v_fma_f64 v[30:31], v[34:35], v[30:31], -v[36:37]
	v_fma_f64 v[26:27], v[34:35], v[26:27], v[30:31]
	s_delay_alu instid0(VALU_DEP_1) | instskip(NEXT) | instid1(VALU_DEP_1)
	v_add_f64 v[30:31], v[36:37], v[26:27]
	v_add_f64 v[38:39], v[28:29], -v[30:31]
	v_add_f64 v[36:37], v[30:31], -v[36:37]
	s_delay_alu instid0(VALU_DEP_2) | instskip(NEXT) | instid1(VALU_DEP_2)
	v_add_f64 v[28:29], v[28:29], -v[38:39]
	v_add_f64 v[26:27], v[36:37], -v[26:27]
	v_cvt_f64_i32_e32 v[36:37], v14
	s_delay_alu instid0(VALU_DEP_3) | instskip(NEXT) | instid1(VALU_DEP_1)
	v_add_f64 v[28:29], v[28:29], -v[30:31]
	v_add_f64 v[26:27], v[26:27], v[28:29]
	s_delay_alu instid0(VALU_DEP_1) | instskip(NEXT) | instid1(VALU_DEP_4)
	v_add_f64 v[26:27], v[38:39], v[26:27]
	v_mul_f64 v[38:39], v[36:37], s[38:39]
	s_delay_alu instid0(VALU_DEP_2) | instskip(NEXT) | instid1(VALU_DEP_2)
	v_mul_f64 v[26:27], v[32:33], v[26:27]
	v_fma_f64 v[40:41], v[36:37], s[38:39], -v[38:39]
	s_delay_alu instid0(VALU_DEP_2) | instskip(NEXT) | instid1(VALU_DEP_2)
	v_add_f64 v[28:29], v[34:35], v[26:27]
	v_fma_f64 v[36:37], v[36:37], s[40:41], v[40:41]
	s_delay_alu instid0(VALU_DEP_2) | instskip(NEXT) | instid1(VALU_DEP_2)
	v_add_f64 v[30:31], v[28:29], -v[34:35]
	v_add_f64 v[40:41], v[38:39], v[36:37]
	s_delay_alu instid0(VALU_DEP_2) | instskip(SKIP_1) | instid1(VALU_DEP_3)
	v_add_f64 v[26:27], v[26:27], -v[30:31]
	v_mul_f64 v[30:31], v[28:29], v[28:29]
	v_add_f64 v[38:39], v[40:41], -v[38:39]
	s_delay_alu instid0(VALU_DEP_3) | instskip(NEXT) | instid1(VALU_DEP_3)
	v_add_f64 v[34:35], v[26:27], v[26:27]
	v_fma_f64 v[32:33], v[28:29], v[28:29], -v[30:31]
	v_ldexp_f64 v[42:43], v[26:27], 1
	s_delay_alu instid0(VALU_DEP_4) | instskip(SKIP_1) | instid1(VALU_DEP_4)
	v_add_f64 v[36:37], v[36:37], -v[38:39]
	v_ldexp_f64 v[38:39], v[28:29], 1
	v_fma_f64 v[32:33], v[28:29], v[34:35], v[32:33]
	s_delay_alu instid0(VALU_DEP_1) | instskip(NEXT) | instid1(VALU_DEP_1)
	v_add_f64 v[34:35], v[30:31], v[32:33]
	v_add_f64 v[30:31], v[34:35], -v[30:31]
	v_mul_f64 v[44:45], v[28:29], v[34:35]
	s_delay_alu instid0(VALU_DEP_2) | instskip(SKIP_1) | instid1(VALU_DEP_3)
	v_add_f64 v[30:31], v[32:33], -v[30:31]
	v_fma_f64 v[32:33], v[34:35], s[20:21], s[18:19]
	v_fma_f64 v[46:47], v[34:35], v[28:29], -v[44:45]
	s_delay_alu instid0(VALU_DEP_2) | instskip(NEXT) | instid1(VALU_DEP_2)
	v_fma_f64 v[32:33], v[34:35], v[32:33], s[22:23]
	v_fma_f64 v[26:27], v[34:35], v[26:27], v[46:47]
	s_delay_alu instid0(VALU_DEP_2) | instskip(NEXT) | instid1(VALU_DEP_2)
	v_fma_f64 v[32:33], v[34:35], v[32:33], s[24:25]
	v_fma_f64 v[26:27], v[30:31], v[28:29], v[26:27]
	s_delay_alu instid0(VALU_DEP_2) | instskip(NEXT) | instid1(VALU_DEP_2)
	v_fma_f64 v[32:33], v[34:35], v[32:33], s[26:27]
	v_add_f64 v[28:29], v[44:45], v[26:27]
	s_delay_alu instid0(VALU_DEP_2) | instskip(NEXT) | instid1(VALU_DEP_2)
	v_fma_f64 v[32:33], v[34:35], v[32:33], s[28:29]
	v_add_f64 v[44:45], v[28:29], -v[44:45]
	s_delay_alu instid0(VALU_DEP_2) | instskip(NEXT) | instid1(VALU_DEP_2)
	v_fma_f64 v[32:33], v[34:35], v[32:33], s[30:31]
	v_add_f64 v[26:27], v[26:27], -v[44:45]
	s_delay_alu instid0(VALU_DEP_2) | instskip(NEXT) | instid1(VALU_DEP_1)
	v_fma_f64 v[32:33], v[34:35], v[32:33], s[34:35]
	v_fma_f64 v[32:33], v[34:35], v[32:33], s[36:37]
	s_delay_alu instid0(VALU_DEP_1) | instskip(NEXT) | instid1(VALU_DEP_1)
	v_mul_f64 v[44:45], v[34:35], v[32:33]
	v_fma_f64 v[34:35], v[34:35], v[32:33], -v[44:45]
	s_delay_alu instid0(VALU_DEP_1) | instskip(NEXT) | instid1(VALU_DEP_1)
	v_fma_f64 v[30:31], v[30:31], v[32:33], v[34:35]
	v_add_f64 v[32:33], v[44:45], v[30:31]
	s_delay_alu instid0(VALU_DEP_1) | instskip(NEXT) | instid1(VALU_DEP_1)
	v_add_f64 v[34:35], v[32:33], -v[44:45]
	v_add_f64 v[30:31], v[30:31], -v[34:35]
	v_add_f64 v[34:35], v[32:33], s[16:17]
	s_delay_alu instid0(VALU_DEP_2) | instskip(NEXT) | instid1(VALU_DEP_2)
	v_add_f64 v[30:31], v[30:31], s[44:45]
	v_add_f64 v[44:45], v[34:35], s[42:43]
	s_delay_alu instid0(VALU_DEP_1) | instskip(NEXT) | instid1(VALU_DEP_1)
	v_add_f64 v[32:33], v[32:33], -v[44:45]
	v_add_f64 v[30:31], v[30:31], v[32:33]
	s_delay_alu instid0(VALU_DEP_1) | instskip(NEXT) | instid1(VALU_DEP_1)
	v_add_f64 v[32:33], v[34:35], v[30:31]
	v_add_f64 v[34:35], v[34:35], -v[32:33]
	s_delay_alu instid0(VALU_DEP_1) | instskip(SKIP_1) | instid1(VALU_DEP_1)
	v_add_f64 v[30:31], v[30:31], v[34:35]
	v_mul_f64 v[34:35], v[28:29], v[32:33]
	v_fma_f64 v[44:45], v[28:29], v[32:33], -v[34:35]
	s_delay_alu instid0(VALU_DEP_1) | instskip(NEXT) | instid1(VALU_DEP_1)
	v_fma_f64 v[28:29], v[28:29], v[30:31], v[44:45]
	v_fma_f64 v[26:27], v[26:27], v[32:33], v[28:29]
	s_delay_alu instid0(VALU_DEP_1) | instskip(NEXT) | instid1(VALU_DEP_1)
	v_add_f64 v[28:29], v[34:35], v[26:27]
	v_add_f64 v[30:31], v[28:29], -v[34:35]
	s_delay_alu instid0(VALU_DEP_1) | instskip(SKIP_1) | instid1(VALU_DEP_2)
	v_add_f64 v[26:27], v[26:27], -v[30:31]
	v_add_f64 v[30:31], v[38:39], v[28:29]
	v_add_f64 v[26:27], v[42:43], v[26:27]
	s_delay_alu instid0(VALU_DEP_2) | instskip(NEXT) | instid1(VALU_DEP_1)
	v_add_f64 v[32:33], v[30:31], -v[38:39]
	v_add_f64 v[28:29], v[28:29], -v[32:33]
	s_delay_alu instid0(VALU_DEP_1) | instskip(NEXT) | instid1(VALU_DEP_1)
	v_add_f64 v[26:27], v[26:27], v[28:29]
	v_add_f64 v[28:29], v[30:31], v[26:27]
	s_delay_alu instid0(VALU_DEP_1) | instskip(NEXT) | instid1(VALU_DEP_1)
	v_add_f64 v[30:31], v[28:29], -v[30:31]
	v_add_f64 v[26:27], v[26:27], -v[30:31]
	v_add_f64 v[30:31], v[40:41], v[28:29]
	s_delay_alu instid0(VALU_DEP_1) | instskip(NEXT) | instid1(VALU_DEP_1)
	v_add_f64 v[32:33], v[30:31], -v[40:41]
	v_add_f64 v[34:35], v[30:31], -v[32:33]
	v_add_f64 v[28:29], v[28:29], -v[32:33]
	v_add_f64 v[32:33], v[36:37], v[26:27]
	s_delay_alu instid0(VALU_DEP_3) | instskip(NEXT) | instid1(VALU_DEP_1)
	v_add_f64 v[34:35], v[40:41], -v[34:35]
	v_add_f64 v[28:29], v[28:29], v[34:35]
	s_delay_alu instid0(VALU_DEP_3) | instskip(NEXT) | instid1(VALU_DEP_2)
	v_add_f64 v[34:35], v[32:33], -v[36:37]
	v_add_f64 v[28:29], v[32:33], v[28:29]
	s_delay_alu instid0(VALU_DEP_2) | instskip(SKIP_1) | instid1(VALU_DEP_3)
	v_add_f64 v[38:39], v[32:33], -v[34:35]
	v_add_f64 v[26:27], v[26:27], -v[34:35]
	v_add_f64 v[32:33], v[30:31], v[28:29]
	s_delay_alu instid0(VALU_DEP_3) | instskip(NEXT) | instid1(VALU_DEP_2)
	v_add_f64 v[36:37], v[36:37], -v[38:39]
	v_add_f64 v[30:31], v[32:33], -v[30:31]
	s_delay_alu instid0(VALU_DEP_2) | instskip(NEXT) | instid1(VALU_DEP_2)
	v_add_f64 v[26:27], v[26:27], v[36:37]
	v_add_f64 v[28:29], v[28:29], -v[30:31]
	s_delay_alu instid0(VALU_DEP_1) | instskip(NEXT) | instid1(VALU_DEP_1)
	v_add_f64 v[26:27], v[26:27], v[28:29]
	v_add_f64 v[28:29], v[32:33], v[26:27]
	s_delay_alu instid0(VALU_DEP_1) | instskip(NEXT) | instid1(VALU_DEP_1)
	v_add_f64 v[30:31], v[28:29], -v[32:33]
	v_add_f64 v[26:27], v[26:27], -v[30:31]
	v_mul_f64 v[30:31], v[22:23], v[28:29]
	s_delay_alu instid0(VALU_DEP_1) | instskip(SKIP_1) | instid1(VALU_DEP_2)
	v_fma_f64 v[28:29], v[22:23], v[28:29], -v[30:31]
	v_cmp_class_f64_e64 s2, v[30:31], 0x204
	v_fma_f64 v[26:27], v[22:23], v[26:27], v[28:29]
	s_delay_alu instid0(VALU_DEP_1) | instskip(NEXT) | instid1(VALU_DEP_1)
	v_add_f64 v[28:29], v[30:31], v[26:27]
	v_add_f64 v[32:33], v[28:29], -v[30:31]
	s_delay_alu instid0(VALU_DEP_4) | instskip(SKIP_1) | instid1(VALU_DEP_1)
	v_cndmask_b32_e64 v29, v29, v31, s2
	v_cndmask_b32_e64 v28, v28, v30, s2
	v_mul_f64 v[30:31], v[28:29], s[46:47]
	v_cmp_neq_f64_e64 s2, 0x7ff00000, |v[28:29]|
	v_cmp_ngt_f64_e64 s3, 0xc090cc00, v[28:29]
	v_add_f64 v[26:27], v[26:27], -v[32:33]
	s_delay_alu instid0(VALU_DEP_4) | instskip(NEXT) | instid1(VALU_DEP_2)
	v_rndne_f64_e32 v[30:31], v[30:31]
	v_cndmask_b32_e64 v27, 0, v27, s2
	s_delay_alu instid0(VALU_DEP_3) | instskip(SKIP_1) | instid1(VALU_DEP_4)
	v_cndmask_b32_e64 v26, 0, v26, s2
	v_cmp_lt_f64_e64 s2, 0x40900000, v[28:29]
	v_fma_f64 v[32:33], v[30:31], s[68:69], v[28:29]
	v_cvt_i32_f64_e32 v14, v[30:31]
	s_delay_alu instid0(VALU_DEP_2) | instskip(NEXT) | instid1(VALU_DEP_1)
	v_fma_f64 v[32:33], v[30:31], s[70:71], v[32:33]
	v_fma_f64 v[34:35], v[32:33], s[50:51], s[48:49]
	s_delay_alu instid0(VALU_DEP_1) | instskip(NEXT) | instid1(VALU_DEP_1)
	v_fma_f64 v[34:35], v[32:33], v[34:35], s[52:53]
	v_fma_f64 v[34:35], v[32:33], v[34:35], s[54:55]
	s_delay_alu instid0(VALU_DEP_1) | instskip(NEXT) | instid1(VALU_DEP_1)
	;; [unrolled: 3-line block ×5, first 2 shown]
	v_fma_f64 v[34:35], v[32:33], v[34:35], 1.0
	v_fma_f64 v[32:33], v[32:33], v[34:35], 1.0
	s_delay_alu instid0(VALU_DEP_1) | instskip(NEXT) | instid1(VALU_DEP_1)
	v_ldexp_f64 v[30:31], v[32:33], v14
	v_cndmask_b32_e64 v14, v30, 0, s2
	s_delay_alu instid0(VALU_DEP_2) | instskip(SKIP_1) | instid1(VALU_DEP_3)
	v_cndmask_b32_e64 v32, v31, 0x7ff00000, s2
	v_and_b32_e32 v31, 0x7fffffff, v31
	v_cndmask_b32_e64 v28, 0, v14, s3
	s_delay_alu instid0(VALU_DEP_3) | instskip(NEXT) | instid1(VALU_DEP_3)
	v_cndmask_b32_e64 v29, 0, v32, s3
	v_cmp_eq_f64_e64 s4, 0x7ff00000, v[30:31]
	s_delay_alu instid0(VALU_DEP_2) | instskip(NEXT) | instid1(VALU_DEP_2)
	v_fma_f64 v[26:27], v[28:29], v[26:27], v[28:29]
	s_or_b32 s2, s2, s4
	v_cmp_gt_f64_e64 s4, 0, v[24:25]
	s_and_b32 s2, s3, s2
	s_delay_alu instid0(VALU_DEP_2) | instid1(SALU_CYCLE_1)
	v_cndmask_b32_e64 v14, v26, v28, s2
	s_delay_alu instid0(VALU_DEP_3) | instskip(SKIP_1) | instid1(VALU_DEP_1)
	v_cndmask_b32_e64 v30, v27, v29, s2
	v_trunc_f64_e32 v[26:27], v[22:23]
	v_cmp_eq_f64_e64 s2, v[26:27], v[22:23]
	v_mul_f64 v[26:27], v[22:23], 0.5
	s_delay_alu instid0(VALU_DEP_1) | instskip(NEXT) | instid1(VALU_DEP_1)
	v_trunc_f64_e32 v[28:29], v[26:27]
	v_cmp_neq_f64_e64 s3, v[28:29], v[26:27]
	s_delay_alu instid0(VALU_DEP_4) | instskip(NEXT) | instid1(VALU_DEP_1)
	v_cndmask_b32_e64 v27, 0, v14, s2
	v_cndmask_b32_e64 v14, v14, v27, s4
	s_delay_alu instid0(VALU_DEP_3) | instskip(NEXT) | instid1(SALU_CYCLE_1)
	s_and_b32 s3, s2, s3
	v_cndmask_b32_e64 v26, 0x3ff00000, v25, s3
	s_delay_alu instid0(VALU_DEP_1) | instskip(NEXT) | instid1(VALU_DEP_1)
	v_bfi_b32 v26, 0x7fffffff, v30, v26
	v_cndmask_b32_e64 v28, 0x7ff80000, v26, s2
	v_cmp_eq_f64_e64 s2, 1.0, v[3:4]
	s_delay_alu instid0(VALU_DEP_2) | instskip(SKIP_1) | instid1(VALU_DEP_1)
	v_cndmask_b32_e64 v26, v26, v28, s4
	v_cmp_neq_f64_e64 s4, v[22:23], v[19:20]
	s_xor_b32 s4, s4, s5
	s_delay_alu instid0(SALU_CYCLE_1) | instskip(SKIP_2) | instid1(VALU_DEP_3)
	v_cndmask_b32_e64 v19, v19, 0, s4
	v_cndmask_b32_e64 v20, v20, 0, s4
	v_cmp_gt_f64_e64 s4, 0, v[22:23]
	v_cndmask_b32_e64 v19, v19, v24, s2
	s_delay_alu instid0(VALU_DEP_3) | instskip(SKIP_1) | instid1(VALU_DEP_3)
	v_cndmask_b32_e64 v20, v20, v4, s2
	v_cmp_eq_f64_e64 s2, 0, v[24:25]
	v_cndmask_b32_e32 v14, v14, v19, vcc_lo
	s_delay_alu instid0(VALU_DEP_3) | instskip(SKIP_4) | instid1(SALU_CYCLE_1)
	v_cndmask_b32_e32 v19, v26, v20, vcc_lo
	v_cmp_eq_f64_e32 vcc_lo, 0x7ff00000, v[3:4]
	v_cndmask_b32_e64 v4, 0, v25, s3
	s_or_b32 vcc_lo, vcc_lo, s2
	s_xor_b32 s2, s4, s2
	v_cndmask_b32_e64 v3, 0x7ff00000, 0, s2
	s_delay_alu instid0(VALU_DEP_1) | instskip(NEXT) | instid1(VALU_DEP_1)
	v_bfi_b32 v3, 0x7fffffff, v3, v4
	v_cndmask_b32_e32 v4, v19, v3, vcc_lo
	v_cndmask_b32_e64 v3, v14, 0, vcc_lo
	v_cmp_o_f64_e32 vcc_lo, v[24:25], v[22:23]
	s_delay_alu instid0(VALU_DEP_2) | instskip(NEXT) | instid1(VALU_DEP_4)
	v_cndmask_b32_e32 v3, 0, v3, vcc_lo
	v_cndmask_b32_e32 v4, 0x7ff80000, v4, vcc_lo
	v_cmp_eq_f64_e32 vcc_lo, 1.0, v[5:6]
	v_cndmask_b32_e64 v20, v10, 0x3ff00000, vcc_lo
	v_cndmask_b32_e64 v19, v9, 0, vcc_lo
	v_and_b32_e32 v10, 0x7fffffff, v10
	v_cndmask_b32_e64 v9, v9, 0, vcc_lo
	s_delay_alu instid0(VALU_DEP_3) | instskip(NEXT) | instid1(VALU_DEP_3)
	v_cmp_eq_f64_e64 s2, 0, v[19:20]
	v_cndmask_b32_e64 v10, v10, 0x3ff00000, vcc_lo
	s_delay_alu instid0(VALU_DEP_1) | instskip(NEXT) | instid1(VALU_DEP_3)
	v_cmp_eq_f64_e32 vcc_lo, 0x7ff00000, v[9:10]
	v_cndmask_b32_e64 v22, v5, 0, s2
	v_and_b32_e32 v5, 0x7fffffff, v6
	v_cndmask_b32_e64 v23, v6, 0x3ff00000, s2
	s_delay_alu instid0(VALU_DEP_2) | instskip(NEXT) | instid1(VALU_DEP_4)
	v_cndmask_b32_e64 v6, v5, 0x3ff00000, s2
	v_mov_b32_e32 v5, v22
	s_delay_alu instid0(VALU_DEP_1) | instskip(SKIP_2) | instid1(VALU_DEP_3)
	v_frexp_mant_f64_e32 v[24:25], v[5:6]
	v_frexp_exp_i32_f64_e32 v26, v[5:6]
	v_cmp_gt_f64_e64 s5, 1.0, v[5:6]
	v_cmp_gt_f64_e64 s2, s[16:17], v[24:25]
	s_delay_alu instid0(VALU_DEP_1) | instskip(NEXT) | instid1(VALU_DEP_1)
	v_cndmask_b32_e64 v14, 0x3ff00000, 2.0, s2
	v_mul_f64 v[24:25], v[24:25], v[13:14]
	v_subrev_co_ci_u32_e64 v14, s2, 0, v26, s2
	s_delay_alu instid0(VALU_DEP_2) | instskip(SKIP_1) | instid1(VALU_DEP_2)
	v_add_f64 v[28:29], v[24:25], 1.0
	v_add_f64 v[26:27], v[24:25], -1.0
	v_add_f64 v[30:31], v[28:29], -1.0
	s_delay_alu instid0(VALU_DEP_1) | instskip(SKIP_3) | instid1(VALU_DEP_1)
	v_add_f64 v[24:25], v[24:25], -v[30:31]
	v_rcp_f64_e32 v[30:31], v[28:29]
	s_waitcnt_depctr 0xfff
	v_fma_f64 v[32:33], -v[28:29], v[30:31], 1.0
	v_fma_f64 v[30:31], v[32:33], v[30:31], v[30:31]
	s_delay_alu instid0(VALU_DEP_1) | instskip(NEXT) | instid1(VALU_DEP_1)
	v_fma_f64 v[32:33], -v[28:29], v[30:31], 1.0
	v_fma_f64 v[30:31], v[32:33], v[30:31], v[30:31]
	s_delay_alu instid0(VALU_DEP_1) | instskip(NEXT) | instid1(VALU_DEP_1)
	v_mul_f64 v[32:33], v[26:27], v[30:31]
	v_mul_f64 v[34:35], v[28:29], v[32:33]
	s_delay_alu instid0(VALU_DEP_1) | instskip(NEXT) | instid1(VALU_DEP_1)
	v_fma_f64 v[28:29], v[32:33], v[28:29], -v[34:35]
	v_fma_f64 v[24:25], v[32:33], v[24:25], v[28:29]
	s_delay_alu instid0(VALU_DEP_1) | instskip(NEXT) | instid1(VALU_DEP_1)
	v_add_f64 v[28:29], v[34:35], v[24:25]
	v_add_f64 v[36:37], v[26:27], -v[28:29]
	v_add_f64 v[34:35], v[28:29], -v[34:35]
	s_delay_alu instid0(VALU_DEP_2) | instskip(NEXT) | instid1(VALU_DEP_2)
	v_add_f64 v[26:27], v[26:27], -v[36:37]
	v_add_f64 v[24:25], v[34:35], -v[24:25]
	v_cvt_f64_i32_e32 v[34:35], v14
	s_delay_alu instid0(VALU_DEP_3) | instskip(NEXT) | instid1(VALU_DEP_1)
	v_add_f64 v[26:27], v[26:27], -v[28:29]
	v_add_f64 v[24:25], v[24:25], v[26:27]
	s_delay_alu instid0(VALU_DEP_1) | instskip(NEXT) | instid1(VALU_DEP_4)
	v_add_f64 v[24:25], v[36:37], v[24:25]
	v_mul_f64 v[36:37], v[34:35], s[38:39]
	s_delay_alu instid0(VALU_DEP_2) | instskip(NEXT) | instid1(VALU_DEP_2)
	v_mul_f64 v[24:25], v[30:31], v[24:25]
	v_fma_f64 v[38:39], v[34:35], s[38:39], -v[36:37]
	s_delay_alu instid0(VALU_DEP_2) | instskip(NEXT) | instid1(VALU_DEP_2)
	v_add_f64 v[26:27], v[32:33], v[24:25]
	v_fma_f64 v[34:35], v[34:35], s[40:41], v[38:39]
	s_delay_alu instid0(VALU_DEP_2) | instskip(NEXT) | instid1(VALU_DEP_2)
	v_add_f64 v[28:29], v[26:27], -v[32:33]
	v_add_f64 v[38:39], v[36:37], v[34:35]
	s_delay_alu instid0(VALU_DEP_2) | instskip(SKIP_1) | instid1(VALU_DEP_3)
	v_add_f64 v[24:25], v[24:25], -v[28:29]
	v_mul_f64 v[28:29], v[26:27], v[26:27]
	v_add_f64 v[36:37], v[38:39], -v[36:37]
	s_delay_alu instid0(VALU_DEP_3) | instskip(NEXT) | instid1(VALU_DEP_3)
	v_add_f64 v[32:33], v[24:25], v[24:25]
	v_fma_f64 v[30:31], v[26:27], v[26:27], -v[28:29]
	v_ldexp_f64 v[40:41], v[24:25], 1
	s_delay_alu instid0(VALU_DEP_4) | instskip(SKIP_1) | instid1(VALU_DEP_4)
	v_add_f64 v[34:35], v[34:35], -v[36:37]
	v_ldexp_f64 v[36:37], v[26:27], 1
	v_fma_f64 v[30:31], v[26:27], v[32:33], v[30:31]
	s_delay_alu instid0(VALU_DEP_1) | instskip(NEXT) | instid1(VALU_DEP_1)
	v_add_f64 v[32:33], v[28:29], v[30:31]
	v_add_f64 v[28:29], v[32:33], -v[28:29]
	v_mul_f64 v[42:43], v[26:27], v[32:33]
	s_delay_alu instid0(VALU_DEP_2) | instskip(SKIP_1) | instid1(VALU_DEP_3)
	v_add_f64 v[28:29], v[30:31], -v[28:29]
	v_fma_f64 v[30:31], v[32:33], s[20:21], s[18:19]
	v_fma_f64 v[44:45], v[32:33], v[26:27], -v[42:43]
	s_delay_alu instid0(VALU_DEP_2) | instskip(NEXT) | instid1(VALU_DEP_2)
	v_fma_f64 v[30:31], v[32:33], v[30:31], s[22:23]
	v_fma_f64 v[24:25], v[32:33], v[24:25], v[44:45]
	s_delay_alu instid0(VALU_DEP_2) | instskip(NEXT) | instid1(VALU_DEP_2)
	v_fma_f64 v[30:31], v[32:33], v[30:31], s[24:25]
	v_fma_f64 v[24:25], v[28:29], v[26:27], v[24:25]
	s_delay_alu instid0(VALU_DEP_2) | instskip(NEXT) | instid1(VALU_DEP_2)
	v_fma_f64 v[30:31], v[32:33], v[30:31], s[26:27]
	v_add_f64 v[26:27], v[42:43], v[24:25]
	s_delay_alu instid0(VALU_DEP_2) | instskip(NEXT) | instid1(VALU_DEP_2)
	v_fma_f64 v[30:31], v[32:33], v[30:31], s[28:29]
	v_add_f64 v[42:43], v[26:27], -v[42:43]
	s_delay_alu instid0(VALU_DEP_2) | instskip(NEXT) | instid1(VALU_DEP_2)
	v_fma_f64 v[30:31], v[32:33], v[30:31], s[30:31]
	v_add_f64 v[24:25], v[24:25], -v[42:43]
	s_delay_alu instid0(VALU_DEP_2) | instskip(NEXT) | instid1(VALU_DEP_1)
	v_fma_f64 v[30:31], v[32:33], v[30:31], s[34:35]
	v_fma_f64 v[30:31], v[32:33], v[30:31], s[36:37]
	s_delay_alu instid0(VALU_DEP_1) | instskip(NEXT) | instid1(VALU_DEP_1)
	v_mul_f64 v[42:43], v[32:33], v[30:31]
	v_fma_f64 v[32:33], v[32:33], v[30:31], -v[42:43]
	s_delay_alu instid0(VALU_DEP_1) | instskip(NEXT) | instid1(VALU_DEP_1)
	v_fma_f64 v[28:29], v[28:29], v[30:31], v[32:33]
	v_add_f64 v[30:31], v[42:43], v[28:29]
	s_delay_alu instid0(VALU_DEP_1) | instskip(NEXT) | instid1(VALU_DEP_1)
	v_add_f64 v[32:33], v[30:31], -v[42:43]
	v_add_f64 v[28:29], v[28:29], -v[32:33]
	v_add_f64 v[32:33], v[30:31], s[16:17]
	s_delay_alu instid0(VALU_DEP_2) | instskip(NEXT) | instid1(VALU_DEP_2)
	v_add_f64 v[28:29], v[28:29], s[44:45]
	v_add_f64 v[42:43], v[32:33], s[42:43]
	s_delay_alu instid0(VALU_DEP_1) | instskip(NEXT) | instid1(VALU_DEP_1)
	v_add_f64 v[30:31], v[30:31], -v[42:43]
	v_add_f64 v[28:29], v[28:29], v[30:31]
	s_delay_alu instid0(VALU_DEP_1) | instskip(NEXT) | instid1(VALU_DEP_1)
	v_add_f64 v[30:31], v[32:33], v[28:29]
	v_add_f64 v[32:33], v[32:33], -v[30:31]
	s_delay_alu instid0(VALU_DEP_1) | instskip(SKIP_1) | instid1(VALU_DEP_1)
	v_add_f64 v[28:29], v[28:29], v[32:33]
	v_mul_f64 v[32:33], v[26:27], v[30:31]
	v_fma_f64 v[42:43], v[26:27], v[30:31], -v[32:33]
	s_delay_alu instid0(VALU_DEP_1) | instskip(NEXT) | instid1(VALU_DEP_1)
	v_fma_f64 v[26:27], v[26:27], v[28:29], v[42:43]
	v_fma_f64 v[24:25], v[24:25], v[30:31], v[26:27]
	s_delay_alu instid0(VALU_DEP_1) | instskip(NEXT) | instid1(VALU_DEP_1)
	v_add_f64 v[26:27], v[32:33], v[24:25]
	v_add_f64 v[28:29], v[26:27], -v[32:33]
	s_delay_alu instid0(VALU_DEP_1) | instskip(SKIP_1) | instid1(VALU_DEP_2)
	v_add_f64 v[24:25], v[24:25], -v[28:29]
	v_add_f64 v[28:29], v[36:37], v[26:27]
	v_add_f64 v[24:25], v[40:41], v[24:25]
	s_delay_alu instid0(VALU_DEP_2) | instskip(NEXT) | instid1(VALU_DEP_1)
	v_add_f64 v[30:31], v[28:29], -v[36:37]
	v_add_f64 v[26:27], v[26:27], -v[30:31]
	s_delay_alu instid0(VALU_DEP_1) | instskip(NEXT) | instid1(VALU_DEP_1)
	v_add_f64 v[24:25], v[24:25], v[26:27]
	v_add_f64 v[26:27], v[28:29], v[24:25]
	s_delay_alu instid0(VALU_DEP_1) | instskip(NEXT) | instid1(VALU_DEP_1)
	v_add_f64 v[28:29], v[26:27], -v[28:29]
	v_add_f64 v[24:25], v[24:25], -v[28:29]
	v_add_f64 v[28:29], v[38:39], v[26:27]
	s_delay_alu instid0(VALU_DEP_1) | instskip(NEXT) | instid1(VALU_DEP_1)
	v_add_f64 v[30:31], v[28:29], -v[38:39]
	v_add_f64 v[32:33], v[28:29], -v[30:31]
	;; [unrolled: 1-line block ×3, first 2 shown]
	v_add_f64 v[30:31], v[34:35], v[24:25]
	s_delay_alu instid0(VALU_DEP_3) | instskip(NEXT) | instid1(VALU_DEP_1)
	v_add_f64 v[32:33], v[38:39], -v[32:33]
	v_add_f64 v[26:27], v[26:27], v[32:33]
	s_delay_alu instid0(VALU_DEP_3) | instskip(NEXT) | instid1(VALU_DEP_2)
	v_add_f64 v[32:33], v[30:31], -v[34:35]
	v_add_f64 v[26:27], v[30:31], v[26:27]
	s_delay_alu instid0(VALU_DEP_2) | instskip(SKIP_1) | instid1(VALU_DEP_3)
	v_add_f64 v[36:37], v[30:31], -v[32:33]
	v_add_f64 v[24:25], v[24:25], -v[32:33]
	v_add_f64 v[30:31], v[28:29], v[26:27]
	s_delay_alu instid0(VALU_DEP_3) | instskip(NEXT) | instid1(VALU_DEP_2)
	v_add_f64 v[34:35], v[34:35], -v[36:37]
	v_add_f64 v[28:29], v[30:31], -v[28:29]
	s_delay_alu instid0(VALU_DEP_2) | instskip(NEXT) | instid1(VALU_DEP_2)
	v_add_f64 v[24:25], v[24:25], v[34:35]
	v_add_f64 v[26:27], v[26:27], -v[28:29]
	s_delay_alu instid0(VALU_DEP_1) | instskip(NEXT) | instid1(VALU_DEP_1)
	v_add_f64 v[24:25], v[24:25], v[26:27]
	v_add_f64 v[26:27], v[30:31], v[24:25]
	s_delay_alu instid0(VALU_DEP_1) | instskip(NEXT) | instid1(VALU_DEP_1)
	v_add_f64 v[28:29], v[26:27], -v[30:31]
	v_add_f64 v[24:25], v[24:25], -v[28:29]
	v_mul_f64 v[28:29], v[19:20], v[26:27]
	s_delay_alu instid0(VALU_DEP_1) | instskip(SKIP_1) | instid1(VALU_DEP_2)
	v_fma_f64 v[26:27], v[19:20], v[26:27], -v[28:29]
	v_cmp_class_f64_e64 s2, v[28:29], 0x204
	v_fma_f64 v[24:25], v[19:20], v[24:25], v[26:27]
	s_delay_alu instid0(VALU_DEP_1) | instskip(NEXT) | instid1(VALU_DEP_1)
	v_add_f64 v[26:27], v[28:29], v[24:25]
	v_add_f64 v[30:31], v[26:27], -v[28:29]
	s_delay_alu instid0(VALU_DEP_4) | instskip(SKIP_1) | instid1(VALU_DEP_1)
	v_cndmask_b32_e64 v27, v27, v29, s2
	v_cndmask_b32_e64 v26, v26, v28, s2
	v_mul_f64 v[28:29], v[26:27], s[46:47]
	v_cmp_neq_f64_e64 s2, 0x7ff00000, |v[26:27]|
	v_cmp_ngt_f64_e64 s3, 0xc090cc00, v[26:27]
	v_add_f64 v[24:25], v[24:25], -v[30:31]
	s_delay_alu instid0(VALU_DEP_4) | instskip(NEXT) | instid1(VALU_DEP_2)
	v_rndne_f64_e32 v[28:29], v[28:29]
	v_cndmask_b32_e64 v25, 0, v25, s2
	s_delay_alu instid0(VALU_DEP_3) | instskip(SKIP_1) | instid1(VALU_DEP_4)
	v_cndmask_b32_e64 v24, 0, v24, s2
	v_cmp_lt_f64_e64 s2, 0x40900000, v[26:27]
	v_fma_f64 v[30:31], v[28:29], s[68:69], v[26:27]
	v_cvt_i32_f64_e32 v14, v[28:29]
	s_delay_alu instid0(VALU_DEP_2) | instskip(NEXT) | instid1(VALU_DEP_1)
	v_fma_f64 v[30:31], v[28:29], s[70:71], v[30:31]
	v_fma_f64 v[32:33], v[30:31], s[50:51], s[48:49]
	s_delay_alu instid0(VALU_DEP_1) | instskip(NEXT) | instid1(VALU_DEP_1)
	v_fma_f64 v[32:33], v[30:31], v[32:33], s[52:53]
	v_fma_f64 v[32:33], v[30:31], v[32:33], s[54:55]
	s_delay_alu instid0(VALU_DEP_1) | instskip(NEXT) | instid1(VALU_DEP_1)
	;; [unrolled: 3-line block ×5, first 2 shown]
	v_fma_f64 v[32:33], v[30:31], v[32:33], 1.0
	v_fma_f64 v[30:31], v[30:31], v[32:33], 1.0
	s_delay_alu instid0(VALU_DEP_1) | instskip(NEXT) | instid1(VALU_DEP_1)
	v_ldexp_f64 v[28:29], v[30:31], v14
	v_cndmask_b32_e64 v14, v28, 0, s2
	s_delay_alu instid0(VALU_DEP_2) | instskip(SKIP_1) | instid1(VALU_DEP_3)
	v_cndmask_b32_e64 v30, v29, 0x7ff00000, s2
	v_and_b32_e32 v29, 0x7fffffff, v29
	v_cndmask_b32_e64 v26, 0, v14, s3
	s_delay_alu instid0(VALU_DEP_3) | instskip(NEXT) | instid1(VALU_DEP_3)
	v_cndmask_b32_e64 v27, 0, v30, s3
	v_cmp_eq_f64_e64 s4, 0x7ff00000, v[28:29]
	s_delay_alu instid0(VALU_DEP_2) | instskip(NEXT) | instid1(VALU_DEP_2)
	v_fma_f64 v[24:25], v[26:27], v[24:25], v[26:27]
	s_or_b32 s2, s2, s4
	v_cmp_gt_f64_e64 s4, 0, v[22:23]
	s_and_b32 s2, s3, s2
	s_delay_alu instid0(VALU_DEP_2) | instid1(SALU_CYCLE_1)
	v_cndmask_b32_e64 v14, v24, v26, s2
	s_delay_alu instid0(VALU_DEP_3) | instskip(SKIP_1) | instid1(VALU_DEP_1)
	v_cndmask_b32_e64 v28, v25, v27, s2
	v_trunc_f64_e32 v[24:25], v[19:20]
	v_cmp_eq_f64_e64 s2, v[24:25], v[19:20]
	v_mul_f64 v[24:25], v[19:20], 0.5
	s_delay_alu instid0(VALU_DEP_1) | instskip(NEXT) | instid1(VALU_DEP_1)
	v_trunc_f64_e32 v[26:27], v[24:25]
	v_cmp_neq_f64_e64 s3, v[26:27], v[24:25]
	s_delay_alu instid0(VALU_DEP_4) | instskip(NEXT) | instid1(VALU_DEP_1)
	v_cndmask_b32_e64 v25, 0, v14, s2
	v_cndmask_b32_e64 v14, v14, v25, s4
	s_delay_alu instid0(VALU_DEP_3) | instskip(NEXT) | instid1(SALU_CYCLE_1)
	s_and_b32 s3, s2, s3
	v_cndmask_b32_e64 v24, 0x3ff00000, v23, s3
	s_delay_alu instid0(VALU_DEP_1) | instskip(NEXT) | instid1(VALU_DEP_1)
	v_bfi_b32 v24, 0x7fffffff, v28, v24
	v_cndmask_b32_e64 v26, 0x7ff80000, v24, s2
	v_cmp_eq_f64_e64 s2, 1.0, v[5:6]
	s_delay_alu instid0(VALU_DEP_2) | instskip(SKIP_1) | instid1(VALU_DEP_1)
	v_cndmask_b32_e64 v24, v24, v26, s4
	v_cmp_neq_f64_e64 s4, v[19:20], v[9:10]
	s_xor_b32 s4, s4, s5
	s_delay_alu instid0(SALU_CYCLE_1) | instskip(SKIP_2) | instid1(VALU_DEP_3)
	v_cndmask_b32_e64 v9, v9, 0, s4
	v_cndmask_b32_e64 v10, v10, 0, s4
	v_cmp_gt_f64_e64 s4, 0, v[19:20]
	v_cndmask_b32_e64 v9, v9, v22, s2
	s_delay_alu instid0(VALU_DEP_3) | instskip(SKIP_1) | instid1(VALU_DEP_2)
	v_cndmask_b32_e64 v10, v10, v6, s2
	v_cmp_eq_f64_e64 s2, 0, v[22:23]
	v_dual_cndmask_b32 v9, v14, v9 :: v_dual_cndmask_b32 v10, v24, v10
	v_cmp_eq_f64_e32 vcc_lo, 0x7ff00000, v[5:6]
	v_cndmask_b32_e64 v6, 0, v23, s3
	s_delay_alu instid0(VALU_DEP_4) | instskip(SKIP_1) | instid1(SALU_CYCLE_1)
	s_or_b32 vcc_lo, vcc_lo, s2
	s_xor_b32 s2, s4, s2
	v_cndmask_b32_e64 v5, 0x7ff00000, 0, s2
	v_cmp_eq_f64_e64 s2, 1.0, v[7:8]
	s_delay_alu instid0(VALU_DEP_2) | instskip(NEXT) | instid1(VALU_DEP_1)
	v_bfi_b32 v5, 0x7fffffff, v5, v6
	v_cndmask_b32_e32 v6, v10, v5, vcc_lo
	v_cndmask_b32_e64 v5, v9, 0, vcc_lo
	v_cmp_o_f64_e32 vcc_lo, v[22:23], v[19:20]
	v_mul_f64 v[19:20], v[11:12], s[8:9]
	s_delay_alu instid0(VALU_DEP_3) | instskip(NEXT) | instid1(VALU_DEP_2)
	v_cndmask_b32_e32 v5, 0, v5, vcc_lo
	v_cndmask_b32_e64 v10, v20, 0x3ff00000, s2
	s_delay_alu instid0(VALU_DEP_3) | instskip(SKIP_3) | instid1(VALU_DEP_4)
	v_cndmask_b32_e64 v9, v19, 0, s2
	v_cndmask_b32_e32 v6, 0x7ff80000, v6, vcc_lo
	v_and_b32_e32 v20, 0x7fffffff, v20
	v_cndmask_b32_e64 v19, v19, 0, s2
	v_cmp_eq_f64_e32 vcc_lo, 0, v[9:10]
	s_delay_alu instid0(VALU_DEP_3) | instskip(NEXT) | instid1(VALU_DEP_1)
	v_cndmask_b32_e64 v20, v20, 0x3ff00000, s2
	v_cmp_eq_f64_e64 s2, 0x7ff00000, v[19:20]
	v_cndmask_b32_e64 v11, v7, 0, vcc_lo
	v_and_b32_e32 v7, 0x7fffffff, v8
	v_cndmask_b32_e64 v12, v8, 0x3ff00000, vcc_lo
	s_delay_alu instid0(VALU_DEP_2) | instskip(NEXT) | instid1(VALU_DEP_4)
	v_cndmask_b32_e64 v8, v7, 0x3ff00000, vcc_lo
	v_mov_b32_e32 v7, v11
	s_delay_alu instid0(VALU_DEP_1) | instskip(SKIP_2) | instid1(VALU_DEP_3)
	v_frexp_mant_f64_e32 v[22:23], v[7:8]
	v_frexp_exp_i32_f64_e32 v24, v[7:8]
	v_cmp_gt_f64_e64 s5, 1.0, v[7:8]
	v_cmp_gt_f64_e32 vcc_lo, s[16:17], v[22:23]
	v_cndmask_b32_e64 v14, 0x3ff00000, 2.0, vcc_lo
	s_delay_alu instid0(VALU_DEP_1) | instskip(SKIP_1) | instid1(VALU_DEP_2)
	v_mul_f64 v[22:23], v[22:23], v[13:14]
	v_subrev_co_ci_u32_e32 v14, vcc_lo, 0, v24, vcc_lo
	v_add_f64 v[26:27], v[22:23], 1.0
	v_add_f64 v[24:25], v[22:23], -1.0
	s_delay_alu instid0(VALU_DEP_2) | instskip(NEXT) | instid1(VALU_DEP_1)
	v_add_f64 v[28:29], v[26:27], -1.0
	v_add_f64 v[22:23], v[22:23], -v[28:29]
	v_rcp_f64_e32 v[28:29], v[26:27]
	s_waitcnt_depctr 0xfff
	v_fma_f64 v[30:31], -v[26:27], v[28:29], 1.0
	s_delay_alu instid0(VALU_DEP_1) | instskip(NEXT) | instid1(VALU_DEP_1)
	v_fma_f64 v[28:29], v[30:31], v[28:29], v[28:29]
	v_fma_f64 v[30:31], -v[26:27], v[28:29], 1.0
	s_delay_alu instid0(VALU_DEP_1) | instskip(NEXT) | instid1(VALU_DEP_1)
	v_fma_f64 v[28:29], v[30:31], v[28:29], v[28:29]
	v_mul_f64 v[30:31], v[24:25], v[28:29]
	s_delay_alu instid0(VALU_DEP_1) | instskip(NEXT) | instid1(VALU_DEP_1)
	v_mul_f64 v[32:33], v[26:27], v[30:31]
	v_fma_f64 v[26:27], v[30:31], v[26:27], -v[32:33]
	s_delay_alu instid0(VALU_DEP_1) | instskip(NEXT) | instid1(VALU_DEP_1)
	v_fma_f64 v[22:23], v[30:31], v[22:23], v[26:27]
	v_add_f64 v[26:27], v[32:33], v[22:23]
	s_delay_alu instid0(VALU_DEP_1) | instskip(SKIP_1) | instid1(VALU_DEP_2)
	v_add_f64 v[34:35], v[24:25], -v[26:27]
	v_add_f64 v[32:33], v[26:27], -v[32:33]
	v_add_f64 v[24:25], v[24:25], -v[34:35]
	s_delay_alu instid0(VALU_DEP_2) | instskip(SKIP_1) | instid1(VALU_DEP_3)
	v_add_f64 v[22:23], v[32:33], -v[22:23]
	v_cvt_f64_i32_e32 v[32:33], v14
	v_add_f64 v[24:25], v[24:25], -v[26:27]
	s_delay_alu instid0(VALU_DEP_1) | instskip(NEXT) | instid1(VALU_DEP_1)
	v_add_f64 v[22:23], v[22:23], v[24:25]
	v_add_f64 v[22:23], v[34:35], v[22:23]
	s_delay_alu instid0(VALU_DEP_4) | instskip(NEXT) | instid1(VALU_DEP_2)
	v_mul_f64 v[34:35], v[32:33], s[38:39]
	v_mul_f64 v[22:23], v[28:29], v[22:23]
	s_delay_alu instid0(VALU_DEP_2) | instskip(NEXT) | instid1(VALU_DEP_2)
	v_fma_f64 v[36:37], v[32:33], s[38:39], -v[34:35]
	v_add_f64 v[24:25], v[30:31], v[22:23]
	s_delay_alu instid0(VALU_DEP_2) | instskip(NEXT) | instid1(VALU_DEP_2)
	v_fma_f64 v[32:33], v[32:33], s[40:41], v[36:37]
	v_add_f64 v[26:27], v[24:25], -v[30:31]
	s_delay_alu instid0(VALU_DEP_2) | instskip(NEXT) | instid1(VALU_DEP_2)
	v_add_f64 v[36:37], v[34:35], v[32:33]
	v_add_f64 v[22:23], v[22:23], -v[26:27]
	v_mul_f64 v[26:27], v[24:25], v[24:25]
	s_delay_alu instid0(VALU_DEP_3) | instskip(NEXT) | instid1(VALU_DEP_3)
	v_add_f64 v[34:35], v[36:37], -v[34:35]
	v_add_f64 v[30:31], v[22:23], v[22:23]
	s_delay_alu instid0(VALU_DEP_3) | instskip(SKIP_1) | instid1(VALU_DEP_4)
	v_fma_f64 v[28:29], v[24:25], v[24:25], -v[26:27]
	v_ldexp_f64 v[38:39], v[22:23], 1
	v_add_f64 v[32:33], v[32:33], -v[34:35]
	v_ldexp_f64 v[34:35], v[24:25], 1
	s_delay_alu instid0(VALU_DEP_4) | instskip(NEXT) | instid1(VALU_DEP_1)
	v_fma_f64 v[28:29], v[24:25], v[30:31], v[28:29]
	v_add_f64 v[30:31], v[26:27], v[28:29]
	s_delay_alu instid0(VALU_DEP_1) | instskip(SKIP_1) | instid1(VALU_DEP_2)
	v_add_f64 v[26:27], v[30:31], -v[26:27]
	v_mul_f64 v[40:41], v[24:25], v[30:31]
	v_add_f64 v[26:27], v[28:29], -v[26:27]
	v_fma_f64 v[28:29], v[30:31], s[20:21], s[18:19]
	s_delay_alu instid0(VALU_DEP_3) | instskip(NEXT) | instid1(VALU_DEP_2)
	v_fma_f64 v[42:43], v[30:31], v[24:25], -v[40:41]
	v_fma_f64 v[28:29], v[30:31], v[28:29], s[22:23]
	s_delay_alu instid0(VALU_DEP_2) | instskip(NEXT) | instid1(VALU_DEP_2)
	v_fma_f64 v[22:23], v[30:31], v[22:23], v[42:43]
	v_fma_f64 v[28:29], v[30:31], v[28:29], s[24:25]
	s_delay_alu instid0(VALU_DEP_2) | instskip(NEXT) | instid1(VALU_DEP_2)
	v_fma_f64 v[22:23], v[26:27], v[24:25], v[22:23]
	v_fma_f64 v[28:29], v[30:31], v[28:29], s[26:27]
	s_delay_alu instid0(VALU_DEP_2) | instskip(NEXT) | instid1(VALU_DEP_2)
	v_add_f64 v[24:25], v[40:41], v[22:23]
	v_fma_f64 v[28:29], v[30:31], v[28:29], s[28:29]
	s_delay_alu instid0(VALU_DEP_2) | instskip(NEXT) | instid1(VALU_DEP_2)
	v_add_f64 v[40:41], v[24:25], -v[40:41]
	v_fma_f64 v[28:29], v[30:31], v[28:29], s[30:31]
	s_delay_alu instid0(VALU_DEP_2) | instskip(NEXT) | instid1(VALU_DEP_2)
	v_add_f64 v[22:23], v[22:23], -v[40:41]
	v_fma_f64 v[28:29], v[30:31], v[28:29], s[34:35]
	s_delay_alu instid0(VALU_DEP_1) | instskip(NEXT) | instid1(VALU_DEP_1)
	v_fma_f64 v[28:29], v[30:31], v[28:29], s[36:37]
	v_mul_f64 v[40:41], v[30:31], v[28:29]
	s_delay_alu instid0(VALU_DEP_1) | instskip(NEXT) | instid1(VALU_DEP_1)
	v_fma_f64 v[30:31], v[30:31], v[28:29], -v[40:41]
	v_fma_f64 v[26:27], v[26:27], v[28:29], v[30:31]
	s_delay_alu instid0(VALU_DEP_1) | instskip(NEXT) | instid1(VALU_DEP_1)
	v_add_f64 v[28:29], v[40:41], v[26:27]
	v_add_f64 v[30:31], v[28:29], -v[40:41]
	s_delay_alu instid0(VALU_DEP_1) | instskip(SKIP_1) | instid1(VALU_DEP_2)
	v_add_f64 v[26:27], v[26:27], -v[30:31]
	v_add_f64 v[30:31], v[28:29], s[16:17]
	v_add_f64 v[26:27], v[26:27], s[44:45]
	s_delay_alu instid0(VALU_DEP_2) | instskip(NEXT) | instid1(VALU_DEP_1)
	v_add_f64 v[40:41], v[30:31], s[42:43]
	v_add_f64 v[28:29], v[28:29], -v[40:41]
	s_delay_alu instid0(VALU_DEP_1) | instskip(NEXT) | instid1(VALU_DEP_1)
	v_add_f64 v[26:27], v[26:27], v[28:29]
	v_add_f64 v[28:29], v[30:31], v[26:27]
	s_delay_alu instid0(VALU_DEP_1) | instskip(NEXT) | instid1(VALU_DEP_1)
	v_add_f64 v[30:31], v[30:31], -v[28:29]
	v_add_f64 v[26:27], v[26:27], v[30:31]
	v_mul_f64 v[30:31], v[24:25], v[28:29]
	s_delay_alu instid0(VALU_DEP_1) | instskip(NEXT) | instid1(VALU_DEP_1)
	v_fma_f64 v[40:41], v[24:25], v[28:29], -v[30:31]
	v_fma_f64 v[24:25], v[24:25], v[26:27], v[40:41]
	s_delay_alu instid0(VALU_DEP_1) | instskip(NEXT) | instid1(VALU_DEP_1)
	v_fma_f64 v[22:23], v[22:23], v[28:29], v[24:25]
	v_add_f64 v[24:25], v[30:31], v[22:23]
	s_delay_alu instid0(VALU_DEP_1) | instskip(NEXT) | instid1(VALU_DEP_1)
	v_add_f64 v[26:27], v[24:25], -v[30:31]
	v_add_f64 v[22:23], v[22:23], -v[26:27]
	v_add_f64 v[26:27], v[34:35], v[24:25]
	s_delay_alu instid0(VALU_DEP_2) | instskip(NEXT) | instid1(VALU_DEP_2)
	v_add_f64 v[22:23], v[38:39], v[22:23]
	v_add_f64 v[28:29], v[26:27], -v[34:35]
	s_delay_alu instid0(VALU_DEP_1) | instskip(NEXT) | instid1(VALU_DEP_1)
	v_add_f64 v[24:25], v[24:25], -v[28:29]
	v_add_f64 v[22:23], v[22:23], v[24:25]
	s_delay_alu instid0(VALU_DEP_1) | instskip(NEXT) | instid1(VALU_DEP_1)
	v_add_f64 v[24:25], v[26:27], v[22:23]
	v_add_f64 v[26:27], v[24:25], -v[26:27]
	s_delay_alu instid0(VALU_DEP_1) | instskip(SKIP_1) | instid1(VALU_DEP_1)
	v_add_f64 v[22:23], v[22:23], -v[26:27]
	v_add_f64 v[26:27], v[36:37], v[24:25]
	v_add_f64 v[28:29], v[26:27], -v[36:37]
	s_delay_alu instid0(VALU_DEP_1) | instskip(SKIP_2) | instid1(VALU_DEP_3)
	v_add_f64 v[30:31], v[26:27], -v[28:29]
	v_add_f64 v[24:25], v[24:25], -v[28:29]
	v_add_f64 v[28:29], v[32:33], v[22:23]
	v_add_f64 v[30:31], v[36:37], -v[30:31]
	s_delay_alu instid0(VALU_DEP_1) | instskip(NEXT) | instid1(VALU_DEP_3)
	v_add_f64 v[24:25], v[24:25], v[30:31]
	v_add_f64 v[30:31], v[28:29], -v[32:33]
	s_delay_alu instid0(VALU_DEP_2) | instskip(NEXT) | instid1(VALU_DEP_2)
	v_add_f64 v[24:25], v[28:29], v[24:25]
	v_add_f64 v[34:35], v[28:29], -v[30:31]
	v_add_f64 v[22:23], v[22:23], -v[30:31]
	s_delay_alu instid0(VALU_DEP_3) | instskip(NEXT) | instid1(VALU_DEP_3)
	v_add_f64 v[28:29], v[26:27], v[24:25]
	v_add_f64 v[32:33], v[32:33], -v[34:35]
	s_delay_alu instid0(VALU_DEP_2) | instskip(NEXT) | instid1(VALU_DEP_2)
	v_add_f64 v[26:27], v[28:29], -v[26:27]
	v_add_f64 v[22:23], v[22:23], v[32:33]
	s_delay_alu instid0(VALU_DEP_2) | instskip(NEXT) | instid1(VALU_DEP_1)
	v_add_f64 v[24:25], v[24:25], -v[26:27]
	v_add_f64 v[22:23], v[22:23], v[24:25]
	s_delay_alu instid0(VALU_DEP_1) | instskip(NEXT) | instid1(VALU_DEP_1)
	v_add_f64 v[24:25], v[28:29], v[22:23]
	v_add_f64 v[26:27], v[24:25], -v[28:29]
	s_delay_alu instid0(VALU_DEP_1) | instskip(SKIP_1) | instid1(VALU_DEP_1)
	v_add_f64 v[22:23], v[22:23], -v[26:27]
	v_mul_f64 v[26:27], v[9:10], v[24:25]
	v_fma_f64 v[24:25], v[9:10], v[24:25], -v[26:27]
	v_cmp_class_f64_e64 vcc_lo, v[26:27], 0x204
	s_delay_alu instid0(VALU_DEP_2) | instskip(NEXT) | instid1(VALU_DEP_1)
	v_fma_f64 v[22:23], v[9:10], v[22:23], v[24:25]
	v_add_f64 v[24:25], v[26:27], v[22:23]
	s_delay_alu instid0(VALU_DEP_1) | instskip(SKIP_1) | instid1(VALU_DEP_1)
	v_add_f64 v[28:29], v[24:25], -v[26:27]
	v_dual_cndmask_b32 v25, v25, v27 :: v_dual_cndmask_b32 v24, v24, v26
	v_mul_f64 v[26:27], v[24:25], s[46:47]
	v_cmp_neq_f64_e64 vcc_lo, 0x7ff00000, |v[24:25]|
	v_cmp_ngt_f64_e64 s3, 0xc090cc00, v[24:25]
	v_add_f64 v[22:23], v[22:23], -v[28:29]
	s_delay_alu instid0(VALU_DEP_4) | instskip(NEXT) | instid1(VALU_DEP_2)
	v_rndne_f64_e32 v[26:27], v[26:27]
	v_dual_cndmask_b32 v23, 0, v23 :: v_dual_cndmask_b32 v22, 0, v22
	v_cmp_lt_f64_e32 vcc_lo, 0x40900000, v[24:25]
	s_delay_alu instid0(VALU_DEP_3) | instskip(SKIP_1) | instid1(VALU_DEP_2)
	v_fma_f64 v[28:29], v[26:27], s[68:69], v[24:25]
	v_cvt_i32_f64_e32 v14, v[26:27]
	v_fma_f64 v[28:29], v[26:27], s[70:71], v[28:29]
	s_delay_alu instid0(VALU_DEP_1) | instskip(NEXT) | instid1(VALU_DEP_1)
	v_fma_f64 v[30:31], v[28:29], s[50:51], s[48:49]
	v_fma_f64 v[30:31], v[28:29], v[30:31], s[52:53]
	s_delay_alu instid0(VALU_DEP_1) | instskip(NEXT) | instid1(VALU_DEP_1)
	v_fma_f64 v[30:31], v[28:29], v[30:31], s[54:55]
	;; [unrolled: 3-line block ×5, first 2 shown]
	v_fma_f64 v[30:31], v[28:29], v[30:31], 1.0
	s_delay_alu instid0(VALU_DEP_1) | instskip(NEXT) | instid1(VALU_DEP_1)
	v_fma_f64 v[28:29], v[28:29], v[30:31], 1.0
	v_ldexp_f64 v[26:27], v[28:29], v14
	s_delay_alu instid0(VALU_DEP_1) | instskip(NEXT) | instid1(VALU_DEP_2)
	v_cndmask_b32_e64 v14, v26, 0, vcc_lo
	v_cndmask_b32_e64 v28, v27, 0x7ff00000, vcc_lo
	v_and_b32_e32 v27, 0x7fffffff, v27
	s_delay_alu instid0(VALU_DEP_3) | instskip(NEXT) | instid1(VALU_DEP_3)
	v_cndmask_b32_e64 v24, 0, v14, s3
	v_cndmask_b32_e64 v25, 0, v28, s3
	s_delay_alu instid0(VALU_DEP_3) | instskip(NEXT) | instid1(VALU_DEP_2)
	v_cmp_eq_f64_e64 s4, 0x7ff00000, v[26:27]
	v_fma_f64 v[22:23], v[24:25], v[22:23], v[24:25]
	s_delay_alu instid0(VALU_DEP_2) | instskip(NEXT) | instid1(SALU_CYCLE_1)
	s_or_b32 s4, vcc_lo, s4
	s_and_b32 vcc_lo, s3, s4
	v_cmp_gt_f64_e64 s4, 0, v[11:12]
	s_delay_alu instid0(VALU_DEP_2) | instskip(NEXT) | instid1(VALU_DEP_3)
	v_cndmask_b32_e32 v14, v22, v24, vcc_lo
	v_cndmask_b32_e32 v26, v23, v25, vcc_lo
	v_trunc_f64_e32 v[22:23], v[9:10]
	s_delay_alu instid0(VALU_DEP_1) | instskip(SKIP_1) | instid1(VALU_DEP_1)
	v_cmp_eq_f64_e64 s3, v[22:23], v[9:10]
	v_mul_f64 v[22:23], v[9:10], 0.5
	v_trunc_f64_e32 v[24:25], v[22:23]
	s_delay_alu instid0(VALU_DEP_1) | instskip(NEXT) | instid1(VALU_DEP_4)
	v_cmp_neq_f64_e32 vcc_lo, v[24:25], v[22:23]
	v_cndmask_b32_e64 v23, 0, v14, s3
	s_delay_alu instid0(VALU_DEP_1) | instskip(SKIP_2) | instid1(VALU_DEP_1)
	v_cndmask_b32_e64 v14, v14, v23, s4
	s_and_b32 vcc_lo, s3, vcc_lo
	v_cndmask_b32_e32 v22, 0x3ff00000, v12, vcc_lo
	v_bfi_b32 v22, 0x7fffffff, v26, v22
	s_delay_alu instid0(VALU_DEP_1) | instskip(SKIP_1) | instid1(VALU_DEP_2)
	v_cndmask_b32_e64 v24, 0x7ff80000, v22, s3
	v_cmp_eq_f64_e64 s3, 1.0, v[7:8]
	v_cndmask_b32_e64 v22, v22, v24, s4
	v_cmp_neq_f64_e64 s4, v[9:10], v[19:20]
	s_delay_alu instid0(VALU_DEP_1) | instskip(NEXT) | instid1(SALU_CYCLE_1)
	s_xor_b32 s4, s4, s5
	v_cndmask_b32_e64 v19, v19, 0, s4
	v_cndmask_b32_e64 v20, v20, 0, s4
	v_cmp_gt_f64_e64 s4, 0, v[9:10]
	s_delay_alu instid0(VALU_DEP_3) | instskip(NEXT) | instid1(VALU_DEP_3)
	v_cndmask_b32_e64 v19, v19, v11, s3
	v_cndmask_b32_e64 v20, v20, v8, s3
	v_cmp_eq_f64_e64 s3, 0, v[11:12]
	s_delay_alu instid0(VALU_DEP_3) | instskip(NEXT) | instid1(VALU_DEP_3)
	v_cndmask_b32_e64 v14, v14, v19, s2
	v_cndmask_b32_e64 v19, v22, v20, s2
	v_cmp_eq_f64_e64 s2, 0x7ff00000, v[7:8]
	v_cndmask_b32_e32 v8, 0, v12, vcc_lo
	v_cmp_o_f64_e32 vcc_lo, v[11:12], v[9:10]
	s_delay_alu instid0(VALU_DEP_3) | instskip(SKIP_1) | instid1(SALU_CYCLE_1)
	s_or_b32 s2, s2, s3
	s_xor_b32 s3, s4, s3
	v_cndmask_b32_e64 v7, 0x7ff00000, 0, s3
	s_delay_alu instid0(VALU_DEP_1) | instskip(NEXT) | instid1(VALU_DEP_1)
	v_bfi_b32 v7, 0x7fffffff, v7, v8
	v_cndmask_b32_e64 v8, v19, v7, s2
	v_cndmask_b32_e64 v7, v14, 0, s2
	v_cmp_lt_u64_e64 s2, 0xffff, v[15:16]
	s_delay_alu instid0(VALU_DEP_3) | instskip(NEXT) | instid1(VALU_DEP_3)
	v_cndmask_b32_e32 v8, 0x7ff80000, v8, vcc_lo
	v_cndmask_b32_e32 v7, 0, v7, vcc_lo
	v_cmp_le_i64_e32 vcc_lo, s[12:13], v[15:16]
	s_clause 0x1
	global_store_b128 v[17:18], v[1:4], off
	global_store_b128 v[17:18], v[5:8], off offset:16
	s_or_b32 s2, vcc_lo, s2
	s_add_u32 s33, s33, s78
	v_add_co_u32 v15, vcc_lo, v15, s77
	s_addc_u32 s72, s72, 0
	s_add_u32 s73, s73, s78
	v_add_co_ci_u32_e32 v16, vcc_lo, 0, v16, vcc_lo
	s_addc_u32 s74, s74, 0
	s_and_b32 s2, exec_lo, s2
	s_delay_alu instid0(SALU_CYCLE_1) | instskip(NEXT) | instid1(SALU_CYCLE_1)
	s_or_b32 s76, s2, s76
	s_and_not1_b32 exec_lo, exec_lo, s76
	s_cbranch_execnz .LBB137_3
.LBB137_4:
	s_or_b32 exec_lo, exec_lo, s75
	s_mov_b32 s2, 0
.LBB137_5:
	s_delay_alu instid0(SALU_CYCLE_1)
	s_and_not1_b32 vcc_lo, exec_lo, s2
	s_cbranch_vccnz .LBB137_25
; %bb.6:
	v_cmp_lt_i64_e64 s2, s[12:13], 1
	s_delay_alu instid0(VALU_DEP_1)
	s_and_b32 vcc_lo, exec_lo, s2
	s_cbranch_vccnz .LBB137_25
; %bb.7:
	s_load_b32 s0, s[0:1], 0xc64
	v_dual_mov_b32 v1, 0 :: v_dual_lshlrev_b32 v2, 3, v0
	v_cmp_gt_u64_e64 s1, 0x10000, s[12:13]
	s_mov_b32 s18, 0xfefa39ef
	s_mov_b32 s20, 0x3b39803f
	s_delay_alu instid0(VALU_DEP_2) | instskip(SKIP_1) | instid1(VALU_DEP_1)
	v_mov_b32_e32 v3, v1
	v_add_co_u32 v19, s2, s6, v2
	v_add_co_ci_u32_e64 v20, null, s7, 0, s2
	v_add_co_u32 v21, s2, s14, v2
	s_delay_alu instid0(VALU_DEP_1)
	v_add_co_ci_u32_e64 v22, null, s15, 0, s2
	s_mov_b32 s22, 0x968915a9
	s_mov_b32 s24, 0x4222de17
	s_mov_b32 s26, 0x3abe935a
	s_mov_b32 s28, 0x47e6c9c2
	s_mov_b32 s30, 0xcfa74449
	s_waitcnt lgkmcnt(0)
	s_and_b32 s0, s0, 0xffff
	s_and_b32 s1, s1, exec_lo
	v_mad_u64_u32 v[4:5], null, s0, 24, v[2:3]
	s_cselect_b32 s17, s13, 0
	s_cselect_b32 s16, s12, 0x10000
	s_lshl_b32 s3, s0, 4
	s_lshl_b32 s1, s0, 1
	v_add_co_u32 v2, s3, s3, v2
	s_delay_alu instid0(VALU_DEP_2) | instskip(NEXT) | instid1(VALU_DEP_3)
	v_add_co_u32 v23, vcc_lo, s6, v4
	v_add_co_ci_u32_e32 v24, vcc_lo, s7, v5, vcc_lo
	v_add_co_u32 v25, vcc_lo, s14, v4
	v_add_co_ci_u32_e64 v3, null, 0, 0, s3
	s_mul_i32 s2, s0, 3
	s_lshl_b32 s33, s0, 2
	s_lshl_b32 s74, s0, 5
	v_add_co_u32 v31, s0, v0, s0
	v_add_co_ci_u32_e32 v26, vcc_lo, s15, v5, vcc_lo
	v_add_co_u32 v29, vcc_lo, s6, v2
	v_add_co_ci_u32_e32 v30, vcc_lo, s7, v3, vcc_lo
	v_add_co_u32 v32, vcc_lo, s14, v2
	v_lshlrev_b32_e32 v2, 3, v31
	v_add_co_ci_u32_e64 v34, null, 0, 0, s0
	v_add_co_u32 v35, s0, s1, v0
	s_delay_alu instid0(VALU_DEP_1) | instskip(NEXT) | instid1(VALU_DEP_4)
	v_add_co_ci_u32_e64 v36, null, 0, 0, s0
	v_add_co_u32 v37, s0, s6, v2
	v_add_co_u32 v27, s2, s2, v0
	v_add_co_ci_u32_e64 v38, null, s7, 0, s0
	v_add_co_u32 v39, s0, s14, v2
	v_add_co_ci_u32_e64 v28, null, 0, 0, s2
	v_add_co_ci_u32_e32 v33, vcc_lo, s15, v3, vcc_lo
	v_add_co_ci_u32_e64 v40, null, s15, 0, s0
	s_mov_b32 s14, 0x55555555
	s_mov_b32 s34, 0x71bf3c30
	;; [unrolled: 1-line block ×41, first 2 shown]
	s_mov_b64 s[66:67], 0
	s_mov_b32 s69, 0xbfe55555
	s_mov_b32 s71, 0xbfe62e42
	;; [unrolled: 1-line block ×3, first 2 shown]
	s_branch .LBB137_9
.LBB137_8:                              ;   in Loop: Header=BB137_9 Depth=1
	s_or_b32 exec_lo, exec_lo, s5
	v_add_co_u32 v19, vcc_lo, v19, s74
	v_add_co_ci_u32_e32 v20, vcc_lo, 0, v20, vcc_lo
	v_add_co_u32 v21, vcc_lo, v21, s74
	v_add_co_ci_u32_e32 v22, vcc_lo, 0, v22, vcc_lo
	;; [unrolled: 2-line block ×5, first 2 shown]
	s_add_u32 s66, s66, s33
	v_add_co_u32 v32, vcc_lo, v32, s74
	s_addc_u32 s67, s67, 0
	v_add_co_ci_u32_e32 v33, vcc_lo, 0, v33, vcc_lo
	v_cmp_ge_i64_e64 s0, s[66:67], s[12:13]
	v_cmp_lt_u64_e64 s1, 0xffff, s[66:67]
	v_add_co_u32 v37, vcc_lo, v37, s74
	v_add_co_ci_u32_e32 v38, vcc_lo, 0, v38, vcc_lo
	v_add_co_u32 v39, vcc_lo, v39, s74
	v_add_co_ci_u32_e32 v40, vcc_lo, 0, v40, vcc_lo
	s_or_b32 s0, s0, s1
	s_delay_alu instid0(SALU_CYCLE_1)
	s_and_b32 vcc_lo, exec_lo, s0
	s_cbranch_vccnz .LBB137_25
.LBB137_9:                              ; =>This Inner Loop Header: Depth=1
	v_add_co_u32 v2, s0, v0, s66
	s_waitcnt vmcnt(1)
	v_add_co_ci_u32_e64 v3, null, 0, s67, s0
	v_mov_b32_e32 v9, 0
	v_mov_b32_e32 v10, 0
	s_delay_alu instid0(VALU_DEP_3) | instskip(NEXT) | instid1(VALU_DEP_2)
	v_cmp_gt_u64_e64 s2, s[16:17], v[2:3]
	v_dual_mov_b32 v16, v10 :: v_dual_mov_b32 v15, v9
	s_waitcnt vmcnt(0)
	v_dual_mov_b32 v18, v10 :: v_dual_mov_b32 v17, v9
	s_delay_alu instid0(VALU_DEP_3)
	s_and_saveexec_b32 s0, s2
	s_cbranch_execz .LBB137_11
; %bb.10:                               ;   in Loop: Header=BB137_9 Depth=1
	v_add_co_u32 v2, vcc_lo, v19, s10
	v_add_co_ci_u32_e32 v3, vcc_lo, s11, v20, vcc_lo
	v_add_co_u32 v4, vcc_lo, v21, s10
	v_add_co_ci_u32_e32 v5, vcc_lo, s11, v22, vcc_lo
	global_load_b64 v[15:16], v[2:3], off
	global_load_b64 v[17:18], v[4:5], off
.LBB137_11:                             ;   in Loop: Header=BB137_9 Depth=1
	s_or_b32 exec_lo, exec_lo, s0
	v_add_co_u32 v2, vcc_lo, v31, s66
	v_add_co_ci_u32_e32 v3, vcc_lo, s67, v34, vcc_lo
	v_dual_mov_b32 v14, v10 :: v_dual_mov_b32 v13, v9
	s_delay_alu instid0(VALU_DEP_2) | instskip(NEXT) | instid1(VALU_DEP_1)
	v_cmp_gt_u64_e64 s1, s[16:17], v[2:3]
	s_and_saveexec_b32 s0, s1
	s_cbranch_execz .LBB137_13
; %bb.12:                               ;   in Loop: Header=BB137_9 Depth=1
	v_add_co_u32 v2, vcc_lo, v37, s10
	v_add_co_ci_u32_e32 v3, vcc_lo, s11, v38, vcc_lo
	v_add_co_u32 v4, vcc_lo, v39, s10
	v_add_co_ci_u32_e32 v5, vcc_lo, s11, v40, vcc_lo
	global_load_b64 v[9:10], v[2:3], off
	global_load_b64 v[13:14], v[4:5], off
.LBB137_13:                             ;   in Loop: Header=BB137_9 Depth=1
	s_or_b32 exec_lo, exec_lo, s0
	v_add_co_u32 v5, vcc_lo, v35, s66
	v_add_co_ci_u32_e32 v6, vcc_lo, s67, v36, vcc_lo
	v_mov_b32_e32 v3, 0
	v_mov_b32_e32 v4, 0
	s_delay_alu instid0(VALU_DEP_3) | instskip(NEXT) | instid1(VALU_DEP_2)
	v_cmp_gt_u64_e64 s0, s[16:17], v[5:6]
	v_dual_mov_b32 v8, v4 :: v_dual_mov_b32 v7, v3
	v_dual_mov_b32 v12, v4 :: v_dual_mov_b32 v11, v3
	s_delay_alu instid0(VALU_DEP_3)
	s_and_saveexec_b32 s3, s0
	s_cbranch_execz .LBB137_15
; %bb.14:                               ;   in Loop: Header=BB137_9 Depth=1
	v_add_co_u32 v5, vcc_lo, v29, s10
	v_add_co_ci_u32_e32 v6, vcc_lo, s11, v30, vcc_lo
	v_add_co_u32 v11, vcc_lo, v32, s10
	v_add_co_ci_u32_e32 v12, vcc_lo, s11, v33, vcc_lo
	global_load_b64 v[7:8], v[5:6], off
	global_load_b64 v[11:12], v[11:12], off
.LBB137_15:                             ;   in Loop: Header=BB137_9 Depth=1
	s_or_b32 exec_lo, exec_lo, s3
	v_add_co_u32 v5, vcc_lo, v27, s66
	v_add_co_ci_u32_e32 v6, vcc_lo, s67, v28, vcc_lo
	s_delay_alu instid0(VALU_DEP_1)
	v_cmp_gt_u64_e32 vcc_lo, s[16:17], v[5:6]
	v_dual_mov_b32 v6, v4 :: v_dual_mov_b32 v5, v3
	s_and_saveexec_b32 s4, vcc_lo
	s_cbranch_execnz .LBB137_20
; %bb.16:                               ;   in Loop: Header=BB137_9 Depth=1
	s_or_b32 exec_lo, exec_lo, s4
	s_and_saveexec_b32 s75, s2
	s_cbranch_execnz .LBB137_21
.LBB137_17:                             ;   in Loop: Header=BB137_9 Depth=1
	s_or_b32 exec_lo, exec_lo, s75
	s_and_saveexec_b32 s7, s1
	s_cbranch_execnz .LBB137_22
.LBB137_18:                             ;   in Loop: Header=BB137_9 Depth=1
	s_or_b32 exec_lo, exec_lo, s7
	s_and_saveexec_b32 s6, s0
	s_cbranch_execnz .LBB137_23
.LBB137_19:                             ;   in Loop: Header=BB137_9 Depth=1
	s_or_b32 exec_lo, exec_lo, s6
	s_and_saveexec_b32 s5, vcc_lo
	s_cbranch_execz .LBB137_8
	s_branch .LBB137_24
.LBB137_20:                             ;   in Loop: Header=BB137_9 Depth=1
	v_add_co_u32 v2, s3, v23, s10
	s_delay_alu instid0(VALU_DEP_1) | instskip(SKIP_1) | instid1(VALU_DEP_1)
	v_add_co_ci_u32_e64 v3, s3, s11, v24, s3
	v_add_co_u32 v5, s3, v25, s10
	v_add_co_ci_u32_e64 v6, s3, s11, v26, s3
	global_load_b64 v[3:4], v[2:3], off
	global_load_b64 v[5:6], v[5:6], off
	s_or_b32 exec_lo, exec_lo, s4
	s_and_saveexec_b32 s75, s2
	s_cbranch_execz .LBB137_17
.LBB137_21:                             ;   in Loop: Header=BB137_9 Depth=1
	s_waitcnt vmcnt(0)
	v_mul_f64 v[17:18], v[17:18], s[8:9]
	v_cmp_eq_f64_e64 s3, 1.0, v[15:16]
	v_and_b32_e32 v2, 0x7fffffff, v16
	s_mov_b32 s68, s14
	s_mov_b32 s70, s18
	;; [unrolled: 1-line block ×3, first 2 shown]
	s_delay_alu instid0(VALU_DEP_2) | instskip(NEXT) | instid1(VALU_DEP_4)
	v_cndmask_b32_e64 v42, v18, 0x3ff00000, s3
	v_cndmask_b32_e64 v41, v17, 0, s3
	;; [unrolled: 1-line block ×3, first 2 shown]
	s_delay_alu instid0(VALU_DEP_2) | instskip(NEXT) | instid1(VALU_DEP_1)
	v_cmp_eq_f64_e64 s2, 0, v[41:42]
	v_cndmask_b32_e64 v44, v2, 0x3ff00000, s2
	v_cndmask_b32_e64 v43, v15, 0, s2
	;; [unrolled: 1-line block ×4, first 2 shown]
	s_delay_alu instid0(VALU_DEP_3) | instskip(SKIP_2) | instid1(VALU_DEP_3)
	v_frexp_mant_f64_e32 v[45:46], v[43:44]
	v_frexp_exp_i32_f64_e32 v2, v[43:44]
	v_cmp_gt_f64_e64 s7, 1.0, v[43:44]
	v_cmp_gt_f64_e64 s4, s[14:15], v[45:46]
	s_delay_alu instid0(VALU_DEP_1) | instskip(SKIP_1) | instid1(VALU_DEP_1)
	v_subrev_co_ci_u32_e64 v65, s5, 0, v2, s4
	v_cndmask_b32_e64 v2, 0x3ff00000, 2.0, s4
	v_mul_f64 v[45:46], v[45:46], v[1:2]
	s_delay_alu instid0(VALU_DEP_1) | instskip(SKIP_1) | instid1(VALU_DEP_2)
	v_add_f64 v[47:48], v[45:46], 1.0
	v_add_f64 v[53:54], v[45:46], -1.0
	v_rcp_f64_e32 v[49:50], v[47:48]
	v_add_f64 v[55:56], v[47:48], -1.0
	s_delay_alu instid0(VALU_DEP_1) | instskip(SKIP_2) | instid1(VALU_DEP_1)
	v_add_f64 v[45:46], v[45:46], -v[55:56]
	s_waitcnt_depctr 0xfff
	v_fma_f64 v[51:52], -v[47:48], v[49:50], 1.0
	v_fma_f64 v[49:50], v[51:52], v[49:50], v[49:50]
	s_delay_alu instid0(VALU_DEP_1) | instskip(NEXT) | instid1(VALU_DEP_1)
	v_fma_f64 v[51:52], -v[47:48], v[49:50], 1.0
	v_fma_f64 v[49:50], v[51:52], v[49:50], v[49:50]
	s_delay_alu instid0(VALU_DEP_1) | instskip(NEXT) | instid1(VALU_DEP_1)
	v_mul_f64 v[51:52], v[53:54], v[49:50]
	v_mul_f64 v[57:58], v[47:48], v[51:52]
	s_delay_alu instid0(VALU_DEP_1) | instskip(NEXT) | instid1(VALU_DEP_1)
	v_fma_f64 v[47:48], v[51:52], v[47:48], -v[57:58]
	v_fma_f64 v[45:46], v[51:52], v[45:46], v[47:48]
	s_delay_alu instid0(VALU_DEP_1) | instskip(NEXT) | instid1(VALU_DEP_1)
	v_add_f64 v[47:48], v[57:58], v[45:46]
	v_add_f64 v[55:56], v[53:54], -v[47:48]
	v_add_f64 v[57:58], v[47:48], -v[57:58]
	s_delay_alu instid0(VALU_DEP_2) | instskip(NEXT) | instid1(VALU_DEP_2)
	v_add_f64 v[53:54], v[53:54], -v[55:56]
	v_add_f64 v[45:46], v[57:58], -v[45:46]
	s_delay_alu instid0(VALU_DEP_2) | instskip(NEXT) | instid1(VALU_DEP_1)
	v_add_f64 v[47:48], v[53:54], -v[47:48]
	v_add_f64 v[45:46], v[45:46], v[47:48]
	s_delay_alu instid0(VALU_DEP_1) | instskip(NEXT) | instid1(VALU_DEP_1)
	v_add_f64 v[45:46], v[55:56], v[45:46]
	v_mul_f64 v[45:46], v[49:50], v[45:46]
	s_delay_alu instid0(VALU_DEP_1) | instskip(NEXT) | instid1(VALU_DEP_1)
	v_add_f64 v[47:48], v[51:52], v[45:46]
	v_add_f64 v[49:50], v[47:48], -v[51:52]
	v_mul_f64 v[51:52], v[47:48], v[47:48]
	s_delay_alu instid0(VALU_DEP_2) | instskip(NEXT) | instid1(VALU_DEP_2)
	v_add_f64 v[45:46], v[45:46], -v[49:50]
	v_fma_f64 v[49:50], v[47:48], v[47:48], -v[51:52]
	s_delay_alu instid0(VALU_DEP_2) | instskip(NEXT) | instid1(VALU_DEP_1)
	v_add_f64 v[53:54], v[45:46], v[45:46]
	v_fma_f64 v[49:50], v[47:48], v[53:54], v[49:50]
	s_delay_alu instid0(VALU_DEP_1) | instskip(NEXT) | instid1(VALU_DEP_1)
	v_add_f64 v[53:54], v[51:52], v[49:50]
	v_fma_f64 v[55:56], v[53:54], s[24:25], s[22:23]
	v_add_f64 v[51:52], v[53:54], -v[51:52]
	v_mul_f64 v[61:62], v[47:48], v[53:54]
	s_delay_alu instid0(VALU_DEP_3) | instskip(NEXT) | instid1(VALU_DEP_3)
	v_fma_f64 v[55:56], v[53:54], v[55:56], s[26:27]
	v_add_f64 v[49:50], v[49:50], -v[51:52]
	s_delay_alu instid0(VALU_DEP_3) | instskip(NEXT) | instid1(VALU_DEP_3)
	v_fma_f64 v[63:64], v[53:54], v[47:48], -v[61:62]
	v_fma_f64 v[55:56], v[53:54], v[55:56], s[28:29]
	s_delay_alu instid0(VALU_DEP_1) | instskip(NEXT) | instid1(VALU_DEP_1)
	v_fma_f64 v[55:56], v[53:54], v[55:56], s[30:31]
	v_fma_f64 v[55:56], v[53:54], v[55:56], s[34:35]
	s_delay_alu instid0(VALU_DEP_1) | instskip(NEXT) | instid1(VALU_DEP_1)
	v_fma_f64 v[55:56], v[53:54], v[55:56], s[36:37]
	;; [unrolled: 3-line block ×3, first 2 shown]
	v_mul_f64 v[57:58], v[53:54], v[55:56]
	s_delay_alu instid0(VALU_DEP_1) | instskip(SKIP_2) | instid1(VALU_DEP_3)
	v_fma_f64 v[51:52], v[53:54], v[55:56], -v[57:58]
	v_fma_f64 v[53:54], v[53:54], v[45:46], v[63:64]
	v_ldexp_f64 v[45:46], v[45:46], 1
	v_fma_f64 v[51:52], v[49:50], v[55:56], v[51:52]
	s_delay_alu instid0(VALU_DEP_3) | instskip(SKIP_1) | instid1(VALU_DEP_3)
	v_fma_f64 v[49:50], v[49:50], v[47:48], v[53:54]
	v_ldexp_f64 v[47:48], v[47:48], 1
	v_add_f64 v[55:56], v[57:58], v[51:52]
	s_delay_alu instid0(VALU_DEP_1) | instskip(SKIP_1) | instid1(VALU_DEP_2)
	v_add_f64 v[57:58], v[55:56], -v[57:58]
	v_add_f64 v[59:60], v[55:56], s[14:15]
	v_add_f64 v[51:52], v[51:52], -v[57:58]
	s_delay_alu instid0(VALU_DEP_2) | instskip(NEXT) | instid1(VALU_DEP_2)
	v_add_f64 v[57:58], v[59:60], s[68:69]
	v_add_f64 v[51:52], v[51:52], s[42:43]
	s_delay_alu instid0(VALU_DEP_2) | instskip(NEXT) | instid1(VALU_DEP_1)
	v_add_f64 v[55:56], v[55:56], -v[57:58]
	v_add_f64 v[51:52], v[51:52], v[55:56]
	v_add_f64 v[55:56], v[61:62], v[49:50]
	s_delay_alu instid0(VALU_DEP_2) | instskip(NEXT) | instid1(VALU_DEP_2)
	v_add_f64 v[53:54], v[59:60], v[51:52]
	v_add_f64 v[61:62], v[55:56], -v[61:62]
	s_delay_alu instid0(VALU_DEP_2) | instskip(SKIP_1) | instid1(VALU_DEP_3)
	v_add_f64 v[57:58], v[59:60], -v[53:54]
	v_mul_f64 v[59:60], v[55:56], v[53:54]
	v_add_f64 v[49:50], v[49:50], -v[61:62]
	s_delay_alu instid0(VALU_DEP_3) | instskip(NEXT) | instid1(VALU_DEP_3)
	v_add_f64 v[51:52], v[51:52], v[57:58]
	v_fma_f64 v[57:58], v[55:56], v[53:54], -v[59:60]
	s_delay_alu instid0(VALU_DEP_1) | instskip(NEXT) | instid1(VALU_DEP_1)
	v_fma_f64 v[51:52], v[55:56], v[51:52], v[57:58]
	v_fma_f64 v[49:50], v[49:50], v[53:54], v[51:52]
	v_cvt_f64_i32_e32 v[53:54], v65
	s_delay_alu instid0(VALU_DEP_2) | instskip(NEXT) | instid1(VALU_DEP_1)
	v_add_f64 v[51:52], v[59:60], v[49:50]
	v_add_f64 v[55:56], v[51:52], -v[59:60]
	v_add_f64 v[57:58], v[47:48], v[51:52]
	s_delay_alu instid0(VALU_DEP_4) | instskip(NEXT) | instid1(VALU_DEP_3)
	v_mul_f64 v[59:60], v[53:54], s[18:19]
	v_add_f64 v[49:50], v[49:50], -v[55:56]
	s_delay_alu instid0(VALU_DEP_3) | instskip(NEXT) | instid1(VALU_DEP_3)
	v_add_f64 v[47:48], v[57:58], -v[47:48]
	v_fma_f64 v[55:56], v[53:54], s[18:19], -v[59:60]
	s_delay_alu instid0(VALU_DEP_3) | instskip(NEXT) | instid1(VALU_DEP_3)
	v_add_f64 v[45:46], v[45:46], v[49:50]
	v_add_f64 v[47:48], v[51:52], -v[47:48]
	s_delay_alu instid0(VALU_DEP_3) | instskip(NEXT) | instid1(VALU_DEP_2)
	v_fma_f64 v[49:50], v[53:54], s[20:21], v[55:56]
	v_add_f64 v[45:46], v[45:46], v[47:48]
	s_delay_alu instid0(VALU_DEP_2) | instskip(NEXT) | instid1(VALU_DEP_2)
	v_add_f64 v[47:48], v[59:60], v[49:50]
	v_add_f64 v[51:52], v[57:58], v[45:46]
	s_delay_alu instid0(VALU_DEP_2) | instskip(NEXT) | instid1(VALU_DEP_2)
	v_add_f64 v[59:60], v[47:48], -v[59:60]
	v_add_f64 v[53:54], v[47:48], v[51:52]
	v_add_f64 v[57:58], v[51:52], -v[57:58]
	s_delay_alu instid0(VALU_DEP_3) | instskip(NEXT) | instid1(VALU_DEP_3)
	v_add_f64 v[49:50], v[49:50], -v[59:60]
	v_add_f64 v[55:56], v[53:54], -v[47:48]
	s_delay_alu instid0(VALU_DEP_3) | instskip(NEXT) | instid1(VALU_DEP_2)
	v_add_f64 v[45:46], v[45:46], -v[57:58]
	v_add_f64 v[61:62], v[53:54], -v[55:56]
	;; [unrolled: 1-line block ×3, first 2 shown]
	s_delay_alu instid0(VALU_DEP_3) | instskip(NEXT) | instid1(VALU_DEP_3)
	v_add_f64 v[55:56], v[49:50], v[45:46]
	v_add_f64 v[47:48], v[47:48], -v[61:62]
	s_delay_alu instid0(VALU_DEP_1) | instskip(NEXT) | instid1(VALU_DEP_3)
	v_add_f64 v[47:48], v[51:52], v[47:48]
	v_add_f64 v[51:52], v[55:56], -v[49:50]
	s_delay_alu instid0(VALU_DEP_2) | instskip(NEXT) | instid1(VALU_DEP_2)
	v_add_f64 v[47:48], v[55:56], v[47:48]
	v_add_f64 v[55:56], v[55:56], -v[51:52]
	v_add_f64 v[45:46], v[45:46], -v[51:52]
	s_delay_alu instid0(VALU_DEP_3) | instskip(NEXT) | instid1(VALU_DEP_3)
	v_add_f64 v[57:58], v[53:54], v[47:48]
	v_add_f64 v[49:50], v[49:50], -v[55:56]
	s_delay_alu instid0(VALU_DEP_2) | instskip(NEXT) | instid1(VALU_DEP_2)
	v_add_f64 v[51:52], v[57:58], -v[53:54]
	v_add_f64 v[45:46], v[45:46], v[49:50]
	s_delay_alu instid0(VALU_DEP_2) | instskip(NEXT) | instid1(VALU_DEP_1)
	v_add_f64 v[47:48], v[47:48], -v[51:52]
	v_add_f64 v[45:46], v[45:46], v[47:48]
	s_delay_alu instid0(VALU_DEP_1) | instskip(NEXT) | instid1(VALU_DEP_1)
	v_add_f64 v[47:48], v[57:58], v[45:46]
	v_add_f64 v[49:50], v[47:48], -v[57:58]
	v_mul_f64 v[51:52], v[41:42], v[47:48]
	s_delay_alu instid0(VALU_DEP_2) | instskip(NEXT) | instid1(VALU_DEP_2)
	v_add_f64 v[45:46], v[45:46], -v[49:50]
	v_fma_f64 v[47:48], v[41:42], v[47:48], -v[51:52]
	v_cmp_class_f64_e64 s4, v[51:52], 0x204
	s_delay_alu instid0(VALU_DEP_2) | instskip(NEXT) | instid1(VALU_DEP_1)
	v_fma_f64 v[45:46], v[41:42], v[45:46], v[47:48]
	v_add_f64 v[47:48], v[51:52], v[45:46]
	s_delay_alu instid0(VALU_DEP_1) | instskip(NEXT) | instid1(VALU_DEP_2)
	v_cndmask_b32_e64 v50, v48, v52, s4
	v_cndmask_b32_e64 v49, v47, v51, s4
	v_add_f64 v[47:48], v[47:48], -v[51:52]
	s_delay_alu instid0(VALU_DEP_2)
	v_mul_f64 v[53:54], v[49:50], s[44:45]
	v_cmp_lt_f64_e64 s4, 0x40900000, v[49:50]
	v_cmp_neq_f64_e64 s5, 0x7ff00000, |v[49:50]|
	v_cmp_ngt_f64_e64 s6, 0xc090cc00, v[49:50]
	v_add_f64 v[45:46], v[45:46], -v[47:48]
	v_mul_f64 v[47:48], v[41:42], 0.5
	v_rndne_f64_e32 v[53:54], v[53:54]
	s_delay_alu instid0(VALU_DEP_3) | instskip(NEXT) | instid1(VALU_DEP_4)
	v_cndmask_b32_e64 v46, 0, v46, s5
	v_cndmask_b32_e64 v45, 0, v45, s5
	s_delay_alu instid0(VALU_DEP_3) | instskip(SKIP_1) | instid1(VALU_DEP_2)
	v_fma_f64 v[55:56], v[53:54], s[70:71], v[49:50]
	v_cvt_i32_f64_e32 v2, v[53:54]
	v_fma_f64 v[55:56], v[53:54], s[72:73], v[55:56]
	s_delay_alu instid0(VALU_DEP_1) | instskip(NEXT) | instid1(VALU_DEP_1)
	v_fma_f64 v[57:58], v[55:56], s[48:49], s[46:47]
	v_fma_f64 v[57:58], v[55:56], v[57:58], s[50:51]
	s_delay_alu instid0(VALU_DEP_1) | instskip(NEXT) | instid1(VALU_DEP_1)
	v_fma_f64 v[57:58], v[55:56], v[57:58], s[52:53]
	;; [unrolled: 3-line block ×5, first 2 shown]
	v_fma_f64 v[57:58], v[55:56], v[57:58], 1.0
	s_delay_alu instid0(VALU_DEP_1) | instskip(NEXT) | instid1(VALU_DEP_1)
	v_fma_f64 v[53:54], v[55:56], v[57:58], 1.0
	v_ldexp_f64 v[51:52], v[53:54], v2
	s_delay_alu instid0(VALU_DEP_1) | instskip(SKIP_1) | instid1(VALU_DEP_3)
	v_cndmask_b32_e64 v53, v52, 0x7ff00000, s4
	v_and_b32_e32 v52, 0x7fffffff, v52
	v_cndmask_b32_e64 v2, v51, 0, s4
	s_delay_alu instid0(VALU_DEP_3) | instskip(NEXT) | instid1(VALU_DEP_3)
	v_cndmask_b32_e64 v50, 0, v53, s6
	v_cmp_eq_f64_e64 s5, 0x7ff00000, v[51:52]
	v_trunc_f64_e32 v[51:52], v[47:48]
	v_trunc_f64_e32 v[53:54], v[41:42]
	v_cndmask_b32_e64 v49, 0, v2, s6
	v_and_b32_e32 v2, 0x7fffffff, v18
	s_delay_alu instid0(VALU_DEP_2) | instskip(NEXT) | instid1(VALU_DEP_2)
	v_fma_f64 v[45:46], v[49:50], v[45:46], v[49:50]
	v_cndmask_b32_e64 v18, v2, 0x3ff00000, s3
	s_delay_alu instid0(VALU_DEP_1)
	v_cmp_neq_f64_e64 s3, v[41:42], v[17:18]
	s_or_b32 s5, s4, s5
	v_cmp_neq_f64_e64 s4, v[51:52], v[47:48]
	s_and_b32 s5, s6, s5
	v_cmp_eq_f64_e64 s6, v[53:54], v[41:42]
	v_cndmask_b32_e64 v2, v46, v50, s5
	v_cndmask_b32_e64 v45, v45, v49, s5
	v_cmp_eq_f64_e64 s5, 0, v[15:16]
	s_xor_b32 s2, s3, s7
	v_cmp_gt_f64_e64 s3, 0, v[15:16]
	v_cndmask_b32_e64 v49, v18, 0, s2
	s_and_b32 s4, s6, s4
	v_cndmask_b32_e64 v46, 0, v45, s6
	v_cndmask_b32_e64 v48, 0x3ff00000, v16, s4
	;; [unrolled: 1-line block ×3, first 2 shown]
	v_cmp_gt_f64_e64 s4, 0, v[41:42]
	s_delay_alu instid0(VALU_DEP_3) | instskip(SKIP_2) | instid1(VALU_DEP_3)
	v_bfi_b32 v2, 0x7fffffff, v2, v48
	v_cndmask_b32_e64 v48, v17, 0, s2
	v_cmp_eq_f64_e64 s2, 1.0, v[43:44]
	v_cndmask_b32_e64 v50, 0x7ff80000, v2, s6
	v_cndmask_b32_e64 v45, v45, v46, s3
	s_delay_alu instid0(VALU_DEP_2)
	v_cndmask_b32_e64 v2, v2, v50, s3
	v_cmp_eq_f64_e64 s3, 0x7ff00000, v[43:44]
	s_xor_b32 s4, s4, s5
	v_cndmask_b32_e64 v49, v49, v44, s2
	v_cndmask_b32_e64 v48, v48, v43, s2
	v_cmp_eq_f64_e64 s2, 0x7ff00000, v[17:18]
	v_cndmask_b32_e64 v17, 0x7ff00000, 0, s4
	s_delay_alu instid0(VALU_DEP_1) | instskip(NEXT) | instid1(VALU_DEP_3)
	v_bfi_b32 v17, 0x7fffffff, v17, v47
	v_cndmask_b32_e64 v18, v45, v48, s2
	v_cndmask_b32_e64 v2, v2, v49, s2
	s_or_b32 s2, s3, s5
	s_delay_alu instid0(VALU_DEP_1) | instid1(SALU_CYCLE_1)
	v_cndmask_b32_e64 v2, v2, v17, s2
	s_delay_alu instid0(VALU_DEP_3) | instskip(SKIP_1) | instid1(VALU_DEP_1)
	v_cndmask_b32_e64 v17, v18, 0, s2
	v_cmp_o_f64_e64 s2, v[15:16], v[41:42]
	v_cndmask_b32_e64 v15, 0, v17, s2
	s_delay_alu instid0(VALU_DEP_4) | instskip(SKIP_1) | instid1(VALU_DEP_1)
	v_cndmask_b32_e64 v16, 0x7ff80000, v2, s2
	v_add_co_u32 v17, s2, v19, s10
	v_add_co_ci_u32_e64 v18, s2, s11, v20, s2
	global_store_b64 v[17:18], v[15:16], off
	s_or_b32 exec_lo, exec_lo, s75
	s_and_saveexec_b32 s7, s1
	s_cbranch_execz .LBB137_18
.LBB137_22:                             ;   in Loop: Header=BB137_9 Depth=1
	s_waitcnt vmcnt(0)
	v_mul_f64 v[13:14], v[13:14], s[8:9]
	v_cmp_eq_f64_e64 s2, 1.0, v[9:10]
	v_and_b32_e32 v2, 0x7fffffff, v10
	s_mov_b32 s68, s14
	s_mov_b32 s70, s18
	;; [unrolled: 1-line block ×3, first 2 shown]
	s_delay_alu instid0(VALU_DEP_2) | instskip(NEXT) | instid1(VALU_DEP_4)
	v_cndmask_b32_e64 v16, v14, 0x3ff00000, s2
	v_cndmask_b32_e64 v15, v13, 0, s2
	;; [unrolled: 1-line block ×3, first 2 shown]
	s_delay_alu instid0(VALU_DEP_2) | instskip(NEXT) | instid1(VALU_DEP_1)
	v_cmp_eq_f64_e64 s1, 0, v[15:16]
	v_cndmask_b32_e64 v18, v2, 0x3ff00000, s1
	v_cndmask_b32_e64 v17, v9, 0, s1
	;; [unrolled: 1-line block ×4, first 2 shown]
	s_delay_alu instid0(VALU_DEP_3) | instskip(SKIP_1) | instid1(VALU_DEP_2)
	v_frexp_mant_f64_e32 v[41:42], v[17:18]
	v_cmp_gt_f64_e64 s6, 1.0, v[17:18]
	v_cmp_gt_f64_e64 s3, s[14:15], v[41:42]
	s_delay_alu instid0(VALU_DEP_1) | instskip(NEXT) | instid1(VALU_DEP_1)
	v_cndmask_b32_e64 v2, 0x3ff00000, 2.0, s3
	v_mul_f64 v[41:42], v[41:42], v[1:2]
	v_frexp_exp_i32_f64_e32 v2, v[17:18]
	s_delay_alu instid0(VALU_DEP_2) | instskip(SKIP_1) | instid1(VALU_DEP_3)
	v_add_f64 v[43:44], v[41:42], 1.0
	v_add_f64 v[49:50], v[41:42], -1.0
	v_subrev_co_ci_u32_e64 v2, s3, 0, v2, s3
	s_delay_alu instid0(VALU_DEP_3) | instskip(SKIP_1) | instid1(VALU_DEP_1)
	v_rcp_f64_e32 v[45:46], v[43:44]
	v_add_f64 v[51:52], v[43:44], -1.0
	v_add_f64 v[41:42], v[41:42], -v[51:52]
	s_waitcnt_depctr 0xfff
	v_fma_f64 v[47:48], -v[43:44], v[45:46], 1.0
	s_delay_alu instid0(VALU_DEP_1) | instskip(NEXT) | instid1(VALU_DEP_1)
	v_fma_f64 v[45:46], v[47:48], v[45:46], v[45:46]
	v_fma_f64 v[47:48], -v[43:44], v[45:46], 1.0
	s_delay_alu instid0(VALU_DEP_1) | instskip(NEXT) | instid1(VALU_DEP_1)
	v_fma_f64 v[45:46], v[47:48], v[45:46], v[45:46]
	v_mul_f64 v[47:48], v[49:50], v[45:46]
	s_delay_alu instid0(VALU_DEP_1) | instskip(NEXT) | instid1(VALU_DEP_1)
	v_mul_f64 v[53:54], v[43:44], v[47:48]
	v_fma_f64 v[43:44], v[47:48], v[43:44], -v[53:54]
	s_delay_alu instid0(VALU_DEP_1) | instskip(NEXT) | instid1(VALU_DEP_1)
	v_fma_f64 v[41:42], v[47:48], v[41:42], v[43:44]
	v_add_f64 v[43:44], v[53:54], v[41:42]
	s_delay_alu instid0(VALU_DEP_1) | instskip(SKIP_1) | instid1(VALU_DEP_2)
	v_add_f64 v[51:52], v[49:50], -v[43:44]
	v_add_f64 v[53:54], v[43:44], -v[53:54]
	;; [unrolled: 1-line block ×3, first 2 shown]
	s_delay_alu instid0(VALU_DEP_2) | instskip(NEXT) | instid1(VALU_DEP_2)
	v_add_f64 v[41:42], v[53:54], -v[41:42]
	v_add_f64 v[43:44], v[49:50], -v[43:44]
	s_delay_alu instid0(VALU_DEP_1) | instskip(NEXT) | instid1(VALU_DEP_1)
	v_add_f64 v[41:42], v[41:42], v[43:44]
	v_add_f64 v[41:42], v[51:52], v[41:42]
	s_delay_alu instid0(VALU_DEP_1) | instskip(NEXT) | instid1(VALU_DEP_1)
	v_mul_f64 v[41:42], v[45:46], v[41:42]
	v_add_f64 v[43:44], v[47:48], v[41:42]
	s_delay_alu instid0(VALU_DEP_1) | instskip(SKIP_1) | instid1(VALU_DEP_2)
	v_add_f64 v[45:46], v[43:44], -v[47:48]
	v_mul_f64 v[47:48], v[43:44], v[43:44]
	v_add_f64 v[41:42], v[41:42], -v[45:46]
	s_delay_alu instid0(VALU_DEP_2) | instskip(NEXT) | instid1(VALU_DEP_2)
	v_fma_f64 v[45:46], v[43:44], v[43:44], -v[47:48]
	v_add_f64 v[49:50], v[41:42], v[41:42]
	s_delay_alu instid0(VALU_DEP_1) | instskip(NEXT) | instid1(VALU_DEP_1)
	v_fma_f64 v[45:46], v[43:44], v[49:50], v[45:46]
	v_add_f64 v[49:50], v[47:48], v[45:46]
	s_delay_alu instid0(VALU_DEP_1) | instskip(SKIP_2) | instid1(VALU_DEP_3)
	v_fma_f64 v[51:52], v[49:50], s[24:25], s[22:23]
	v_add_f64 v[47:48], v[49:50], -v[47:48]
	v_mul_f64 v[57:58], v[43:44], v[49:50]
	v_fma_f64 v[51:52], v[49:50], v[51:52], s[26:27]
	s_delay_alu instid0(VALU_DEP_3) | instskip(NEXT) | instid1(VALU_DEP_2)
	v_add_f64 v[45:46], v[45:46], -v[47:48]
	v_fma_f64 v[51:52], v[49:50], v[51:52], s[28:29]
	s_delay_alu instid0(VALU_DEP_1) | instskip(NEXT) | instid1(VALU_DEP_1)
	v_fma_f64 v[51:52], v[49:50], v[51:52], s[30:31]
	v_fma_f64 v[51:52], v[49:50], v[51:52], s[34:35]
	s_delay_alu instid0(VALU_DEP_1) | instskip(NEXT) | instid1(VALU_DEP_1)
	v_fma_f64 v[51:52], v[49:50], v[51:52], s[36:37]
	;; [unrolled: 3-line block ×3, first 2 shown]
	v_mul_f64 v[53:54], v[49:50], v[51:52]
	s_delay_alu instid0(VALU_DEP_1) | instskip(NEXT) | instid1(VALU_DEP_1)
	v_fma_f64 v[47:48], v[49:50], v[51:52], -v[53:54]
	v_fma_f64 v[47:48], v[45:46], v[51:52], v[47:48]
	s_delay_alu instid0(VALU_DEP_1) | instskip(NEXT) | instid1(VALU_DEP_1)
	v_add_f64 v[51:52], v[53:54], v[47:48]
	v_add_f64 v[55:56], v[51:52], s[14:15]
	v_add_f64 v[53:54], v[51:52], -v[53:54]
	s_delay_alu instid0(VALU_DEP_2) | instskip(NEXT) | instid1(VALU_DEP_2)
	v_add_f64 v[59:60], v[55:56], s[68:69]
	v_add_f64 v[47:48], v[47:48], -v[53:54]
	v_fma_f64 v[53:54], v[49:50], v[43:44], -v[57:58]
	s_delay_alu instid0(VALU_DEP_3) | instskip(NEXT) | instid1(VALU_DEP_3)
	v_add_f64 v[51:52], v[51:52], -v[59:60]
	v_add_f64 v[47:48], v[47:48], s[42:43]
	s_delay_alu instid0(VALU_DEP_3) | instskip(SKIP_1) | instid1(VALU_DEP_3)
	v_fma_f64 v[49:50], v[49:50], v[41:42], v[53:54]
	v_ldexp_f64 v[41:42], v[41:42], 1
	v_add_f64 v[47:48], v[47:48], v[51:52]
	s_delay_alu instid0(VALU_DEP_3) | instskip(SKIP_1) | instid1(VALU_DEP_3)
	v_fma_f64 v[45:46], v[45:46], v[43:44], v[49:50]
	v_ldexp_f64 v[43:44], v[43:44], 1
	v_add_f64 v[49:50], v[55:56], v[47:48]
	s_delay_alu instid0(VALU_DEP_3) | instskip(NEXT) | instid1(VALU_DEP_2)
	v_add_f64 v[51:52], v[57:58], v[45:46]
	v_add_f64 v[53:54], v[55:56], -v[49:50]
	s_delay_alu instid0(VALU_DEP_2) | instskip(SKIP_1) | instid1(VALU_DEP_3)
	v_mul_f64 v[55:56], v[51:52], v[49:50]
	v_add_f64 v[57:58], v[51:52], -v[57:58]
	v_add_f64 v[47:48], v[47:48], v[53:54]
	s_delay_alu instid0(VALU_DEP_3) | instskip(NEXT) | instid1(VALU_DEP_3)
	v_fma_f64 v[53:54], v[51:52], v[49:50], -v[55:56]
	v_add_f64 v[45:46], v[45:46], -v[57:58]
	s_delay_alu instid0(VALU_DEP_2) | instskip(NEXT) | instid1(VALU_DEP_1)
	v_fma_f64 v[47:48], v[51:52], v[47:48], v[53:54]
	v_fma_f64 v[45:46], v[45:46], v[49:50], v[47:48]
	v_cvt_f64_i32_e32 v[49:50], v2
	s_delay_alu instid0(VALU_DEP_2) | instskip(NEXT) | instid1(VALU_DEP_1)
	v_add_f64 v[47:48], v[55:56], v[45:46]
	v_add_f64 v[51:52], v[43:44], v[47:48]
	v_add_f64 v[53:54], v[47:48], -v[55:56]
	s_delay_alu instid0(VALU_DEP_4) | instskip(NEXT) | instid1(VALU_DEP_3)
	v_mul_f64 v[55:56], v[49:50], s[18:19]
	v_add_f64 v[43:44], v[51:52], -v[43:44]
	s_delay_alu instid0(VALU_DEP_3) | instskip(NEXT) | instid1(VALU_DEP_3)
	v_add_f64 v[45:46], v[45:46], -v[53:54]
	v_fma_f64 v[53:54], v[49:50], s[18:19], -v[55:56]
	s_delay_alu instid0(VALU_DEP_3) | instskip(NEXT) | instid1(VALU_DEP_3)
	v_add_f64 v[43:44], v[47:48], -v[43:44]
	v_add_f64 v[41:42], v[41:42], v[45:46]
	s_delay_alu instid0(VALU_DEP_3) | instskip(NEXT) | instid1(VALU_DEP_2)
	v_fma_f64 v[45:46], v[49:50], s[20:21], v[53:54]
	v_add_f64 v[41:42], v[41:42], v[43:44]
	s_delay_alu instid0(VALU_DEP_2) | instskip(NEXT) | instid1(VALU_DEP_2)
	v_add_f64 v[43:44], v[55:56], v[45:46]
	v_add_f64 v[47:48], v[51:52], v[41:42]
	s_delay_alu instid0(VALU_DEP_2) | instskip(NEXT) | instid1(VALU_DEP_2)
	v_add_f64 v[55:56], v[43:44], -v[55:56]
	v_add_f64 v[49:50], v[43:44], v[47:48]
	v_add_f64 v[51:52], v[47:48], -v[51:52]
	s_delay_alu instid0(VALU_DEP_3) | instskip(NEXT) | instid1(VALU_DEP_3)
	v_add_f64 v[45:46], v[45:46], -v[55:56]
	v_add_f64 v[53:54], v[49:50], -v[43:44]
	s_delay_alu instid0(VALU_DEP_3) | instskip(NEXT) | instid1(VALU_DEP_2)
	v_add_f64 v[41:42], v[41:42], -v[51:52]
	v_add_f64 v[57:58], v[49:50], -v[53:54]
	v_add_f64 v[47:48], v[47:48], -v[53:54]
	s_delay_alu instid0(VALU_DEP_3) | instskip(NEXT) | instid1(VALU_DEP_3)
	v_add_f64 v[51:52], v[45:46], v[41:42]
	v_add_f64 v[43:44], v[43:44], -v[57:58]
	s_delay_alu instid0(VALU_DEP_1) | instskip(NEXT) | instid1(VALU_DEP_3)
	v_add_f64 v[43:44], v[47:48], v[43:44]
	v_add_f64 v[47:48], v[51:52], -v[45:46]
	s_delay_alu instid0(VALU_DEP_2) | instskip(NEXT) | instid1(VALU_DEP_2)
	v_add_f64 v[43:44], v[51:52], v[43:44]
	v_add_f64 v[51:52], v[51:52], -v[47:48]
	v_add_f64 v[41:42], v[41:42], -v[47:48]
	s_delay_alu instid0(VALU_DEP_3) | instskip(NEXT) | instid1(VALU_DEP_3)
	v_add_f64 v[53:54], v[49:50], v[43:44]
	v_add_f64 v[45:46], v[45:46], -v[51:52]
	s_delay_alu instid0(VALU_DEP_2) | instskip(NEXT) | instid1(VALU_DEP_2)
	v_add_f64 v[47:48], v[53:54], -v[49:50]
	v_add_f64 v[41:42], v[41:42], v[45:46]
	s_delay_alu instid0(VALU_DEP_2) | instskip(NEXT) | instid1(VALU_DEP_1)
	v_add_f64 v[43:44], v[43:44], -v[47:48]
	v_add_f64 v[41:42], v[41:42], v[43:44]
	s_delay_alu instid0(VALU_DEP_1) | instskip(NEXT) | instid1(VALU_DEP_1)
	v_add_f64 v[43:44], v[53:54], v[41:42]
	v_add_f64 v[45:46], v[43:44], -v[53:54]
	v_mul_f64 v[47:48], v[15:16], v[43:44]
	s_delay_alu instid0(VALU_DEP_2) | instskip(NEXT) | instid1(VALU_DEP_2)
	v_add_f64 v[41:42], v[41:42], -v[45:46]
	v_fma_f64 v[43:44], v[15:16], v[43:44], -v[47:48]
	v_cmp_class_f64_e64 s3, v[47:48], 0x204
	s_delay_alu instid0(VALU_DEP_2) | instskip(NEXT) | instid1(VALU_DEP_1)
	v_fma_f64 v[41:42], v[15:16], v[41:42], v[43:44]
	v_add_f64 v[43:44], v[47:48], v[41:42]
	s_delay_alu instid0(VALU_DEP_1) | instskip(NEXT) | instid1(VALU_DEP_2)
	v_cndmask_b32_e64 v46, v44, v48, s3
	v_cndmask_b32_e64 v45, v43, v47, s3
	v_add_f64 v[43:44], v[43:44], -v[47:48]
	s_delay_alu instid0(VALU_DEP_2)
	v_mul_f64 v[49:50], v[45:46], s[44:45]
	v_cmp_lt_f64_e64 s3, 0x40900000, v[45:46]
	v_cmp_neq_f64_e64 s4, 0x7ff00000, |v[45:46]|
	v_cmp_ngt_f64_e64 s5, 0xc090cc00, v[45:46]
	v_add_f64 v[41:42], v[41:42], -v[43:44]
	v_mul_f64 v[43:44], v[15:16], 0.5
	v_rndne_f64_e32 v[49:50], v[49:50]
	s_delay_alu instid0(VALU_DEP_3) | instskip(NEXT) | instid1(VALU_DEP_4)
	v_cndmask_b32_e64 v42, 0, v42, s4
	v_cndmask_b32_e64 v41, 0, v41, s4
	s_delay_alu instid0(VALU_DEP_3) | instskip(SKIP_1) | instid1(VALU_DEP_2)
	v_fma_f64 v[51:52], v[49:50], s[70:71], v[45:46]
	v_cvt_i32_f64_e32 v2, v[49:50]
	v_fma_f64 v[51:52], v[49:50], s[72:73], v[51:52]
	s_delay_alu instid0(VALU_DEP_1) | instskip(NEXT) | instid1(VALU_DEP_1)
	v_fma_f64 v[53:54], v[51:52], s[48:49], s[46:47]
	v_fma_f64 v[53:54], v[51:52], v[53:54], s[50:51]
	s_delay_alu instid0(VALU_DEP_1) | instskip(NEXT) | instid1(VALU_DEP_1)
	v_fma_f64 v[53:54], v[51:52], v[53:54], s[52:53]
	;; [unrolled: 3-line block ×5, first 2 shown]
	v_fma_f64 v[53:54], v[51:52], v[53:54], 1.0
	s_delay_alu instid0(VALU_DEP_1) | instskip(NEXT) | instid1(VALU_DEP_1)
	v_fma_f64 v[49:50], v[51:52], v[53:54], 1.0
	v_ldexp_f64 v[47:48], v[49:50], v2
	s_delay_alu instid0(VALU_DEP_1) | instskip(SKIP_1) | instid1(VALU_DEP_3)
	v_cndmask_b32_e64 v49, v48, 0x7ff00000, s3
	v_and_b32_e32 v48, 0x7fffffff, v48
	v_cndmask_b32_e64 v2, v47, 0, s3
	s_delay_alu instid0(VALU_DEP_3) | instskip(NEXT) | instid1(VALU_DEP_3)
	v_cndmask_b32_e64 v46, 0, v49, s5
	v_cmp_eq_f64_e64 s4, 0x7ff00000, v[47:48]
	v_trunc_f64_e32 v[47:48], v[43:44]
	v_trunc_f64_e32 v[49:50], v[15:16]
	v_cndmask_b32_e64 v45, 0, v2, s5
	v_and_b32_e32 v2, 0x7fffffff, v14
	s_delay_alu instid0(VALU_DEP_2) | instskip(NEXT) | instid1(VALU_DEP_2)
	v_fma_f64 v[41:42], v[45:46], v[41:42], v[45:46]
	v_cndmask_b32_e64 v14, v2, 0x3ff00000, s2
	s_delay_alu instid0(VALU_DEP_1)
	v_cmp_neq_f64_e64 s2, v[15:16], v[13:14]
	s_or_b32 s4, s3, s4
	v_cmp_neq_f64_e64 s3, v[47:48], v[43:44]
	s_and_b32 s4, s5, s4
	v_cmp_eq_f64_e64 s5, v[49:50], v[15:16]
	v_cndmask_b32_e64 v2, v42, v46, s4
	v_cndmask_b32_e64 v41, v41, v45, s4
	v_cmp_gt_f64_e64 s4, 0, v[15:16]
	s_xor_b32 s1, s2, s6
	v_cmp_gt_f64_e64 s2, 0, v[9:10]
	v_cndmask_b32_e64 v44, v14, 0, s1
	s_and_b32 s3, s5, s3
	v_cndmask_b32_e64 v42, 0, v41, s5
	v_cndmask_b32_e64 v43, 0x3ff00000, v10, s3
	s_delay_alu instid0(VALU_DEP_1) | instskip(SKIP_2) | instid1(VALU_DEP_3)
	v_bfi_b32 v2, 0x7fffffff, v2, v43
	v_cndmask_b32_e64 v43, v13, 0, s1
	v_cmp_eq_f64_e64 s1, 1.0, v[17:18]
	v_cndmask_b32_e64 v45, 0x7ff80000, v2, s5
	v_cmp_eq_f64_e64 s5, 0, v[9:10]
	v_cndmask_b32_e64 v41, v41, v42, s2
	s_delay_alu instid0(VALU_DEP_3)
	v_cndmask_b32_e64 v2, v2, v45, s2
	v_cmp_eq_f64_e64 s2, 0x7ff00000, v[17:18]
	v_cndmask_b32_e64 v44, v44, v18, s1
	v_cndmask_b32_e64 v43, v43, v17, s1
	v_cmp_eq_f64_e64 s1, 0x7ff00000, v[13:14]
	v_cndmask_b32_e64 v14, 0, v10, s3
	s_xor_b32 s4, s4, s5
	s_delay_alu instid0(SALU_CYCLE_1) | instskip(NEXT) | instid1(VALU_DEP_1)
	v_cndmask_b32_e64 v13, 0x7ff00000, 0, s4
	v_bfi_b32 v13, 0x7fffffff, v13, v14
	s_delay_alu instid0(VALU_DEP_4)
	v_cndmask_b32_e64 v14, v41, v43, s1
	v_cndmask_b32_e64 v2, v2, v44, s1
	s_or_b32 s1, s2, s5
	s_delay_alu instid0(VALU_DEP_1) | instid1(SALU_CYCLE_1)
	v_cndmask_b32_e64 v2, v2, v13, s1
	s_delay_alu instid0(VALU_DEP_3) | instskip(SKIP_1) | instid1(VALU_DEP_1)
	v_cndmask_b32_e64 v13, v14, 0, s1
	v_cmp_o_f64_e64 s1, v[9:10], v[15:16]
	v_cndmask_b32_e64 v9, 0, v13, s1
	s_delay_alu instid0(VALU_DEP_4) | instskip(SKIP_1) | instid1(VALU_DEP_1)
	v_cndmask_b32_e64 v10, 0x7ff80000, v2, s1
	v_add_co_u32 v13, s1, v37, s10
	v_add_co_ci_u32_e64 v14, s1, s11, v38, s1
	global_store_b64 v[13:14], v[9:10], off
	s_or_b32 exec_lo, exec_lo, s7
	s_and_saveexec_b32 s6, s0
	s_cbranch_execz .LBB137_19
.LBB137_23:                             ;   in Loop: Header=BB137_9 Depth=1
	s_waitcnt vmcnt(0)
	v_mul_f64 v[9:10], v[11:12], s[8:9]
	v_cmp_eq_f64_e64 s1, 1.0, v[7:8]
	v_and_b32_e32 v2, 0x7fffffff, v8
	s_mov_b32 s68, s14
	s_mov_b32 s70, s18
	;; [unrolled: 1-line block ×3, first 2 shown]
	s_delay_alu instid0(VALU_DEP_2) | instskip(NEXT) | instid1(VALU_DEP_4)
	v_cndmask_b32_e64 v12, v10, 0x3ff00000, s1
	v_cndmask_b32_e64 v11, v9, 0, s1
	;; [unrolled: 1-line block ×3, first 2 shown]
	s_delay_alu instid0(VALU_DEP_2) | instskip(NEXT) | instid1(VALU_DEP_1)
	v_cmp_eq_f64_e64 s0, 0, v[11:12]
	v_cndmask_b32_e64 v14, v2, 0x3ff00000, s0
	v_cndmask_b32_e64 v13, v7, 0, s0
	;; [unrolled: 1-line block ×4, first 2 shown]
	s_delay_alu instid0(VALU_DEP_3) | instskip(SKIP_1) | instid1(VALU_DEP_2)
	v_frexp_mant_f64_e32 v[15:16], v[13:14]
	v_cmp_gt_f64_e64 s5, 1.0, v[13:14]
	v_cmp_gt_f64_e64 s2, s[14:15], v[15:16]
	s_delay_alu instid0(VALU_DEP_1) | instskip(NEXT) | instid1(VALU_DEP_1)
	v_cndmask_b32_e64 v2, 0x3ff00000, 2.0, s2
	v_mul_f64 v[15:16], v[15:16], v[1:2]
	v_frexp_exp_i32_f64_e32 v2, v[13:14]
	s_delay_alu instid0(VALU_DEP_2) | instskip(SKIP_1) | instid1(VALU_DEP_3)
	v_add_f64 v[17:18], v[15:16], 1.0
	v_add_f64 v[45:46], v[15:16], -1.0
	v_subrev_co_ci_u32_e64 v2, s2, 0, v2, s2
	s_delay_alu instid0(VALU_DEP_3) | instskip(SKIP_1) | instid1(VALU_DEP_1)
	v_rcp_f64_e32 v[41:42], v[17:18]
	v_add_f64 v[47:48], v[17:18], -1.0
	v_add_f64 v[15:16], v[15:16], -v[47:48]
	s_waitcnt_depctr 0xfff
	v_fma_f64 v[43:44], -v[17:18], v[41:42], 1.0
	s_delay_alu instid0(VALU_DEP_1) | instskip(NEXT) | instid1(VALU_DEP_1)
	v_fma_f64 v[41:42], v[43:44], v[41:42], v[41:42]
	v_fma_f64 v[43:44], -v[17:18], v[41:42], 1.0
	s_delay_alu instid0(VALU_DEP_1) | instskip(NEXT) | instid1(VALU_DEP_1)
	v_fma_f64 v[41:42], v[43:44], v[41:42], v[41:42]
	v_mul_f64 v[43:44], v[45:46], v[41:42]
	s_delay_alu instid0(VALU_DEP_1) | instskip(NEXT) | instid1(VALU_DEP_1)
	v_mul_f64 v[49:50], v[17:18], v[43:44]
	v_fma_f64 v[17:18], v[43:44], v[17:18], -v[49:50]
	s_delay_alu instid0(VALU_DEP_1) | instskip(NEXT) | instid1(VALU_DEP_1)
	v_fma_f64 v[15:16], v[43:44], v[15:16], v[17:18]
	v_add_f64 v[17:18], v[49:50], v[15:16]
	s_delay_alu instid0(VALU_DEP_1) | instskip(SKIP_1) | instid1(VALU_DEP_2)
	v_add_f64 v[47:48], v[45:46], -v[17:18]
	v_add_f64 v[49:50], v[17:18], -v[49:50]
	v_add_f64 v[45:46], v[45:46], -v[47:48]
	s_delay_alu instid0(VALU_DEP_2) | instskip(NEXT) | instid1(VALU_DEP_2)
	v_add_f64 v[15:16], v[49:50], -v[15:16]
	v_add_f64 v[17:18], v[45:46], -v[17:18]
	s_delay_alu instid0(VALU_DEP_1) | instskip(NEXT) | instid1(VALU_DEP_1)
	v_add_f64 v[15:16], v[15:16], v[17:18]
	v_add_f64 v[15:16], v[47:48], v[15:16]
	s_delay_alu instid0(VALU_DEP_1) | instskip(NEXT) | instid1(VALU_DEP_1)
	v_mul_f64 v[15:16], v[41:42], v[15:16]
	v_add_f64 v[17:18], v[43:44], v[15:16]
	s_delay_alu instid0(VALU_DEP_1) | instskip(SKIP_1) | instid1(VALU_DEP_2)
	v_add_f64 v[41:42], v[17:18], -v[43:44]
	v_mul_f64 v[43:44], v[17:18], v[17:18]
	v_add_f64 v[15:16], v[15:16], -v[41:42]
	s_delay_alu instid0(VALU_DEP_2) | instskip(NEXT) | instid1(VALU_DEP_2)
	v_fma_f64 v[41:42], v[17:18], v[17:18], -v[43:44]
	v_add_f64 v[45:46], v[15:16], v[15:16]
	s_delay_alu instid0(VALU_DEP_1) | instskip(NEXT) | instid1(VALU_DEP_1)
	v_fma_f64 v[41:42], v[17:18], v[45:46], v[41:42]
	v_add_f64 v[45:46], v[43:44], v[41:42]
	s_delay_alu instid0(VALU_DEP_1) | instskip(SKIP_2) | instid1(VALU_DEP_3)
	v_fma_f64 v[47:48], v[45:46], s[24:25], s[22:23]
	v_add_f64 v[43:44], v[45:46], -v[43:44]
	v_mul_f64 v[53:54], v[17:18], v[45:46]
	v_fma_f64 v[47:48], v[45:46], v[47:48], s[26:27]
	s_delay_alu instid0(VALU_DEP_3) | instskip(NEXT) | instid1(VALU_DEP_2)
	v_add_f64 v[41:42], v[41:42], -v[43:44]
	v_fma_f64 v[47:48], v[45:46], v[47:48], s[28:29]
	s_delay_alu instid0(VALU_DEP_1) | instskip(NEXT) | instid1(VALU_DEP_1)
	v_fma_f64 v[47:48], v[45:46], v[47:48], s[30:31]
	v_fma_f64 v[47:48], v[45:46], v[47:48], s[34:35]
	s_delay_alu instid0(VALU_DEP_1) | instskip(NEXT) | instid1(VALU_DEP_1)
	v_fma_f64 v[47:48], v[45:46], v[47:48], s[36:37]
	;; [unrolled: 3-line block ×3, first 2 shown]
	v_mul_f64 v[49:50], v[45:46], v[47:48]
	s_delay_alu instid0(VALU_DEP_1) | instskip(NEXT) | instid1(VALU_DEP_1)
	v_fma_f64 v[43:44], v[45:46], v[47:48], -v[49:50]
	v_fma_f64 v[43:44], v[41:42], v[47:48], v[43:44]
	s_delay_alu instid0(VALU_DEP_1) | instskip(NEXT) | instid1(VALU_DEP_1)
	v_add_f64 v[47:48], v[49:50], v[43:44]
	v_add_f64 v[51:52], v[47:48], s[14:15]
	v_add_f64 v[49:50], v[47:48], -v[49:50]
	s_delay_alu instid0(VALU_DEP_2) | instskip(NEXT) | instid1(VALU_DEP_2)
	v_add_f64 v[55:56], v[51:52], s[68:69]
	v_add_f64 v[43:44], v[43:44], -v[49:50]
	v_fma_f64 v[49:50], v[45:46], v[17:18], -v[53:54]
	s_delay_alu instid0(VALU_DEP_3) | instskip(NEXT) | instid1(VALU_DEP_3)
	v_add_f64 v[47:48], v[47:48], -v[55:56]
	v_add_f64 v[43:44], v[43:44], s[42:43]
	s_delay_alu instid0(VALU_DEP_3) | instskip(SKIP_1) | instid1(VALU_DEP_3)
	v_fma_f64 v[45:46], v[45:46], v[15:16], v[49:50]
	v_ldexp_f64 v[15:16], v[15:16], 1
	v_add_f64 v[43:44], v[43:44], v[47:48]
	s_delay_alu instid0(VALU_DEP_3) | instskip(SKIP_1) | instid1(VALU_DEP_3)
	v_fma_f64 v[41:42], v[41:42], v[17:18], v[45:46]
	v_ldexp_f64 v[17:18], v[17:18], 1
	v_add_f64 v[45:46], v[51:52], v[43:44]
	s_delay_alu instid0(VALU_DEP_3) | instskip(NEXT) | instid1(VALU_DEP_2)
	v_add_f64 v[47:48], v[53:54], v[41:42]
	v_add_f64 v[49:50], v[51:52], -v[45:46]
	s_delay_alu instid0(VALU_DEP_2) | instskip(SKIP_1) | instid1(VALU_DEP_3)
	v_mul_f64 v[51:52], v[47:48], v[45:46]
	v_add_f64 v[53:54], v[47:48], -v[53:54]
	v_add_f64 v[43:44], v[43:44], v[49:50]
	s_delay_alu instid0(VALU_DEP_3) | instskip(NEXT) | instid1(VALU_DEP_3)
	v_fma_f64 v[49:50], v[47:48], v[45:46], -v[51:52]
	v_add_f64 v[41:42], v[41:42], -v[53:54]
	s_delay_alu instid0(VALU_DEP_2) | instskip(NEXT) | instid1(VALU_DEP_1)
	v_fma_f64 v[43:44], v[47:48], v[43:44], v[49:50]
	v_fma_f64 v[41:42], v[41:42], v[45:46], v[43:44]
	v_cvt_f64_i32_e32 v[45:46], v2
	s_delay_alu instid0(VALU_DEP_2) | instskip(NEXT) | instid1(VALU_DEP_1)
	v_add_f64 v[43:44], v[51:52], v[41:42]
	v_add_f64 v[47:48], v[17:18], v[43:44]
	v_add_f64 v[49:50], v[43:44], -v[51:52]
	s_delay_alu instid0(VALU_DEP_4) | instskip(NEXT) | instid1(VALU_DEP_3)
	v_mul_f64 v[51:52], v[45:46], s[18:19]
	v_add_f64 v[17:18], v[47:48], -v[17:18]
	s_delay_alu instid0(VALU_DEP_3) | instskip(NEXT) | instid1(VALU_DEP_3)
	v_add_f64 v[41:42], v[41:42], -v[49:50]
	v_fma_f64 v[49:50], v[45:46], s[18:19], -v[51:52]
	s_delay_alu instid0(VALU_DEP_3) | instskip(NEXT) | instid1(VALU_DEP_3)
	v_add_f64 v[17:18], v[43:44], -v[17:18]
	v_add_f64 v[15:16], v[15:16], v[41:42]
	s_delay_alu instid0(VALU_DEP_3) | instskip(NEXT) | instid1(VALU_DEP_2)
	v_fma_f64 v[41:42], v[45:46], s[20:21], v[49:50]
	v_add_f64 v[15:16], v[15:16], v[17:18]
	s_delay_alu instid0(VALU_DEP_2) | instskip(NEXT) | instid1(VALU_DEP_2)
	v_add_f64 v[17:18], v[51:52], v[41:42]
	v_add_f64 v[43:44], v[47:48], v[15:16]
	s_delay_alu instid0(VALU_DEP_2) | instskip(NEXT) | instid1(VALU_DEP_2)
	v_add_f64 v[51:52], v[17:18], -v[51:52]
	v_add_f64 v[45:46], v[17:18], v[43:44]
	v_add_f64 v[47:48], v[43:44], -v[47:48]
	s_delay_alu instid0(VALU_DEP_3) | instskip(NEXT) | instid1(VALU_DEP_3)
	v_add_f64 v[41:42], v[41:42], -v[51:52]
	v_add_f64 v[49:50], v[45:46], -v[17:18]
	s_delay_alu instid0(VALU_DEP_3) | instskip(NEXT) | instid1(VALU_DEP_2)
	v_add_f64 v[15:16], v[15:16], -v[47:48]
	v_add_f64 v[53:54], v[45:46], -v[49:50]
	;; [unrolled: 1-line block ×3, first 2 shown]
	s_delay_alu instid0(VALU_DEP_3) | instskip(NEXT) | instid1(VALU_DEP_3)
	v_add_f64 v[47:48], v[41:42], v[15:16]
	v_add_f64 v[17:18], v[17:18], -v[53:54]
	s_delay_alu instid0(VALU_DEP_1) | instskip(NEXT) | instid1(VALU_DEP_3)
	v_add_f64 v[17:18], v[43:44], v[17:18]
	v_add_f64 v[43:44], v[47:48], -v[41:42]
	s_delay_alu instid0(VALU_DEP_2) | instskip(NEXT) | instid1(VALU_DEP_2)
	v_add_f64 v[17:18], v[47:48], v[17:18]
	v_add_f64 v[47:48], v[47:48], -v[43:44]
	v_add_f64 v[15:16], v[15:16], -v[43:44]
	s_delay_alu instid0(VALU_DEP_3) | instskip(NEXT) | instid1(VALU_DEP_3)
	v_add_f64 v[49:50], v[45:46], v[17:18]
	v_add_f64 v[41:42], v[41:42], -v[47:48]
	s_delay_alu instid0(VALU_DEP_2) | instskip(NEXT) | instid1(VALU_DEP_2)
	v_add_f64 v[43:44], v[49:50], -v[45:46]
	v_add_f64 v[15:16], v[15:16], v[41:42]
	s_delay_alu instid0(VALU_DEP_2) | instskip(NEXT) | instid1(VALU_DEP_1)
	v_add_f64 v[17:18], v[17:18], -v[43:44]
	v_add_f64 v[15:16], v[15:16], v[17:18]
	s_delay_alu instid0(VALU_DEP_1) | instskip(NEXT) | instid1(VALU_DEP_1)
	v_add_f64 v[17:18], v[49:50], v[15:16]
	v_add_f64 v[41:42], v[17:18], -v[49:50]
	v_mul_f64 v[43:44], v[11:12], v[17:18]
	s_delay_alu instid0(VALU_DEP_2) | instskip(NEXT) | instid1(VALU_DEP_2)
	v_add_f64 v[15:16], v[15:16], -v[41:42]
	v_fma_f64 v[17:18], v[11:12], v[17:18], -v[43:44]
	v_cmp_class_f64_e64 s2, v[43:44], 0x204
	s_delay_alu instid0(VALU_DEP_2) | instskip(NEXT) | instid1(VALU_DEP_1)
	v_fma_f64 v[15:16], v[11:12], v[15:16], v[17:18]
	v_add_f64 v[17:18], v[43:44], v[15:16]
	s_delay_alu instid0(VALU_DEP_1) | instskip(NEXT) | instid1(VALU_DEP_2)
	v_cndmask_b32_e64 v42, v18, v44, s2
	v_cndmask_b32_e64 v41, v17, v43, s2
	v_add_f64 v[17:18], v[17:18], -v[43:44]
	s_delay_alu instid0(VALU_DEP_2)
	v_mul_f64 v[45:46], v[41:42], s[44:45]
	v_cmp_lt_f64_e64 s2, 0x40900000, v[41:42]
	v_cmp_neq_f64_e64 s3, 0x7ff00000, |v[41:42]|
	v_cmp_ngt_f64_e64 s4, 0xc090cc00, v[41:42]
	v_add_f64 v[15:16], v[15:16], -v[17:18]
	v_mul_f64 v[17:18], v[11:12], 0.5
	v_rndne_f64_e32 v[45:46], v[45:46]
	s_delay_alu instid0(VALU_DEP_3) | instskip(NEXT) | instid1(VALU_DEP_4)
	v_cndmask_b32_e64 v16, 0, v16, s3
	v_cndmask_b32_e64 v15, 0, v15, s3
	s_delay_alu instid0(VALU_DEP_3) | instskip(SKIP_1) | instid1(VALU_DEP_2)
	v_fma_f64 v[47:48], v[45:46], s[70:71], v[41:42]
	v_cvt_i32_f64_e32 v2, v[45:46]
	v_fma_f64 v[47:48], v[45:46], s[72:73], v[47:48]
	s_delay_alu instid0(VALU_DEP_1) | instskip(NEXT) | instid1(VALU_DEP_1)
	v_fma_f64 v[49:50], v[47:48], s[48:49], s[46:47]
	v_fma_f64 v[49:50], v[47:48], v[49:50], s[50:51]
	s_delay_alu instid0(VALU_DEP_1) | instskip(NEXT) | instid1(VALU_DEP_1)
	v_fma_f64 v[49:50], v[47:48], v[49:50], s[52:53]
	;; [unrolled: 3-line block ×5, first 2 shown]
	v_fma_f64 v[49:50], v[47:48], v[49:50], 1.0
	s_delay_alu instid0(VALU_DEP_1) | instskip(NEXT) | instid1(VALU_DEP_1)
	v_fma_f64 v[45:46], v[47:48], v[49:50], 1.0
	v_ldexp_f64 v[43:44], v[45:46], v2
	s_delay_alu instid0(VALU_DEP_1) | instskip(SKIP_1) | instid1(VALU_DEP_3)
	v_cndmask_b32_e64 v45, v44, 0x7ff00000, s2
	v_and_b32_e32 v44, 0x7fffffff, v44
	v_cndmask_b32_e64 v2, v43, 0, s2
	s_delay_alu instid0(VALU_DEP_3) | instskip(NEXT) | instid1(VALU_DEP_3)
	v_cndmask_b32_e64 v42, 0, v45, s4
	v_cmp_eq_f64_e64 s3, 0x7ff00000, v[43:44]
	v_trunc_f64_e32 v[43:44], v[17:18]
	v_trunc_f64_e32 v[45:46], v[11:12]
	v_cndmask_b32_e64 v41, 0, v2, s4
	v_and_b32_e32 v2, 0x7fffffff, v10
	s_delay_alu instid0(VALU_DEP_2) | instskip(NEXT) | instid1(VALU_DEP_2)
	v_fma_f64 v[15:16], v[41:42], v[15:16], v[41:42]
	v_cndmask_b32_e64 v10, v2, 0x3ff00000, s1
	s_delay_alu instid0(VALU_DEP_1)
	v_cmp_neq_f64_e64 s1, v[11:12], v[9:10]
	s_or_b32 s3, s2, s3
	v_cmp_neq_f64_e64 s2, v[43:44], v[17:18]
	s_and_b32 s3, s4, s3
	v_cmp_eq_f64_e64 s4, v[45:46], v[11:12]
	v_cndmask_b32_e64 v2, v16, v42, s3
	v_cndmask_b32_e64 v15, v15, v41, s3
	v_cmp_gt_f64_e64 s3, 0, v[11:12]
	s_xor_b32 s0, s1, s5
	v_cmp_gt_f64_e64 s1, 0, v[7:8]
	v_cndmask_b32_e64 v18, v10, 0, s0
	s_and_b32 s2, s4, s2
	v_cndmask_b32_e64 v16, 0, v15, s4
	v_cndmask_b32_e64 v17, 0x3ff00000, v8, s2
	s_delay_alu instid0(VALU_DEP_1) | instskip(SKIP_2) | instid1(VALU_DEP_3)
	v_bfi_b32 v2, 0x7fffffff, v2, v17
	v_cndmask_b32_e64 v17, v9, 0, s0
	v_cmp_eq_f64_e64 s0, 1.0, v[13:14]
	v_cndmask_b32_e64 v41, 0x7ff80000, v2, s4
	v_cmp_eq_f64_e64 s4, 0, v[7:8]
	v_cndmask_b32_e64 v15, v15, v16, s1
	s_delay_alu instid0(VALU_DEP_3)
	v_cndmask_b32_e64 v2, v2, v41, s1
	v_cmp_eq_f64_e64 s1, 0x7ff00000, v[13:14]
	v_cndmask_b32_e64 v18, v18, v14, s0
	v_cndmask_b32_e64 v17, v17, v13, s0
	v_cmp_eq_f64_e64 s0, 0x7ff00000, v[9:10]
	v_cndmask_b32_e64 v10, 0, v8, s2
	s_xor_b32 s3, s3, s4
	s_delay_alu instid0(SALU_CYCLE_1) | instskip(NEXT) | instid1(VALU_DEP_1)
	v_cndmask_b32_e64 v9, 0x7ff00000, 0, s3
	v_bfi_b32 v9, 0x7fffffff, v9, v10
	s_delay_alu instid0(VALU_DEP_4)
	v_cndmask_b32_e64 v10, v15, v17, s0
	v_cndmask_b32_e64 v2, v2, v18, s0
	s_or_b32 s0, s1, s4
	s_delay_alu instid0(VALU_DEP_1) | instid1(SALU_CYCLE_1)
	v_cndmask_b32_e64 v2, v2, v9, s0
	s_delay_alu instid0(VALU_DEP_3) | instskip(SKIP_1) | instid1(VALU_DEP_1)
	v_cndmask_b32_e64 v9, v10, 0, s0
	v_cmp_o_f64_e64 s0, v[7:8], v[11:12]
	v_cndmask_b32_e64 v7, 0, v9, s0
	s_delay_alu instid0(VALU_DEP_4) | instskip(SKIP_1) | instid1(VALU_DEP_1)
	v_cndmask_b32_e64 v8, 0x7ff80000, v2, s0
	v_add_co_u32 v9, s0, v29, s10
	v_add_co_ci_u32_e64 v10, s0, s11, v30, s0
	global_store_b64 v[9:10], v[7:8], off
	s_or_b32 exec_lo, exec_lo, s6
	s_and_saveexec_b32 s5, vcc_lo
	s_cbranch_execz .LBB137_8
.LBB137_24:                             ;   in Loop: Header=BB137_9 Depth=1
	s_waitcnt vmcnt(0)
	v_mul_f64 v[5:6], v[5:6], s[8:9]
	v_cmp_eq_f64_e64 s0, 1.0, v[3:4]
	s_mov_b32 s68, s14
	s_mov_b32 s70, s18
	;; [unrolled: 1-line block ×3, first 2 shown]
	s_delay_alu instid0(VALU_DEP_1) | instskip(NEXT) | instid1(VALU_DEP_3)
	v_cndmask_b32_e64 v8, v6, 0x3ff00000, s0
	v_cndmask_b32_e64 v7, v5, 0, s0
	;; [unrolled: 1-line block ×3, first 2 shown]
	s_delay_alu instid0(VALU_DEP_2) | instskip(SKIP_4) | instid1(VALU_DEP_3)
	v_cmp_eq_f64_e32 vcc_lo, 0, v[7:8]
	v_cndmask_b32_e64 v9, v3, 0, vcc_lo
	v_and_b32_e32 v2, 0x7fffffff, v4
	v_cndmask_b32_e64 v4, v4, 0x3ff00000, vcc_lo
	v_cndmask_b32_e64 v3, v3, 0, vcc_lo
	;; [unrolled: 1-line block ×3, first 2 shown]
	s_delay_alu instid0(VALU_DEP_1) | instskip(SKIP_2) | instid1(VALU_DEP_3)
	v_frexp_mant_f64_e32 v[11:12], v[9:10]
	v_cmp_gt_f64_e64 s4, 1.0, v[9:10]
	v_cmp_eq_f64_e32 vcc_lo, 1.0, v[9:10]
	v_cmp_gt_f64_e64 s1, s[14:15], v[11:12]
	s_delay_alu instid0(VALU_DEP_1) | instskip(NEXT) | instid1(VALU_DEP_1)
	v_cndmask_b32_e64 v2, 0x3ff00000, 2.0, s1
	v_mul_f64 v[11:12], v[11:12], v[1:2]
	v_frexp_exp_i32_f64_e32 v2, v[9:10]
	s_delay_alu instid0(VALU_DEP_2) | instskip(SKIP_1) | instid1(VALU_DEP_3)
	v_add_f64 v[13:14], v[11:12], 1.0
	v_add_f64 v[41:42], v[11:12], -1.0
	v_subrev_co_ci_u32_e64 v2, s1, 0, v2, s1
	s_delay_alu instid0(VALU_DEP_3) | instskip(SKIP_1) | instid1(VALU_DEP_1)
	v_rcp_f64_e32 v[15:16], v[13:14]
	v_add_f64 v[43:44], v[13:14], -1.0
	v_add_f64 v[11:12], v[11:12], -v[43:44]
	s_waitcnt_depctr 0xfff
	v_fma_f64 v[17:18], -v[13:14], v[15:16], 1.0
	s_delay_alu instid0(VALU_DEP_1) | instskip(NEXT) | instid1(VALU_DEP_1)
	v_fma_f64 v[15:16], v[17:18], v[15:16], v[15:16]
	v_fma_f64 v[17:18], -v[13:14], v[15:16], 1.0
	s_delay_alu instid0(VALU_DEP_1) | instskip(NEXT) | instid1(VALU_DEP_1)
	v_fma_f64 v[15:16], v[17:18], v[15:16], v[15:16]
	v_mul_f64 v[17:18], v[41:42], v[15:16]
	s_delay_alu instid0(VALU_DEP_1) | instskip(NEXT) | instid1(VALU_DEP_1)
	v_mul_f64 v[45:46], v[13:14], v[17:18]
	v_fma_f64 v[13:14], v[17:18], v[13:14], -v[45:46]
	s_delay_alu instid0(VALU_DEP_1) | instskip(NEXT) | instid1(VALU_DEP_1)
	v_fma_f64 v[11:12], v[17:18], v[11:12], v[13:14]
	v_add_f64 v[13:14], v[45:46], v[11:12]
	s_delay_alu instid0(VALU_DEP_1) | instskip(SKIP_1) | instid1(VALU_DEP_2)
	v_add_f64 v[43:44], v[41:42], -v[13:14]
	v_add_f64 v[45:46], v[13:14], -v[45:46]
	;; [unrolled: 1-line block ×3, first 2 shown]
	s_delay_alu instid0(VALU_DEP_2) | instskip(NEXT) | instid1(VALU_DEP_2)
	v_add_f64 v[11:12], v[45:46], -v[11:12]
	v_add_f64 v[13:14], v[41:42], -v[13:14]
	s_delay_alu instid0(VALU_DEP_1) | instskip(NEXT) | instid1(VALU_DEP_1)
	v_add_f64 v[11:12], v[11:12], v[13:14]
	v_add_f64 v[11:12], v[43:44], v[11:12]
	s_delay_alu instid0(VALU_DEP_1) | instskip(NEXT) | instid1(VALU_DEP_1)
	v_mul_f64 v[11:12], v[15:16], v[11:12]
	v_add_f64 v[13:14], v[17:18], v[11:12]
	s_delay_alu instid0(VALU_DEP_1) | instskip(SKIP_1) | instid1(VALU_DEP_2)
	v_add_f64 v[15:16], v[13:14], -v[17:18]
	v_mul_f64 v[17:18], v[13:14], v[13:14]
	v_add_f64 v[11:12], v[11:12], -v[15:16]
	s_delay_alu instid0(VALU_DEP_2) | instskip(NEXT) | instid1(VALU_DEP_2)
	v_fma_f64 v[15:16], v[13:14], v[13:14], -v[17:18]
	v_add_f64 v[41:42], v[11:12], v[11:12]
	s_delay_alu instid0(VALU_DEP_1) | instskip(NEXT) | instid1(VALU_DEP_1)
	v_fma_f64 v[15:16], v[13:14], v[41:42], v[15:16]
	v_add_f64 v[41:42], v[17:18], v[15:16]
	s_delay_alu instid0(VALU_DEP_1) | instskip(SKIP_2) | instid1(VALU_DEP_3)
	v_fma_f64 v[43:44], v[41:42], s[24:25], s[22:23]
	v_add_f64 v[17:18], v[41:42], -v[17:18]
	v_mul_f64 v[49:50], v[13:14], v[41:42]
	v_fma_f64 v[43:44], v[41:42], v[43:44], s[26:27]
	s_delay_alu instid0(VALU_DEP_3) | instskip(NEXT) | instid1(VALU_DEP_2)
	v_add_f64 v[15:16], v[15:16], -v[17:18]
	v_fma_f64 v[43:44], v[41:42], v[43:44], s[28:29]
	s_delay_alu instid0(VALU_DEP_1) | instskip(NEXT) | instid1(VALU_DEP_1)
	v_fma_f64 v[43:44], v[41:42], v[43:44], s[30:31]
	v_fma_f64 v[43:44], v[41:42], v[43:44], s[34:35]
	s_delay_alu instid0(VALU_DEP_1) | instskip(NEXT) | instid1(VALU_DEP_1)
	v_fma_f64 v[43:44], v[41:42], v[43:44], s[36:37]
	;; [unrolled: 3-line block ×3, first 2 shown]
	v_mul_f64 v[45:46], v[41:42], v[43:44]
	s_delay_alu instid0(VALU_DEP_1) | instskip(NEXT) | instid1(VALU_DEP_1)
	v_fma_f64 v[17:18], v[41:42], v[43:44], -v[45:46]
	v_fma_f64 v[17:18], v[15:16], v[43:44], v[17:18]
	s_delay_alu instid0(VALU_DEP_1) | instskip(NEXT) | instid1(VALU_DEP_1)
	v_add_f64 v[43:44], v[45:46], v[17:18]
	v_add_f64 v[47:48], v[43:44], s[14:15]
	v_add_f64 v[45:46], v[43:44], -v[45:46]
	s_delay_alu instid0(VALU_DEP_2) | instskip(NEXT) | instid1(VALU_DEP_2)
	v_add_f64 v[51:52], v[47:48], s[68:69]
	v_add_f64 v[17:18], v[17:18], -v[45:46]
	v_fma_f64 v[45:46], v[41:42], v[13:14], -v[49:50]
	s_delay_alu instid0(VALU_DEP_3) | instskip(NEXT) | instid1(VALU_DEP_3)
	v_add_f64 v[43:44], v[43:44], -v[51:52]
	v_add_f64 v[17:18], v[17:18], s[42:43]
	s_delay_alu instid0(VALU_DEP_3) | instskip(SKIP_1) | instid1(VALU_DEP_3)
	v_fma_f64 v[41:42], v[41:42], v[11:12], v[45:46]
	v_ldexp_f64 v[11:12], v[11:12], 1
	v_add_f64 v[17:18], v[17:18], v[43:44]
	s_delay_alu instid0(VALU_DEP_3) | instskip(SKIP_1) | instid1(VALU_DEP_3)
	v_fma_f64 v[15:16], v[15:16], v[13:14], v[41:42]
	v_ldexp_f64 v[13:14], v[13:14], 1
	v_add_f64 v[41:42], v[47:48], v[17:18]
	s_delay_alu instid0(VALU_DEP_3) | instskip(NEXT) | instid1(VALU_DEP_2)
	v_add_f64 v[43:44], v[49:50], v[15:16]
	v_add_f64 v[45:46], v[47:48], -v[41:42]
	s_delay_alu instid0(VALU_DEP_2) | instskip(SKIP_1) | instid1(VALU_DEP_3)
	v_mul_f64 v[47:48], v[43:44], v[41:42]
	v_add_f64 v[49:50], v[43:44], -v[49:50]
	v_add_f64 v[17:18], v[17:18], v[45:46]
	s_delay_alu instid0(VALU_DEP_3) | instskip(NEXT) | instid1(VALU_DEP_3)
	v_fma_f64 v[45:46], v[43:44], v[41:42], -v[47:48]
	v_add_f64 v[15:16], v[15:16], -v[49:50]
	s_delay_alu instid0(VALU_DEP_2) | instskip(NEXT) | instid1(VALU_DEP_1)
	v_fma_f64 v[17:18], v[43:44], v[17:18], v[45:46]
	v_fma_f64 v[15:16], v[15:16], v[41:42], v[17:18]
	v_cvt_f64_i32_e32 v[41:42], v2
	s_delay_alu instid0(VALU_DEP_2) | instskip(NEXT) | instid1(VALU_DEP_1)
	v_add_f64 v[17:18], v[47:48], v[15:16]
	v_add_f64 v[43:44], v[13:14], v[17:18]
	v_add_f64 v[45:46], v[17:18], -v[47:48]
	s_delay_alu instid0(VALU_DEP_4) | instskip(NEXT) | instid1(VALU_DEP_3)
	v_mul_f64 v[47:48], v[41:42], s[18:19]
	v_add_f64 v[13:14], v[43:44], -v[13:14]
	s_delay_alu instid0(VALU_DEP_3) | instskip(NEXT) | instid1(VALU_DEP_3)
	v_add_f64 v[15:16], v[15:16], -v[45:46]
	v_fma_f64 v[45:46], v[41:42], s[18:19], -v[47:48]
	s_delay_alu instid0(VALU_DEP_3) | instskip(NEXT) | instid1(VALU_DEP_3)
	v_add_f64 v[13:14], v[17:18], -v[13:14]
	v_add_f64 v[11:12], v[11:12], v[15:16]
	s_delay_alu instid0(VALU_DEP_3) | instskip(NEXT) | instid1(VALU_DEP_2)
	v_fma_f64 v[15:16], v[41:42], s[20:21], v[45:46]
	v_add_f64 v[11:12], v[11:12], v[13:14]
	s_delay_alu instid0(VALU_DEP_2) | instskip(NEXT) | instid1(VALU_DEP_2)
	v_add_f64 v[13:14], v[47:48], v[15:16]
	v_add_f64 v[17:18], v[43:44], v[11:12]
	s_delay_alu instid0(VALU_DEP_2) | instskip(NEXT) | instid1(VALU_DEP_2)
	v_add_f64 v[47:48], v[13:14], -v[47:48]
	v_add_f64 v[41:42], v[13:14], v[17:18]
	v_add_f64 v[43:44], v[17:18], -v[43:44]
	s_delay_alu instid0(VALU_DEP_3) | instskip(NEXT) | instid1(VALU_DEP_3)
	v_add_f64 v[15:16], v[15:16], -v[47:48]
	v_add_f64 v[45:46], v[41:42], -v[13:14]
	s_delay_alu instid0(VALU_DEP_3) | instskip(NEXT) | instid1(VALU_DEP_2)
	v_add_f64 v[11:12], v[11:12], -v[43:44]
	v_add_f64 v[49:50], v[41:42], -v[45:46]
	;; [unrolled: 1-line block ×3, first 2 shown]
	s_delay_alu instid0(VALU_DEP_3) | instskip(NEXT) | instid1(VALU_DEP_3)
	v_add_f64 v[43:44], v[15:16], v[11:12]
	v_add_f64 v[13:14], v[13:14], -v[49:50]
	s_delay_alu instid0(VALU_DEP_1) | instskip(NEXT) | instid1(VALU_DEP_3)
	v_add_f64 v[13:14], v[17:18], v[13:14]
	v_add_f64 v[17:18], v[43:44], -v[15:16]
	s_delay_alu instid0(VALU_DEP_2) | instskip(NEXT) | instid1(VALU_DEP_2)
	v_add_f64 v[13:14], v[43:44], v[13:14]
	v_add_f64 v[43:44], v[43:44], -v[17:18]
	v_add_f64 v[11:12], v[11:12], -v[17:18]
	s_delay_alu instid0(VALU_DEP_3) | instskip(NEXT) | instid1(VALU_DEP_3)
	v_add_f64 v[45:46], v[41:42], v[13:14]
	v_add_f64 v[15:16], v[15:16], -v[43:44]
	s_delay_alu instid0(VALU_DEP_2) | instskip(NEXT) | instid1(VALU_DEP_2)
	v_add_f64 v[17:18], v[45:46], -v[41:42]
	v_add_f64 v[11:12], v[11:12], v[15:16]
	s_delay_alu instid0(VALU_DEP_2) | instskip(NEXT) | instid1(VALU_DEP_1)
	v_add_f64 v[13:14], v[13:14], -v[17:18]
	v_add_f64 v[11:12], v[11:12], v[13:14]
	s_delay_alu instid0(VALU_DEP_1) | instskip(NEXT) | instid1(VALU_DEP_1)
	v_add_f64 v[13:14], v[45:46], v[11:12]
	v_add_f64 v[15:16], v[13:14], -v[45:46]
	v_mul_f64 v[17:18], v[7:8], v[13:14]
	s_delay_alu instid0(VALU_DEP_2) | instskip(NEXT) | instid1(VALU_DEP_2)
	v_add_f64 v[11:12], v[11:12], -v[15:16]
	v_fma_f64 v[13:14], v[7:8], v[13:14], -v[17:18]
	v_cmp_class_f64_e64 s1, v[17:18], 0x204
	s_delay_alu instid0(VALU_DEP_2) | instskip(NEXT) | instid1(VALU_DEP_1)
	v_fma_f64 v[11:12], v[7:8], v[11:12], v[13:14]
	v_add_f64 v[13:14], v[17:18], v[11:12]
	s_delay_alu instid0(VALU_DEP_1) | instskip(NEXT) | instid1(VALU_DEP_2)
	v_cndmask_b32_e64 v16, v14, v18, s1
	v_cndmask_b32_e64 v15, v13, v17, s1
	v_add_f64 v[13:14], v[13:14], -v[17:18]
	s_delay_alu instid0(VALU_DEP_2)
	v_mul_f64 v[41:42], v[15:16], s[44:45]
	v_cmp_lt_f64_e64 s1, 0x40900000, v[15:16]
	v_cmp_neq_f64_e64 s2, 0x7ff00000, |v[15:16]|
	v_cmp_ngt_f64_e64 s3, 0xc090cc00, v[15:16]
	v_add_f64 v[11:12], v[11:12], -v[13:14]
	v_mul_f64 v[13:14], v[7:8], 0.5
	v_rndne_f64_e32 v[41:42], v[41:42]
	s_delay_alu instid0(VALU_DEP_3) | instskip(NEXT) | instid1(VALU_DEP_4)
	v_cndmask_b32_e64 v12, 0, v12, s2
	v_cndmask_b32_e64 v11, 0, v11, s2
	s_delay_alu instid0(VALU_DEP_3) | instskip(SKIP_1) | instid1(VALU_DEP_2)
	v_fma_f64 v[43:44], v[41:42], s[70:71], v[15:16]
	v_cvt_i32_f64_e32 v2, v[41:42]
	v_fma_f64 v[43:44], v[41:42], s[72:73], v[43:44]
	s_delay_alu instid0(VALU_DEP_1) | instskip(NEXT) | instid1(VALU_DEP_1)
	v_fma_f64 v[45:46], v[43:44], s[48:49], s[46:47]
	v_fma_f64 v[45:46], v[43:44], v[45:46], s[50:51]
	s_delay_alu instid0(VALU_DEP_1) | instskip(NEXT) | instid1(VALU_DEP_1)
	v_fma_f64 v[45:46], v[43:44], v[45:46], s[52:53]
	;; [unrolled: 3-line block ×5, first 2 shown]
	v_fma_f64 v[45:46], v[43:44], v[45:46], 1.0
	s_delay_alu instid0(VALU_DEP_1) | instskip(NEXT) | instid1(VALU_DEP_1)
	v_fma_f64 v[41:42], v[43:44], v[45:46], 1.0
	v_ldexp_f64 v[17:18], v[41:42], v2
	s_delay_alu instid0(VALU_DEP_1) | instskip(SKIP_1) | instid1(VALU_DEP_3)
	v_cndmask_b32_e64 v41, v18, 0x7ff00000, s1
	v_and_b32_e32 v18, 0x7fffffff, v18
	v_cndmask_b32_e64 v2, v17, 0, s1
	s_delay_alu instid0(VALU_DEP_3) | instskip(NEXT) | instid1(VALU_DEP_3)
	v_cndmask_b32_e64 v16, 0, v41, s3
	v_cmp_eq_f64_e64 s2, 0x7ff00000, v[17:18]
	v_trunc_f64_e32 v[17:18], v[13:14]
	v_trunc_f64_e32 v[41:42], v[7:8]
	v_cndmask_b32_e64 v15, 0, v2, s3
	v_and_b32_e32 v2, 0x7fffffff, v6
	s_delay_alu instid0(VALU_DEP_2) | instskip(NEXT) | instid1(VALU_DEP_2)
	v_fma_f64 v[11:12], v[15:16], v[11:12], v[15:16]
	v_cndmask_b32_e64 v6, v2, 0x3ff00000, s0
	s_delay_alu instid0(VALU_DEP_1)
	v_cmp_neq_f64_e64 s0, v[7:8], v[5:6]
	s_or_b32 s2, s1, s2
	v_cmp_neq_f64_e64 s1, v[17:18], v[13:14]
	s_and_b32 s2, s3, s2
	v_cmp_eq_f64_e64 s3, v[41:42], v[7:8]
	v_cndmask_b32_e64 v2, v12, v16, s2
	v_cndmask_b32_e64 v11, v11, v15, s2
	v_cmp_gt_f64_e64 s2, 0, v[7:8]
	s_xor_b32 s0, s0, s4
	s_delay_alu instid0(SALU_CYCLE_1) | instskip(NEXT) | instid1(VALU_DEP_1)
	v_cndmask_b32_e64 v14, v6, 0, s0
	v_cndmask_b32_e32 v14, v14, v10, vcc_lo
	s_and_b32 s1, s3, s1
	v_cndmask_b32_e64 v12, 0, v11, s3
	v_cndmask_b32_e64 v13, 0x3ff00000, v4, s1
	s_delay_alu instid0(VALU_DEP_1) | instskip(SKIP_2) | instid1(VALU_DEP_3)
	v_bfi_b32 v2, 0x7fffffff, v2, v13
	v_cndmask_b32_e64 v13, v5, 0, s0
	v_cmp_gt_f64_e64 s0, 0, v[3:4]
	v_cndmask_b32_e64 v15, 0x7ff80000, v2, s3
	v_cmp_eq_f64_e64 s3, 0, v[3:4]
	s_delay_alu instid0(VALU_DEP_4)
	v_cndmask_b32_e32 v13, v13, v9, vcc_lo
	v_cmp_eq_f64_e32 vcc_lo, 0x7ff00000, v[5:6]
	v_cndmask_b32_e64 v6, 0, v4, s1
	v_cndmask_b32_e64 v2, v2, v15, s0
	;; [unrolled: 1-line block ×3, first 2 shown]
	v_cmp_eq_f64_e64 s0, 0x7ff00000, v[9:10]
	s_xor_b32 s2, s2, s3
	s_delay_alu instid0(SALU_CYCLE_1) | instskip(SKIP_1) | instid1(VALU_DEP_2)
	v_cndmask_b32_e64 v5, 0x7ff00000, 0, s2
	v_cndmask_b32_e32 v2, v2, v14, vcc_lo
	v_bfi_b32 v5, 0x7fffffff, v5, v6
	v_cndmask_b32_e32 v6, v11, v13, vcc_lo
	s_or_b32 vcc_lo, s0, s3
	s_delay_alu instid0(VALU_DEP_2) | instskip(NEXT) | instid1(VALU_DEP_2)
	v_cndmask_b32_e32 v5, v2, v5, vcc_lo
	v_cndmask_b32_e64 v2, v6, 0, vcc_lo
	v_cmp_o_f64_e32 vcc_lo, v[3:4], v[7:8]
	s_delay_alu instid0(VALU_DEP_2) | instskip(NEXT) | instid1(VALU_DEP_4)
	v_cndmask_b32_e32 v2, 0, v2, vcc_lo
	v_cndmask_b32_e32 v3, 0x7ff80000, v5, vcc_lo
	v_add_co_u32 v4, vcc_lo, v23, s10
	v_add_co_ci_u32_e32 v5, vcc_lo, s11, v24, vcc_lo
	global_store_b64 v[4:5], v[2:3], off
	s_branch .LBB137_8
.LBB137_25:
	s_nop 0
	s_sendmsg sendmsg(MSG_DEALLOC_VGPRS)
	s_endpgm
	.section	.rodata,"a",@progbits
	.p2align	6, 0x0
	.amdhsa_kernel _ZN2at6native12_GLOBAL__N_125multi_tensor_apply_kernelINS1_18TensorListMetadataILi2EEENS1_24BinaryOpListAlphaFunctorIdLi2ELi2ELi0EEEJNS1_13power_functorIdEEdEEEvT_T0_DpT1_
		.amdhsa_group_segment_fixed_size 0
		.amdhsa_private_segment_fixed_size 0
		.amdhsa_kernarg_size 3416
		.amdhsa_user_sgpr_count 15
		.amdhsa_user_sgpr_dispatch_ptr 0
		.amdhsa_user_sgpr_queue_ptr 0
		.amdhsa_user_sgpr_kernarg_segment_ptr 1
		.amdhsa_user_sgpr_dispatch_id 0
		.amdhsa_user_sgpr_private_segment_size 0
		.amdhsa_wavefront_size32 1
		.amdhsa_uses_dynamic_stack 0
		.amdhsa_enable_private_segment 0
		.amdhsa_system_sgpr_workgroup_id_x 1
		.amdhsa_system_sgpr_workgroup_id_y 0
		.amdhsa_system_sgpr_workgroup_id_z 0
		.amdhsa_system_sgpr_workgroup_info 0
		.amdhsa_system_vgpr_workitem_id 0
		.amdhsa_next_free_vgpr 66
		.amdhsa_next_free_sgpr 79
		.amdhsa_reserve_vcc 1
		.amdhsa_float_round_mode_32 0
		.amdhsa_float_round_mode_16_64 0
		.amdhsa_float_denorm_mode_32 3
		.amdhsa_float_denorm_mode_16_64 3
		.amdhsa_dx10_clamp 1
		.amdhsa_ieee_mode 1
		.amdhsa_fp16_overflow 0
		.amdhsa_workgroup_processor_mode 1
		.amdhsa_memory_ordered 1
		.amdhsa_forward_progress 0
		.amdhsa_shared_vgpr_count 0
		.amdhsa_exception_fp_ieee_invalid_op 0
		.amdhsa_exception_fp_denorm_src 0
		.amdhsa_exception_fp_ieee_div_zero 0
		.amdhsa_exception_fp_ieee_overflow 0
		.amdhsa_exception_fp_ieee_underflow 0
		.amdhsa_exception_fp_ieee_inexact 0
		.amdhsa_exception_int_div_zero 0
	.end_amdhsa_kernel
	.section	.text._ZN2at6native12_GLOBAL__N_125multi_tensor_apply_kernelINS1_18TensorListMetadataILi2EEENS1_24BinaryOpListAlphaFunctorIdLi2ELi2ELi0EEEJNS1_13power_functorIdEEdEEEvT_T0_DpT1_,"axG",@progbits,_ZN2at6native12_GLOBAL__N_125multi_tensor_apply_kernelINS1_18TensorListMetadataILi2EEENS1_24BinaryOpListAlphaFunctorIdLi2ELi2ELi0EEEJNS1_13power_functorIdEEdEEEvT_T0_DpT1_,comdat
.Lfunc_end137:
	.size	_ZN2at6native12_GLOBAL__N_125multi_tensor_apply_kernelINS1_18TensorListMetadataILi2EEENS1_24BinaryOpListAlphaFunctorIdLi2ELi2ELi0EEEJNS1_13power_functorIdEEdEEEvT_T0_DpT1_, .Lfunc_end137-_ZN2at6native12_GLOBAL__N_125multi_tensor_apply_kernelINS1_18TensorListMetadataILi2EEENS1_24BinaryOpListAlphaFunctorIdLi2ELi2ELi0EEEJNS1_13power_functorIdEEdEEEvT_T0_DpT1_
                                        ; -- End function
	.section	.AMDGPU.csdata,"",@progbits
; Kernel info:
; codeLenInByte = 17688
; NumSgprs: 81
; NumVgprs: 66
; ScratchSize: 0
; MemoryBound: 0
; FloatMode: 240
; IeeeMode: 1
; LDSByteSize: 0 bytes/workgroup (compile time only)
; SGPRBlocks: 10
; VGPRBlocks: 8
; NumSGPRsForWavesPerEU: 81
; NumVGPRsForWavesPerEU: 66
; Occupancy: 16
; WaveLimiterHint : 0
; COMPUTE_PGM_RSRC2:SCRATCH_EN: 0
; COMPUTE_PGM_RSRC2:USER_SGPR: 15
; COMPUTE_PGM_RSRC2:TRAP_HANDLER: 0
; COMPUTE_PGM_RSRC2:TGID_X_EN: 1
; COMPUTE_PGM_RSRC2:TGID_Y_EN: 0
; COMPUTE_PGM_RSRC2:TGID_Z_EN: 0
; COMPUTE_PGM_RSRC2:TIDIG_COMP_CNT: 0
	.section	.text._ZN2at6native12_GLOBAL__N_125multi_tensor_apply_kernelINS1_18TensorListMetadataILi2EEENS1_24BinaryOpListAlphaFunctorIfLi2ELi2ELi0EEEJNS1_13power_functorIfEEfEEEvT_T0_DpT1_,"axG",@progbits,_ZN2at6native12_GLOBAL__N_125multi_tensor_apply_kernelINS1_18TensorListMetadataILi2EEENS1_24BinaryOpListAlphaFunctorIfLi2ELi2ELi0EEEJNS1_13power_functorIfEEfEEEvT_T0_DpT1_,comdat
	.globl	_ZN2at6native12_GLOBAL__N_125multi_tensor_apply_kernelINS1_18TensorListMetadataILi2EEENS1_24BinaryOpListAlphaFunctorIfLi2ELi2ELi0EEEJNS1_13power_functorIfEEfEEEvT_T0_DpT1_ ; -- Begin function _ZN2at6native12_GLOBAL__N_125multi_tensor_apply_kernelINS1_18TensorListMetadataILi2EEENS1_24BinaryOpListAlphaFunctorIfLi2ELi2ELi0EEEJNS1_13power_functorIfEEfEEEvT_T0_DpT1_
	.p2align	8
	.type	_ZN2at6native12_GLOBAL__N_125multi_tensor_apply_kernelINS1_18TensorListMetadataILi2EEENS1_24BinaryOpListAlphaFunctorIfLi2ELi2ELi0EEEJNS1_13power_functorIfEEfEEEvT_T0_DpT1_,@function
_ZN2at6native12_GLOBAL__N_125multi_tensor_apply_kernelINS1_18TensorListMetadataILi2EEENS1_24BinaryOpListAlphaFunctorIfLi2ELi2ELi0EEEJNS1_13power_functorIfEEfEEEvT_T0_DpT1_: ; @_ZN2at6native12_GLOBAL__N_125multi_tensor_apply_kernelINS1_18TensorListMetadataILi2EEENS1_24BinaryOpListAlphaFunctorIfLi2ELi2ELi0EEEJNS1_13power_functorIfEEfEEEvT_T0_DpT1_
; %bb.0:
	v_mov_b32_e32 v1, s15
	s_add_u32 s2, s0, s15
	s_mul_hi_u32 s3, s15, 3
	s_mul_i32 s15, s15, 3
	s_addc_u32 s4, s1, 0
	global_load_u8 v1, v1, s[0:1] offset:1536
	s_add_u32 s2, s2, s15
	s_addc_u32 s3, s4, s3
	s_mov_b32 s7, 0
	s_load_b32 s2, s[2:3], 0x740
	s_mov_b32 s9, s7
	s_mov_b32 s11, s7
	s_waitcnt vmcnt(0)
	v_readfirstlane_b32 s3, v1
	s_delay_alu instid0(VALU_DEP_1)
	s_lshl_b32 s3, s3, 3
	s_clause 0x3
	s_load_b64 s[36:37], s[0:1], s3 offset:0x0
	s_load_b64 s[38:39], s[0:1], s3 offset:0x200
	s_load_b64 s[4:5], s[0:1], s3 offset:0x400
	s_load_b32 s29, s[0:1], 0xc4c
	s_waitcnt lgkmcnt(0)
	s_ashr_i32 s3, s2, 31
	s_delay_alu instid0(SALU_CYCLE_1) | instskip(NEXT) | instid1(SALU_CYCLE_1)
	s_lshl_b64 s[30:31], s[2:3], 18
	s_add_u32 s33, s36, s30
	s_addc_u32 s40, s37, s31
	s_and_b32 s6, s33, 15
	s_add_u32 s41, s38, s30
	s_addc_u32 s42, s39, s31
	s_and_b32 s8, s4, 3
	s_and_b32 s10, s41, 15
	s_or_b64 s[6:7], s[6:7], s[8:9]
	s_lshl_b64 s[2:3], s[2:3], 16
	s_or_b64 s[6:7], s[10:11], s[6:7]
	s_sub_u32 s34, s4, s2
	s_subb_u32 s35, s5, s3
	s_cmp_eq_u64 s[6:7], 0
	s_mov_b32 s2, -1
	s_cbranch_scc0 .LBB138_5
; %bb.1:
	v_dual_mov_b32 v2, 0 :: v_dual_lshlrev_b32 v1, 2, v0
	s_mov_b32 s43, exec_lo
	s_delay_alu instid0(VALU_DEP_1)
	v_cmpx_gt_i64_e64 s[34:35], v[1:2]
	s_cbranch_execz .LBB138_4
; %bb.2:
	s_load_b32 s2, s[0:1], 0xc5c
	v_lshlrev_b32_e32 v7, 4, v0
	s_mov_b32 s44, 0
	s_mov_b32 s47, 0x3e76c4e1
	s_waitcnt lgkmcnt(0)
	s_and_b32 s2, s2, 0xffff
	s_delay_alu instid0(SALU_CYCLE_1)
	v_add_lshl_u32 v1, v0, s2, 2
	s_lshl_b32 s45, s2, 2
	s_lshl_b32 s46, s2, 4
.LBB138_3:                              ; =>This Inner Loop Header: Depth=1
	v_add_co_u32 v5, s2, s41, v7
	s_delay_alu instid0(VALU_DEP_1) | instskip(SKIP_1) | instid1(VALU_DEP_1)
	v_add_co_ci_u32_e64 v6, null, s42, 0, s2
	v_add_co_u32 v3, s2, s33, v7
	v_add_co_ci_u32_e64 v4, null, s40, 0, s2
	global_load_b128 v[8:11], v[5:6], off
	global_load_b128 v[14:17], v[3:4], off
	v_cmp_le_i64_e32 vcc_lo, s[34:35], v[1:2]
	v_cmp_lt_u64_e64 s2, 0xffff, v[1:2]
	v_add_co_u32 v1, s3, v1, s45
	s_delay_alu instid0(VALU_DEP_1) | instskip(NEXT) | instid1(VALU_DEP_3)
	v_add_co_ci_u32_e64 v2, s3, 0, v2, s3
	s_or_b32 s48, vcc_lo, s2
	s_waitcnt vmcnt(1)
	v_mul_f32_e32 v6, s29, v8
	v_dual_mul_f32 v8, s29, v9 :: v_dual_mul_f32 v13, s29, v11
	s_waitcnt vmcnt(0)
	v_cmp_eq_f32_e32 vcc_lo, 1.0, v15
	v_mul_f32_e32 v9, s29, v10
	v_cmp_eq_f32_e64 s2, 1.0, v14
	v_cmp_eq_f32_e64 s3, 1.0, v16
	;; [unrolled: 1-line block ×3, first 2 shown]
	v_cndmask_b32_e64 v11, |v8|, 1.0, vcc_lo
	s_delay_alu instid0(VALU_DEP_4)
	v_cndmask_b32_e64 v5, v6, 1.0, s2
	v_cndmask_b32_e64 v10, |v6|, 1.0, s2
	v_cndmask_b32_e64 v6, v8, 1.0, vcc_lo
	v_cndmask_b32_e64 v8, v9, 1.0, s3
	v_cndmask_b32_e64 v12, |v9|, 1.0, s3
	v_cndmask_b32_e64 v9, v13, 1.0, s4
	v_cmp_eq_f32_e32 vcc_lo, 0, v5
	v_cmp_eq_f32_e64 s2, 0, v6
	v_trunc_f32_e32 v19, v5
	v_dual_mul_f32 v20, 0.5, v5 :: v_dual_mul_f32 v23, 0.5, v6
	v_cmp_eq_f32_e64 s5, 0, v9
	s_delay_alu instid0(VALU_DEP_4)
	v_cndmask_b32_e64 v21, |v15|, 1.0, s2
	v_cmp_eq_f32_e64 s3, 0, v8
	v_cndmask_b32_e64 v18, |v14|, 1.0, vcc_lo
	v_cndmask_b32_e64 v13, |v13|, 1.0, s4
	v_cndmask_b32_e64 v38, |v17|, 1.0, s5
	v_frexp_mant_f32_e32 v39, v21
	v_cndmask_b32_e64 v24, |v16|, 1.0, s3
	v_cmp_eq_f32_e64 s4, v19, v5
	v_trunc_f32_e32 v19, v20
	v_frexp_mant_f32_e32 v41, v38
	v_cmp_gt_f32_e64 s23, 0x3f2aaaab, v39
	v_trunc_f32_e32 v25, v8
	v_cvt_f64_f32_e32 v[30:31], v18
	v_cvt_f64_f32_e32 v[32:33], v21
	v_cmp_gt_f32_e64 s27, 0x3f2aaaab, v41
	v_cvt_f64_f32_e32 v[36:37], v38
	v_trunc_f32_e32 v22, v6
	v_trunc_f32_e32 v27, v9
	v_frexp_mant_f32_e32 v29, v18
	v_cndmask_b32_e64 v43, 1.0, 2.0, s27
	v_mul_f32_e32 v26, 0.5, v8
	v_frexp_mant_f32_e32 v40, v24
	v_cmp_neq_f32_e64 s22, v19, v20
	v_cndmask_b32_e64 v20, 1.0, 2.0, s23
	v_dual_mul_f32 v41, v41, v43 :: v_dual_mul_f32 v28, 0.5, v9
	v_cmp_neq_f32_e64 s7, v5, v10
	v_cmp_neq_f32_e64 s11, v8, v12
	s_delay_alu instid0(VALU_DEP_4)
	v_mul_f32_e32 v39, v39, v20
	v_cmp_gt_f32_e64 s17, 1.0, v18
	v_cmp_gt_f32_e64 s19, 1.0, v24
	v_cmp_neq_f32_e64 s10, v6, v11
	v_cmp_neq_f32_e64 s12, v9, v13
	v_cndmask_b32_e64 v14, v14, 1.0, vcc_lo
	v_cmp_gt_f32_e64 s18, 1.0, v21
	v_cndmask_b32_e64 v16, v16, 1.0, s3
	v_cmp_eq_f32_e64 s8, v25, v8
	v_trunc_f32_e32 v25, v26
	v_cmp_gt_f32_e64 s20, 1.0, v38
	v_cndmask_b32_e64 v15, v15, 1.0, s2
	v_cmp_eq_f32_e64 s6, v22, v6
	v_trunc_f32_e32 v22, v23
	v_cndmask_b32_e64 v17, v17, 1.0, s5
	v_cmp_eq_f32_e64 s9, v27, v9
	v_trunc_f32_e32 v27, v28
	v_cmp_gt_f32_e64 s21, 0x3f2aaaab, v29
	v_cmp_gt_f32_e64 s25, 0x3f2aaaab, v40
	s_xor_b32 s7, s7, s17
	s_xor_b32 s11, s11, s19
	v_cmp_gt_f32_e64 s13, 0, v5
	v_cmp_gt_f32_e64 s15, 0, v8
	v_cndmask_b32_e64 v19, v10, 0, s7
	v_cmp_eq_f32_e64 s7, 0, v14
	s_xor_b32 s10, s10, s18
	v_cmp_neq_f32_e64 s26, v25, v26
	v_cndmask_b32_e64 v25, v12, 0, s11
	v_cmp_eq_f32_e64 s11, 0, v16
	s_xor_b32 s12, s12, s20
	v_cvt_f64_f32_e32 v[34:35], v24
	v_cmp_gt_f32_e64 s14, 0, v6
	v_cmp_gt_f32_e64 s16, 0, v9
	v_cndmask_b32_e64 v42, 1.0, 2.0, s21
	v_cmp_neq_f32_e64 s24, v22, v23
	v_cndmask_b32_e64 v22, v11, 0, s10
	v_cmp_eq_f32_e64 s10, 0, v15
	v_cndmask_b32_e64 v23, 1.0, 2.0, s25
	v_cmp_neq_f32_e64 s28, v27, v28
	v_cndmask_b32_e64 v44, v13, 0, s12
	v_cmp_eq_f32_e64 s12, 0, v17
	v_cmp_eq_f32_e64 s17, 1.0, v18
	v_cmp_eq_f32_e64 s18, 1.0, v21
	;; [unrolled: 1-line block ×4, first 2 shown]
	v_dual_add_f32 v48, -1.0, v39 :: v_dual_add_f32 v53, 1.0, v41
	s_xor_b32 s13, s13, s7
	s_xor_b32 s15, s15, s11
	v_dual_mul_f32 v42, v29, v42 :: v_dual_add_f32 v49, 1.0, v39
	v_cndmask_b32_e64 v45, 0x7f800000, 0, s13
	s_and_b32 s13, s6, s24
	s_xor_b32 s14, s14, s10
	s_delay_alu instid0(VALU_DEP_2)
	v_dual_mul_f32 v40, v40, v23 :: v_dual_add_f32 v47, 1.0, v42
	v_cndmask_b32_e64 v23, 0x7f800000, 0, s15
	s_and_b32 s15, s9, s28
	s_xor_b32 s16, s16, s12
	v_cmp_eq_f32_e32 vcc_lo, 0x7f800000, v18
	v_cmp_eq_f32_e64 s2, 0x7f800000, v21
	v_cmp_eq_f32_e64 s5, 0x7f800000, v38
	v_cndmask_b32_e64 v18, v19, v18, s17
	v_cndmask_b32_e64 v19, v22, v21, s18
	;; [unrolled: 1-line block ×8, first 2 shown]
	v_rcp_f32_e32 v56, v53
	s_and_b32 s22, s4, s22
	v_cmp_eq_f32_e64 s3, 0x7f800000, v24
	v_cndmask_b32_e64 v24, 0, v14, s22
	v_dual_add_f32 v50, -1.0, v40 :: v_dual_add_f32 v57, -1.0, v53
	v_bfi_b32 v25, 0x7fffffff, v22, v25
	v_bfi_b32 v22, 0x7fffffff, v38, v44
	v_add_f32_e32 v44, -1.0, v49
	v_add_f32_e32 v52, -1.0, v41
	s_and_b32 s14, s8, s26
	v_bfi_b32 v24, 0x7fffffff, v45, v24
	v_cndmask_b32_e64 v43, 0, v16, s14
	v_dual_sub_f32 v39, v39, v44 :: v_dual_add_f32 v38, -1.0, v47
	v_sub_f32_e32 v41, v41, v57
	v_rcp_f32_e32 v45, v49
	v_dual_mul_f32 v57, v52, v56 :: v_dual_add_f32 v46, -1.0, v42
	v_add_f32_e32 v51, 1.0, v40
	v_bfi_b32 v23, 0x7fffffff, v23, v43
	v_rcp_f32_e32 v43, v47
	s_delay_alu instid0(VALU_DEP_3) | instskip(SKIP_2) | instid1(TRANS32_DEP_2)
	v_dual_sub_f32 v38, v42, v38 :: v_dual_mul_f32 v61, v53, v57
	v_frexp_exp_i32_f64_e32 v30, v[30:31]
	v_frexp_exp_i32_f64_e32 v31, v[32:33]
	v_mul_f32_e32 v44, v48, v45
	v_add_f32_e32 v54, -1.0, v51
	v_frexp_exp_i32_f64_e32 v33, v[36:37]
	v_fma_f32 v37, v57, v53, -v61
	v_rcp_f32_e32 v55, v51
	s_delay_alu instid0(VALU_DEP_3) | instskip(SKIP_1) | instid1(VALU_DEP_3)
	v_dual_mul_f32 v59, v49, v44 :: v_dual_sub_f32 v40, v40, v54
	v_frexp_exp_i32_f64_e32 v32, v[34:35]
	v_dual_fmac_f32 v37, v57, v41 :: v_dual_mul_f32 v42, v46, v43
	s_delay_alu instid0(VALU_DEP_3) | instskip(SKIP_2) | instid1(VALU_DEP_4)
	v_fma_f32 v35, v44, v49, -v59
	v_cndmask_b32_e64 v27, 1.0, v15, s13
	v_cndmask_b32_e64 v28, 1.0, v16, s14
	v_dual_add_f32 v41, v61, v37 :: v_dual_mul_f32 v58, v47, v42
	s_delay_alu instid0(VALU_DEP_4) | instskip(NEXT) | instid1(TRANS32_DEP_1)
	v_fmac_f32_e32 v35, v44, v39
	v_mul_f32_e32 v54, v50, v55
	v_cndmask_b32_e64 v29, 1.0, v17, s15
	v_cndmask_b32_e64 v26, 1.0, v14, s22
	v_fma_f32 v34, v42, v47, -v58
	v_add_f32_e32 v39, v59, v35
	v_mul_f32_e32 v60, v51, v54
	s_or_b32 s2, s2, s10
	s_or_b32 s3, s3, s11
	s_delay_alu instid0(VALU_DEP_2) | instskip(NEXT) | instid1(VALU_DEP_2)
	v_dual_fmac_f32 v34, v42, v38 :: v_dual_sub_f32 v53, v48, v39
	v_fma_f32 v36, v54, v51, -v60
	v_sub_f32_e32 v51, v39, v59
	s_or_b32 vcc_lo, vcc_lo, s7
	s_delay_alu instid0(VALU_DEP_3) | instskip(NEXT) | instid1(VALU_DEP_2)
	v_add_f32_e32 v38, v58, v34
	v_dual_fmac_f32 v36, v54, v40 :: v_dual_sub_f32 v35, v51, v35
	s_delay_alu instid0(VALU_DEP_2) | instskip(SKIP_3) | instid1(VALU_DEP_4)
	v_sub_f32_e32 v47, v38, v58
	v_sub_f32_e32 v49, v46, v38
	v_subrev_co_ci_u32_e64 v30, s13, 0, v30, s21
	v_subrev_co_ci_u32_e64 v31, s13, 0, v31, s23
	v_dual_sub_f32 v34, v47, v34 :: v_dual_sub_f32 v47, v48, v53
	v_add_f32_e32 v40, v60, v36
	v_sub_f32_e32 v46, v46, v49
	v_subrev_co_ci_u32_e64 v33, s13, 0, v33, s27
	s_delay_alu instid0(VALU_DEP_3) | instskip(SKIP_2) | instid1(VALU_DEP_3)
	v_dual_sub_f32 v39, v47, v39 :: v_dual_sub_f32 v58, v40, v60
	v_dual_sub_f32 v59, v50, v40 :: v_dual_sub_f32 v60, v41, v61
	v_sub_f32_e32 v61, v52, v41
	v_dual_add_f32 v35, v35, v39 :: v_dual_sub_f32 v36, v58, v36
	v_subrev_co_ci_u32_e64 v32, s13, 0, v32, s25
	s_delay_alu instid0(VALU_DEP_4) | instskip(NEXT) | instid1(VALU_DEP_3)
	v_dual_sub_f32 v37, v60, v37 :: v_dual_sub_f32 v48, v50, v59
	v_dual_sub_f32 v50, v52, v61 :: v_dual_add_f32 v35, v53, v35
	v_cvt_f32_i32_e32 v31, v31
	v_cvt_f32_i32_e32 v30, v30
	;; [unrolled: 1-line block ×3, first 2 shown]
	s_delay_alu instid0(VALU_DEP_4) | instskip(SKIP_3) | instid1(VALU_DEP_4)
	v_sub_f32_e32 v41, v50, v41
	v_mul_f32_e32 v35, v45, v35
	v_cvt_f32_i32_e32 v33, v33
	v_mul_f32_e32 v45, 0x3f317218, v31
	v_dual_add_f32 v37, v37, v41 :: v_dual_sub_f32 v38, v46, v38
	v_sub_f32_e32 v40, v48, v40
	v_add_f32_e32 v39, v44, v35
	v_mul_f32_e32 v47, 0x3f317218, v33
	s_delay_alu instid0(VALU_DEP_4) | instskip(NEXT) | instid1(VALU_DEP_4)
	v_dual_add_f32 v37, v61, v37 :: v_dual_add_f32 v34, v34, v38
	v_add_f32_e32 v36, v36, v40
	s_delay_alu instid0(VALU_DEP_4) | instskip(NEXT) | instid1(VALU_DEP_4)
	v_ldexp_f32 v51, v39, 1
	v_fma_f32 v61, 0x3f317218, v33, -v47
	s_delay_alu instid0(VALU_DEP_4) | instskip(NEXT) | instid1(VALU_DEP_4)
	v_dual_mul_f32 v37, v56, v37 :: v_dual_add_f32 v34, v49, v34
	v_add_f32_e32 v36, v59, v36
	v_fma_f32 v59, 0x3f317218, v31, -v45
	s_delay_alu instid0(VALU_DEP_3) | instskip(NEXT) | instid1(VALU_DEP_4)
	v_dual_sub_f32 v44, v39, v44 :: v_dual_add_f32 v41, v57, v37
	v_mul_f32_e32 v34, v43, v34
	s_delay_alu instid0(VALU_DEP_4) | instskip(SKIP_1) | instid1(VALU_DEP_3)
	v_dual_mul_f32 v36, v55, v36 :: v_dual_mul_f32 v43, 0x3f317218, v30
	v_dual_mul_f32 v50, v39, v39 :: v_dual_fmac_f32 v61, 0xb102e308, v33
	v_add_f32_e32 v38, v42, v34
	s_delay_alu instid0(VALU_DEP_3) | instskip(SKIP_1) | instid1(VALU_DEP_3)
	v_dual_add_f32 v40, v54, v36 :: v_dual_sub_f32 v55, v41, v57
	v_mul_f32_e32 v46, 0x3f317218, v32
	v_dual_fmac_f32 v59, 0xb102e308, v31 :: v_dual_mul_f32 v48, v38, v38
	v_sub_f32_e32 v35, v35, v44
	s_delay_alu instid0(VALU_DEP_4) | instskip(NEXT) | instid1(VALU_DEP_4)
	v_sub_f32_e32 v37, v37, v55
	v_fma_f32 v60, 0x3f317218, v32, -v46
	v_dual_sub_f32 v42, v38, v42 :: v_dual_mul_f32 v53, v40, v40
	v_fma_f32 v44, v39, v39, -v50
	v_dual_sub_f32 v52, v40, v54 :: v_dual_add_f32 v67, v45, v59
	s_delay_alu instid0(VALU_DEP_4) | instskip(SKIP_4) | instid1(VALU_DEP_4)
	v_fmac_f32_e32 v60, 0xb102e308, v32
	v_add_f32_e32 v32, v35, v35
	v_dual_sub_f32 v34, v34, v42 :: v_dual_add_f32 v69, v47, v61
	v_fma_f32 v58, 0x3f317218, v30, -v43
	v_sub_f32_e32 v36, v36, v52
	v_fmac_f32_e32 v44, v39, v32
	s_delay_alu instid0(VALU_DEP_4) | instskip(SKIP_2) | instid1(VALU_DEP_4)
	v_dual_sub_f32 v32, v67, v45 :: v_dual_sub_f32 v45, v69, v47
	v_fma_f32 v42, v38, v38, -v48
	v_fma_f32 v52, v40, v40, -v53
	v_dual_add_f32 v47, v50, v44 :: v_dual_add_f32 v64, v37, v37
	s_delay_alu instid0(VALU_DEP_4) | instskip(NEXT) | instid1(VALU_DEP_2)
	v_dual_sub_f32 v45, v61, v45 :: v_dual_add_f32 v68, v46, v60
	v_dual_mul_f32 v56, v41, v41 :: v_dual_mul_f32 v61, v39, v47
	v_fmac_f32_e32 v58, 0xb102e308, v30
	v_add_f32_e32 v30, v34, v34
	v_sub_f32_e32 v32, v59, v32
	v_ldexp_f32 v65, v37, 1
	v_ldexp_f32 v57, v41, 1
	v_add_f32_e32 v66, v43, v58
	v_fmac_f32_e32 v42, v38, v30
	v_ldexp_f32 v31, v34, 1
	v_ldexp_f32 v49, v38, 1
	;; [unrolled: 1-line block ×3, first 2 shown]
	v_dual_sub_f32 v30, v66, v43 :: v_dual_sub_f32 v43, v68, v46
	v_fma_f32 v55, v41, v41, -v56
	v_ldexp_f32 v63, v36, 1
	v_ldexp_f32 v54, v40, 1
	s_delay_alu instid0(VALU_DEP_4) | instskip(NEXT) | instid1(VALU_DEP_4)
	v_sub_f32_e32 v43, v60, v43
	v_dual_fmac_f32 v55, v41, v64 :: v_dual_fmaak_f32 v60, s47, v47, 0x3e91f4c4
	s_delay_alu instid0(VALU_DEP_1) | instskip(NEXT) | instid1(VALU_DEP_1)
	v_add_f32_e32 v64, v56, v55
	v_fmaak_f32 v72, s47, v64, 0x3e91f4c4
	v_sub_f32_e32 v56, v64, v56
	v_dual_mul_f32 v73, v41, v64 :: v_dual_add_f32 v46, v48, v42
	v_add_f32_e32 v62, v36, v36
	s_delay_alu instid0(VALU_DEP_4) | instskip(NEXT) | instid1(VALU_DEP_4)
	v_fmaak_f32 v72, v64, v72, 0x3ecccdef
	v_sub_f32_e32 v55, v55, v56
	s_delay_alu instid0(VALU_DEP_4)
	v_fma_f32 v56, v64, v41, -v73
	v_mul_f32_e32 v59, v38, v46
	v_fmac_f32_e32 v52, v40, v62
	v_sub_f32_e32 v30, v58, v30
	v_fmaak_f32 v58, s47, v46, 0x3e91f4c4
	v_fmac_f32_e32 v56, v64, v37
	v_mul_f32_e32 v37, v64, v72
	v_sub_f32_e32 v48, v46, v48
	s_delay_alu instid0(VALU_DEP_3) | instskip(NEXT) | instid1(VALU_DEP_3)
	v_fmac_f32_e32 v56, v55, v41
	v_fma_f32 v41, v64, v72, -v37
	s_delay_alu instid0(VALU_DEP_3) | instskip(SKIP_1) | instid1(VALU_DEP_3)
	v_sub_f32_e32 v42, v42, v48
	v_fma_f32 v48, v46, v38, -v59
	v_fmac_f32_e32 v41, v55, v72
	s_delay_alu instid0(VALU_DEP_1) | instskip(SKIP_1) | instid1(VALU_DEP_2)
	v_add_f32_e32 v64, v37, v41
	v_fmaak_f32 v60, v47, v60, 0x3ecccdef
	v_dual_sub_f32 v50, v47, v50 :: v_dual_sub_f32 v37, v64, v37
	s_delay_alu instid0(VALU_DEP_1) | instskip(SKIP_1) | instid1(VALU_DEP_2)
	v_dual_fmaak_f32 v58, v46, v58, 0x3ecccdef :: v_dual_sub_f32 v37, v41, v37
	v_fmac_f32_e32 v48, v46, v34
	v_dual_mul_f32 v34, v46, v58 :: v_dual_add_f32 v37, 0x31739010, v37
	s_delay_alu instid0(VALU_DEP_2) | instskip(NEXT) | instid1(VALU_DEP_2)
	v_fmac_f32_e32 v48, v42, v38
	v_fma_f32 v38, v46, v58, -v34
	s_delay_alu instid0(VALU_DEP_1) | instskip(NEXT) | instid1(VALU_DEP_1)
	v_fmac_f32_e32 v38, v42, v58
	v_add_f32_e32 v55, v34, v38
	v_sub_f32_e32 v44, v44, v50
	v_fma_f32 v50, v47, v39, -v61
	s_delay_alu instid0(VALU_DEP_1) | instskip(NEXT) | instid1(VALU_DEP_1)
	v_fmac_f32_e32 v50, v47, v35
	v_dual_mul_f32 v35, v47, v60 :: v_dual_fmac_f32 v50, v44, v39
	s_delay_alu instid0(VALU_DEP_1) | instskip(SKIP_1) | instid1(VALU_DEP_2)
	v_fma_f32 v39, v47, v60, -v35
	v_add_f32_e32 v47, v73, v56
	v_fmac_f32_e32 v39, v44, v60
	v_add_f32_e32 v62, v53, v52
	s_delay_alu instid0(VALU_DEP_1) | instskip(SKIP_1) | instid1(VALU_DEP_2)
	v_sub_f32_e32 v53, v62, v53
	v_mul_f32_e32 v71, v40, v62
	v_sub_f32_e32 v52, v52, v53
	s_delay_alu instid0(VALU_DEP_2) | instskip(NEXT) | instid1(VALU_DEP_1)
	v_fma_f32 v53, v62, v40, -v71
	v_fmac_f32_e32 v53, v62, v36
	s_delay_alu instid0(VALU_DEP_1) | instskip(NEXT) | instid1(VALU_DEP_1)
	v_fmac_f32_e32 v53, v52, v40
	v_add_f32_e32 v44, v71, v53
	s_delay_alu instid0(VALU_DEP_1) | instskip(NEXT) | instid1(VALU_DEP_1)
	v_sub_f32_e32 v60, v44, v71
	v_dual_fmaak_f32 v70, s47, v62, 0x3e91f4c4 :: v_dual_sub_f32 v53, v53, v60
	s_delay_alu instid0(VALU_DEP_1) | instskip(NEXT) | instid1(VALU_DEP_1)
	v_fmaak_f32 v70, v62, v70, 0x3ecccdef
	v_mul_f32_e32 v36, v62, v70
	s_delay_alu instid0(VALU_DEP_1) | instskip(SKIP_1) | instid1(VALU_DEP_2)
	v_fma_f32 v40, v62, v70, -v36
	v_sub_f32_e32 v62, v47, v73
	v_fmac_f32_e32 v40, v52, v70
	s_delay_alu instid0(VALU_DEP_2) | instskip(SKIP_1) | instid1(VALU_DEP_1)
	v_sub_f32_e32 v56, v56, v62
	v_add_f32_e32 v62, 0x3f2aaaaa, v64
	v_add_f32_e32 v41, 0xbf2aaaaa, v62
	s_delay_alu instid0(VALU_DEP_1) | instskip(NEXT) | instid1(VALU_DEP_1)
	v_sub_f32_e32 v41, v64, v41
	v_add_f32_e32 v37, v37, v41
	s_delay_alu instid0(VALU_DEP_1) | instskip(NEXT) | instid1(VALU_DEP_1)
	v_add_f32_e32 v41, v62, v37
	v_sub_f32_e32 v62, v62, v41
	s_delay_alu instid0(VALU_DEP_1) | instskip(NEXT) | instid1(VALU_DEP_1)
	v_dual_mul_f32 v64, v47, v41 :: v_dual_add_f32 v37, v37, v62
	v_fma_f32 v62, v47, v41, -v64
	s_delay_alu instid0(VALU_DEP_1) | instskip(NEXT) | instid1(VALU_DEP_1)
	v_fmac_f32_e32 v62, v47, v37
	v_fmac_f32_e32 v62, v56, v41
	s_delay_alu instid0(VALU_DEP_1) | instskip(NEXT) | instid1(VALU_DEP_1)
	v_add_f32_e32 v37, v64, v62
	v_dual_add_f32 v47, v57, v37 :: v_dual_add_f32 v46, v59, v48
	v_add_f32_e32 v42, v61, v50
	s_delay_alu instid0(VALU_DEP_2) | instskip(NEXT) | instid1(VALU_DEP_2)
	v_sub_f32_e32 v52, v46, v59
	v_dual_sub_f32 v58, v42, v61 :: v_dual_add_f32 v59, v35, v39
	s_delay_alu instid0(VALU_DEP_1) | instskip(NEXT) | instid1(VALU_DEP_2)
	v_sub_f32_e32 v50, v50, v58
	v_add_f32_e32 v58, 0x3f2aaaaa, v59
	v_sub_f32_e32 v35, v59, v35
	s_delay_alu instid0(VALU_DEP_1) | instskip(NEXT) | instid1(VALU_DEP_3)
	v_sub_f32_e32 v35, v39, v35
	v_add_f32_e32 v39, 0xbf2aaaaa, v58
	s_delay_alu instid0(VALU_DEP_2) | instskip(NEXT) | instid1(VALU_DEP_2)
	v_add_f32_e32 v35, 0x31739010, v35
	v_sub_f32_e32 v39, v59, v39
	s_delay_alu instid0(VALU_DEP_1) | instskip(NEXT) | instid1(VALU_DEP_1)
	v_add_f32_e32 v35, v35, v39
	v_add_f32_e32 v39, v58, v35
	s_delay_alu instid0(VALU_DEP_1) | instskip(SKIP_1) | instid1(VALU_DEP_2)
	v_sub_f32_e32 v58, v58, v39
	v_mul_f32_e32 v59, v42, v39
	v_add_f32_e32 v35, v35, v58
	s_delay_alu instid0(VALU_DEP_2) | instskip(SKIP_2) | instid1(VALU_DEP_3)
	v_fma_f32 v58, v42, v39, -v59
	v_sub_f32_e32 v48, v48, v52
	v_add_f32_e32 v52, 0x3f2aaaaa, v55
	v_fmac_f32_e32 v58, v42, v35
	s_delay_alu instid0(VALU_DEP_1) | instskip(NEXT) | instid1(VALU_DEP_1)
	v_fmac_f32_e32 v58, v50, v39
	v_add_f32_e32 v35, v59, v58
	s_delay_alu instid0(VALU_DEP_1) | instskip(SKIP_1) | instid1(VALU_DEP_1)
	v_add_f32_e32 v41, v51, v35
	v_add_f32_e32 v61, v36, v40
	;; [unrolled: 1-line block ×3, first 2 shown]
	v_sub_f32_e32 v36, v61, v36
	s_delay_alu instid0(VALU_DEP_1) | instskip(NEXT) | instid1(VALU_DEP_3)
	v_sub_f32_e32 v36, v40, v36
	v_add_f32_e32 v40, 0xbf2aaaaa, v60
	s_delay_alu instid0(VALU_DEP_2) | instskip(NEXT) | instid1(VALU_DEP_2)
	v_add_f32_e32 v36, 0x31739010, v36
	v_sub_f32_e32 v40, v61, v40
	s_delay_alu instid0(VALU_DEP_1) | instskip(NEXT) | instid1(VALU_DEP_1)
	v_add_f32_e32 v36, v36, v40
	v_add_f32_e32 v40, v60, v36
	s_delay_alu instid0(VALU_DEP_1) | instskip(SKIP_1) | instid1(VALU_DEP_2)
	v_sub_f32_e32 v60, v60, v40
	v_mul_f32_e32 v61, v44, v40
	v_add_f32_e32 v36, v36, v60
	s_delay_alu instid0(VALU_DEP_2) | instskip(NEXT) | instid1(VALU_DEP_1)
	v_fma_f32 v60, v44, v40, -v61
	v_fmac_f32_e32 v60, v44, v36
	s_delay_alu instid0(VALU_DEP_1) | instskip(SKIP_1) | instid1(VALU_DEP_1)
	v_fmac_f32_e32 v60, v53, v40
	v_sub_f32_e32 v40, v35, v59
	v_sub_f32_e32 v40, v58, v40
	s_delay_alu instid0(VALU_DEP_1) | instskip(NEXT) | instid1(VALU_DEP_1)
	v_dual_add_f32 v33, v33, v40 :: v_dual_sub_f32 v34, v55, v34
	v_sub_f32_e32 v34, v38, v34
	v_add_f32_e32 v38, 0xbf2aaaaa, v52
	s_delay_alu instid0(VALU_DEP_2) | instskip(NEXT) | instid1(VALU_DEP_2)
	v_add_f32_e32 v34, 0x31739010, v34
	v_sub_f32_e32 v38, v55, v38
	s_delay_alu instid0(VALU_DEP_1) | instskip(NEXT) | instid1(VALU_DEP_1)
	v_add_f32_e32 v34, v34, v38
	v_add_f32_e32 v38, v52, v34
	s_delay_alu instid0(VALU_DEP_1) | instskip(SKIP_1) | instid1(VALU_DEP_2)
	v_sub_f32_e32 v52, v52, v38
	v_mul_f32_e32 v55, v46, v38
	v_add_f32_e32 v34, v34, v52
	s_delay_alu instid0(VALU_DEP_2) | instskip(NEXT) | instid1(VALU_DEP_1)
	v_fma_f32 v52, v46, v38, -v55
	v_fmac_f32_e32 v52, v46, v34
	s_delay_alu instid0(VALU_DEP_1) | instskip(NEXT) | instid1(VALU_DEP_1)
	v_fmac_f32_e32 v52, v48, v38
	v_add_f32_e32 v34, v55, v52
	s_delay_alu instid0(VALU_DEP_1) | instskip(SKIP_1) | instid1(VALU_DEP_2)
	v_dual_sub_f32 v38, v34, v55 :: v_dual_add_f32 v39, v49, v34
	v_sub_f32_e32 v46, v37, v64
	v_dual_sub_f32 v48, v39, v49 :: v_dual_sub_f32 v49, v41, v51
	s_delay_alu instid0(VALU_DEP_2) | instskip(NEXT) | instid1(VALU_DEP_1)
	v_dual_sub_f32 v46, v62, v46 :: v_dual_sub_f32 v51, v47, v57
	v_dual_sub_f32 v35, v35, v49 :: v_dual_add_f32 v40, v65, v46
	s_delay_alu instid0(VALU_DEP_2) | instskip(NEXT) | instid1(VALU_DEP_2)
	v_sub_f32_e32 v37, v37, v51
	v_add_f32_e32 v33, v33, v35
	s_delay_alu instid0(VALU_DEP_2) | instskip(NEXT) | instid1(VALU_DEP_1)
	v_add_f32_e32 v35, v40, v37
	v_dual_add_f32 v37, v41, v33 :: v_dual_add_f32 v40, v47, v35
	s_delay_alu instid0(VALU_DEP_1) | instskip(NEXT) | instid1(VALU_DEP_2)
	v_sub_f32_e32 v41, v37, v41
	v_dual_add_f32 v46, v67, v37 :: v_dual_sub_f32 v47, v40, v47
	v_add_f32_e32 v49, v69, v40
	s_delay_alu instid0(VALU_DEP_3) | instskip(NEXT) | instid1(VALU_DEP_3)
	v_sub_f32_e32 v33, v33, v41
	v_sub_f32_e32 v41, v46, v67
	s_delay_alu instid0(VALU_DEP_4) | instskip(NEXT) | instid1(VALU_DEP_4)
	v_sub_f32_e32 v35, v35, v47
	v_sub_f32_e32 v47, v49, v69
	s_delay_alu instid0(VALU_DEP_3) | instskip(SKIP_2) | instid1(VALU_DEP_4)
	v_sub_f32_e32 v51, v46, v41
	v_sub_f32_e32 v37, v37, v41
	v_add_f32_e32 v41, v32, v33
	v_sub_f32_e32 v53, v49, v47
	v_sub_f32_e32 v40, v40, v47
	v_add_f32_e32 v47, v45, v35
	v_sub_f32_e32 v51, v67, v51
	v_sub_f32_e32 v55, v41, v32
	;; [unrolled: 1-line block ×3, first 2 shown]
	s_delay_alu instid0(VALU_DEP_4) | instskip(NEXT) | instid1(VALU_DEP_4)
	v_sub_f32_e32 v57, v47, v45
	v_add_f32_e32 v37, v37, v51
	s_delay_alu instid0(VALU_DEP_3) | instskip(SKIP_1) | instid1(VALU_DEP_4)
	v_dual_sub_f32 v51, v41, v55 :: v_dual_add_f32 v40, v40, v53
	v_sub_f32_e32 v33, v33, v55
	v_sub_f32_e32 v53, v47, v57
	s_delay_alu instid0(VALU_DEP_3) | instskip(NEXT) | instid1(VALU_DEP_4)
	v_dual_sub_f32 v35, v35, v57 :: v_dual_sub_f32 v32, v32, v51
	v_dual_add_f32 v37, v41, v37 :: v_dual_add_f32 v40, v47, v40
	s_delay_alu instid0(VALU_DEP_3) | instskip(NEXT) | instid1(VALU_DEP_2)
	v_sub_f32_e32 v41, v45, v53
	v_dual_add_f32 v32, v33, v32 :: v_dual_add_f32 v33, v46, v37
	s_delay_alu instid0(VALU_DEP_2) | instskip(NEXT) | instid1(VALU_DEP_4)
	v_dual_add_f32 v36, v61, v60 :: v_dual_add_f32 v35, v35, v41
	v_add_f32_e32 v41, v49, v40
	s_delay_alu instid0(VALU_DEP_2) | instskip(SKIP_1) | instid1(VALU_DEP_2)
	v_add_f32_e32 v44, v54, v36
	v_sub_f32_e32 v42, v36, v61
	v_dual_sub_f32 v45, v41, v49 :: v_dual_sub_f32 v50, v44, v54
	s_delay_alu instid0(VALU_DEP_2) | instskip(NEXT) | instid1(VALU_DEP_2)
	v_sub_f32_e32 v42, v60, v42
	v_sub_f32_e32 v40, v40, v45
	s_delay_alu instid0(VALU_DEP_1) | instskip(NEXT) | instid1(VALU_DEP_1)
	v_dual_sub_f32 v38, v52, v38 :: v_dual_add_f32 v35, v35, v40
	v_add_f32_e32 v31, v31, v38
	s_delay_alu instid0(VALU_DEP_4) | instskip(NEXT) | instid1(VALU_DEP_3)
	v_add_f32_e32 v38, v63, v42
	v_add_f32_e32 v40, v41, v35
	s_delay_alu instid0(VALU_DEP_1) | instskip(SKIP_1) | instid1(VALU_DEP_2)
	v_dual_sub_f32 v36, v36, v50 :: v_dual_mul_f32 v45, v9, v40
	v_dual_sub_f32 v41, v40, v41 :: v_dual_sub_f32 v34, v34, v48
	v_cmp_class_f32_e64 s15, v45, 0x204
	s_delay_alu instid0(VALU_DEP_2) | instskip(NEXT) | instid1(VALU_DEP_3)
	v_sub_f32_e32 v35, v35, v41
	v_dual_add_f32 v31, v31, v34 :: v_dual_add_f32 v34, v38, v36
	s_delay_alu instid0(VALU_DEP_1) | instskip(NEXT) | instid1(VALU_DEP_1)
	v_add_f32_e32 v36, v39, v31
	v_dual_sub_f32 v39, v36, v39 :: v_dual_add_f32 v42, v66, v36
	s_delay_alu instid0(VALU_DEP_1) | instskip(NEXT) | instid1(VALU_DEP_2)
	v_sub_f32_e32 v31, v31, v39
	v_sub_f32_e32 v39, v42, v66
	s_delay_alu instid0(VALU_DEP_1) | instskip(SKIP_1) | instid1(VALU_DEP_4)
	v_sub_f32_e32 v50, v42, v39
	v_sub_f32_e32 v36, v36, v39
	v_add_f32_e32 v39, v30, v31
	s_delay_alu instid0(VALU_DEP_3) | instskip(NEXT) | instid1(VALU_DEP_2)
	v_sub_f32_e32 v50, v66, v50
	v_sub_f32_e32 v54, v39, v30
	s_delay_alu instid0(VALU_DEP_2) | instskip(NEXT) | instid1(VALU_DEP_2)
	v_add_f32_e32 v36, v36, v50
	v_sub_f32_e32 v50, v39, v54
	v_sub_f32_e32 v31, v31, v54
	s_delay_alu instid0(VALU_DEP_3) | instskip(NEXT) | instid1(VALU_DEP_3)
	v_add_f32_e32 v36, v39, v36
	v_sub_f32_e32 v30, v30, v50
	s_delay_alu instid0(VALU_DEP_1) | instskip(NEXT) | instid1(VALU_DEP_1)
	v_dual_add_f32 v30, v31, v30 :: v_dual_add_f32 v31, v42, v36
	v_sub_f32_e32 v42, v31, v42
	s_delay_alu instid0(VALU_DEP_1) | instskip(NEXT) | instid1(VALU_DEP_1)
	v_sub_f32_e32 v36, v36, v42
	v_add_f32_e32 v30, v30, v36
	s_delay_alu instid0(VALU_DEP_1) | instskip(NEXT) | instid1(VALU_DEP_1)
	v_add_f32_e32 v36, v31, v30
	v_dual_sub_f32 v31, v36, v31 :: v_dual_mul_f32 v42, v5, v36
	s_delay_alu instid0(VALU_DEP_1) | instskip(NEXT) | instid1(VALU_DEP_2)
	v_sub_f32_e32 v30, v30, v31
	v_fma_f32 v31, v5, v36, -v42
	v_cmp_class_f32_e64 s16, v42, 0x204
	s_delay_alu instid0(VALU_DEP_2) | instskip(SKIP_1) | instid1(VALU_DEP_2)
	v_fmac_f32_e32 v31, v5, v30
	v_add_f32_e32 v38, v44, v34
	v_add_f32_e32 v30, v42, v31
	s_delay_alu instid0(VALU_DEP_2) | instskip(SKIP_1) | instid1(VALU_DEP_2)
	v_sub_f32_e32 v44, v38, v44
	v_add_f32_e32 v48, v68, v38
	v_sub_f32_e32 v34, v34, v44
	s_delay_alu instid0(VALU_DEP_2) | instskip(NEXT) | instid1(VALU_DEP_1)
	v_sub_f32_e32 v44, v48, v68
	v_sub_f32_e32 v52, v48, v44
	;; [unrolled: 1-line block ×3, first 2 shown]
	s_delay_alu instid0(VALU_DEP_4) | instskip(NEXT) | instid1(VALU_DEP_3)
	v_add_f32_e32 v44, v43, v34
	v_sub_f32_e32 v52, v68, v52
	s_delay_alu instid0(VALU_DEP_2) | instskip(NEXT) | instid1(VALU_DEP_2)
	v_sub_f32_e32 v56, v44, v43
	v_add_f32_e32 v38, v38, v52
	s_delay_alu instid0(VALU_DEP_2) | instskip(SKIP_1) | instid1(VALU_DEP_2)
	v_sub_f32_e32 v52, v44, v56
	v_sub_f32_e32 v34, v34, v56
	v_dual_add_f32 v38, v44, v38 :: v_dual_sub_f32 v39, v43, v52
	s_delay_alu instid0(VALU_DEP_1) | instskip(NEXT) | instid1(VALU_DEP_2)
	v_dual_sub_f32 v43, v33, v46 :: v_dual_add_f32 v34, v34, v39
	v_add_f32_e32 v39, v48, v38
	s_delay_alu instid0(VALU_DEP_1) | instskip(NEXT) | instid1(VALU_DEP_1)
	v_dual_sub_f32 v37, v37, v43 :: v_dual_sub_f32 v44, v39, v48
	v_add_f32_e32 v32, v32, v37
	s_delay_alu instid0(VALU_DEP_2) | instskip(NEXT) | instid1(VALU_DEP_1)
	v_sub_f32_e32 v38, v38, v44
	v_dual_add_f32 v37, v33, v32 :: v_dual_add_f32 v34, v34, v38
	s_delay_alu instid0(VALU_DEP_1) | instskip(NEXT) | instid1(VALU_DEP_2)
	v_sub_f32_e32 v33, v37, v33
	v_dual_mul_f32 v43, v6, v37 :: v_dual_add_f32 v38, v39, v34
	s_delay_alu instid0(VALU_DEP_2) | instskip(NEXT) | instid1(VALU_DEP_2)
	v_sub_f32_e32 v32, v32, v33
	v_fma_f32 v33, v6, v37, -v43
	v_fma_f32 v37, v9, v40, -v45
	v_cmp_class_f32_e64 s13, v43, 0x204
	v_dual_sub_f32 v39, v38, v39 :: v_dual_mul_f32 v44, v8, v38
	s_delay_alu instid0(VALU_DEP_4) | instskip(NEXT) | instid1(VALU_DEP_4)
	v_fmac_f32_e32 v33, v6, v32
	v_fmac_f32_e32 v37, v9, v35
	s_delay_alu instid0(VALU_DEP_3) | instskip(NEXT) | instid1(VALU_DEP_4)
	v_sub_f32_e32 v34, v34, v39
	v_fma_f32 v36, v8, v38, -v44
	s_delay_alu instid0(VALU_DEP_4) | instskip(SKIP_2) | instid1(VALU_DEP_4)
	v_add_f32_e32 v32, v43, v33
	v_cmp_class_f32_e64 s14, v44, 0x204
	v_dual_add_f32 v35, v45, v37 :: v_dual_sub_f32 v38, v30, v42
	v_fmac_f32_e32 v36, v8, v34
	v_cndmask_b32_e64 v30, v30, v42, s16
	v_sub_f32_e32 v39, v32, v43
	v_cndmask_b32_e64 v32, v32, v43, s13
	s_delay_alu instid0(VALU_DEP_4) | instskip(SKIP_3) | instid1(VALU_DEP_4)
	v_dual_sub_f32 v41, v35, v45 :: v_dual_add_f32 v34, v44, v36
	v_cndmask_b32_e64 v35, v35, v45, s15
	v_cmp_eq_f32_e64 s13, 0x42b17218, v30
	v_sub_f32_e32 v31, v31, v38
	v_dual_sub_f32 v33, v33, v39 :: v_dual_sub_f32 v40, v34, v44
	v_cndmask_b32_e64 v34, v34, v44, s14
	v_cmp_eq_f32_e64 s14, 0x42b17218, v32
	v_cmp_eq_f32_e64 s16, 0x42b17218, v35
	v_cndmask_b32_e64 v38, 0, 0x37000000, s13
	v_cmp_neq_f32_e64 s13, 0x7f800000, |v32|
	v_cmp_eq_f32_e64 s15, 0x42b17218, v34
	v_cndmask_b32_e64 v39, 0, 0x37000000, s14
	v_sub_f32_e32 v36, v36, v40
	v_cmp_neq_f32_e64 s14, 0x7f800000, |v34|
	v_sub_f32_e32 v37, v37, v41
	v_cndmask_b32_e64 v40, 0, 0x37000000, s15
	v_cmp_neq_f32_e64 s15, 0x7f800000, |v35|
	v_cndmask_b32_e64 v41, 0, 0x37000000, s16
	v_cmp_neq_f32_e64 s16, 0x7f800000, |v30|
	v_sub_f32_e32 v30, v30, v38
	v_cndmask_b32_e64 v33, 0, v33, s13
	v_sub_f32_e32 v32, v32, v39
	v_cndmask_b32_e64 v36, 0, v36, s14
	v_cndmask_b32_e64 v31, 0, v31, s16
	v_sub_f32_e32 v34, v34, v40
	v_cndmask_b32_e64 v37, 0, v37, s15
	v_sub_f32_e32 v35, v35, v41
	v_add_f32_e32 v33, v39, v33
	v_dual_add_f32 v31, v38, v31 :: v_dual_mul_f32 v38, 0x3fb8aa3b, v30
	v_mul_f32_e32 v39, 0x3fb8aa3b, v32
	v_add_f32_e32 v36, v40, v36
	v_dual_mul_f32 v40, 0x3fb8aa3b, v34 :: v_dual_add_f32 v37, v41, v37
	v_mul_f32_e32 v41, 0x3fb8aa3b, v35
	v_fma_f32 v42, 0x3fb8aa3b, v30, -v38
	v_rndne_f32_e32 v43, v38
	v_fma_f32 v44, 0x3fb8aa3b, v32, -v39
	v_rndne_f32_e32 v45, v39
	;; [unrolled: 2-line block ×4, first 2 shown]
	v_fmac_f32_e32 v42, 0x32a5705f, v30
	v_sub_f32_e32 v38, v38, v43
	v_dual_fmac_f32 v44, 0x32a5705f, v32 :: v_dual_sub_f32 v39, v39, v45
	s_delay_alu instid0(VALU_DEP_4) | instskip(SKIP_2) | instid1(VALU_DEP_4)
	v_dual_sub_f32 v41, v41, v49 :: v_dual_fmac_f32 v46, 0x32a5705f, v34
	v_sub_f32_e32 v40, v40, v47
	v_fmac_f32_e32 v48, 0x32a5705f, v35
	v_dual_add_f32 v38, v38, v42 :: v_dual_add_f32 v39, v39, v44
	v_cvt_i32_f32_e32 v43, v43
	s_delay_alu instid0(VALU_DEP_3) | instskip(NEXT) | instid1(VALU_DEP_3)
	v_dual_add_f32 v40, v40, v46 :: v_dual_add_f32 v41, v41, v48
	v_exp_f32_e32 v38, v38
	s_delay_alu instid0(VALU_DEP_3) | instskip(SKIP_1) | instid1(VALU_DEP_2)
	v_exp_f32_e32 v39, v39
	v_cvt_i32_f32_e32 v45, v45
	v_exp_f32_e32 v40, v40
	v_exp_f32_e32 v41, v41
	v_cvt_i32_f32_e32 v47, v47
	v_cvt_i32_f32_e32 v49, v49
	v_cmp_ngt_f32_e64 s13, 0xc2ce8ed0, v32
	v_cmp_ngt_f32_e64 s14, 0xc2ce8ed0, v34
	;; [unrolled: 1-line block ×3, first 2 shown]
	v_ldexp_f32 v38, v38, v43
	v_ldexp_f32 v39, v39, v45
	v_cmp_ngt_f32_e64 s16, 0xc2ce8ed0, v30
	v_ldexp_f32 v40, v40, v47
	v_ldexp_f32 v41, v41, v49
	s_delay_alu instid0(VALU_DEP_4) | instskip(NEXT) | instid1(VALU_DEP_4)
	v_cndmask_b32_e64 v39, 0, v39, s13
	v_cndmask_b32_e64 v38, 0, v38, s16
	v_cmp_nlt_f32_e64 s13, 0x42b17218, v32
	v_cndmask_b32_e64 v32, 0, v40, s14
	v_cmp_nlt_f32_e64 s14, 0x42b17218, v34
	;; [unrolled: 2-line block ×3, first 2 shown]
	v_cmp_nlt_f32_e64 s16, 0x42b17218, v30
	v_cndmask_b32_e64 v35, 0x7f800000, v39, s13
	v_cndmask_b32_e64 v32, 0x7f800000, v32, s14
	s_delay_alu instid0(VALU_DEP_4) | instskip(NEXT) | instid1(VALU_DEP_4)
	v_cndmask_b32_e64 v34, 0x7f800000, v34, s15
	v_cndmask_b32_e64 v30, 0x7f800000, v38, s16
	s_delay_alu instid0(VALU_DEP_4)
	v_fma_f32 v33, v35, v33, v35
	v_cmp_class_f32_e64 s13, v35, 0x204
	v_fma_f32 v36, v32, v36, v32
	v_cmp_class_f32_e64 s14, v32, 0x204
	v_fma_f32 v31, v30, v31, v30
	v_fma_f32 v37, v34, v37, v34
	v_cmp_class_f32_e64 s15, v34, 0x204
	v_cmp_class_f32_e64 s16, v30, 0x204
	v_cndmask_b32_e64 v32, v36, v32, s14
	s_delay_alu instid0(VALU_DEP_2) | instskip(SKIP_2) | instid1(VALU_DEP_4)
	v_cndmask_b32_e64 v30, v31, v30, s16
	v_cndmask_b32_e64 v31, v33, v35, s13
	;; [unrolled: 1-line block ×3, first 2 shown]
	v_bfi_b32 v28, 0x7fffffff, v32, v28
	s_delay_alu instid0(VALU_DEP_4) | instskip(NEXT) | instid1(VALU_DEP_4)
	v_bfi_b32 v26, 0x7fffffff, v30, v26
	v_bfi_b32 v27, 0x7fffffff, v31, v27
	s_delay_alu instid0(VALU_DEP_4) | instskip(NEXT) | instid1(VALU_DEP_4)
	v_bfi_b32 v29, 0x7fffffff, v33, v29
	v_cndmask_b32_e64 v32, 0x7fc00000, v28, s8
	v_cmp_gt_f32_e64 s8, 0, v17
	v_cndmask_b32_e64 v30, 0x7fc00000, v26, s4
	v_cndmask_b32_e64 v31, 0x7fc00000, v27, s6
	v_cmp_gt_f32_e64 s4, 0, v15
	v_cmp_gt_f32_e64 s6, 0, v16
	v_cndmask_b32_e64 v33, 0x7fc00000, v29, s9
	v_cmp_gt_f32_e64 s9, 0, v14
	s_delay_alu instid0(VALU_DEP_4) | instskip(SKIP_2) | instid1(VALU_DEP_4)
	v_cndmask_b32_e64 v27, v27, v31, s4
	v_cmp_eq_f32_e64 s4, 0x7f800000, v11
	v_cndmask_b32_e64 v11, v28, v32, s6
	v_cndmask_b32_e64 v26, v26, v30, s9
	v_cmp_eq_f32_e64 s6, 0x7f800000, v12
	v_cndmask_b32_e64 v12, v29, v33, s8
	v_cmp_eq_f32_e64 s8, 0x7f800000, v13
	v_cmp_eq_f32_e64 s9, 0x7f800000, v10
	v_cndmask_b32_e64 v13, v27, v19, s4
	v_cndmask_b32_e64 v11, v11, v20, s6
	s_or_b32 s4, s5, s12
	v_cndmask_b32_e64 v12, v12, v21, s8
	v_cndmask_b32_e64 v10, v26, v18, s9
	;; [unrolled: 1-line block ×3, first 2 shown]
	v_cmp_o_f32_e64 s2, v16, v8
	s_add_u32 s33, s33, s46
	s_addc_u32 s40, s40, 0
	v_cndmask_b32_e32 v10, v10, v24, vcc_lo
	v_cmp_o_f32_e32 vcc_lo, v15, v6
	v_cndmask_b32_e64 v6, v11, v23, s3
	v_cndmask_b32_e64 v11, v12, v22, s4
	v_cmp_o_f32_e64 s3, v17, v9
	v_cmp_o_f32_e64 s4, v14, v5
	s_add_u32 s41, s41, s46
	s_addc_u32 s42, s42, 0
	v_cndmask_b32_e32 v9, 0x7fc00000, v13, vcc_lo
	v_cndmask_b32_e64 v11, 0x7fc00000, v11, s3
	v_cndmask_b32_e64 v8, 0x7fc00000, v10, s4
	;; [unrolled: 1-line block ×3, first 2 shown]
	s_and_b32 s2, exec_lo, s48
	s_delay_alu instid0(SALU_CYCLE_1)
	s_or_b32 s44, s2, s44
	global_store_b128 v[3:4], v[8:11], off
	s_and_not1_b32 exec_lo, exec_lo, s44
	s_cbranch_execnz .LBB138_3
.LBB138_4:
	s_or_b32 exec_lo, exec_lo, s43
	s_mov_b32 s2, 0
.LBB138_5:
	s_delay_alu instid0(SALU_CYCLE_1)
	s_and_not1_b32 vcc_lo, exec_lo, s2
	s_cbranch_vccnz .LBB138_25
; %bb.6:
	v_cmp_lt_i64_e64 s2, s[34:35], 1
	s_delay_alu instid0(VALU_DEP_1)
	s_and_b32 vcc_lo, exec_lo, s2
	s_cbranch_vccnz .LBB138_25
; %bb.7:
	s_load_b32 s0, s[0:1], 0xc5c
	v_dual_mov_b32 v10, 0 :: v_dual_lshlrev_b32 v9, 2, v0
	v_cmp_gt_u64_e64 s1, 0x10000, s[34:35]
	s_mov_b64 s[10:11], 0
	s_mov_b32 s13, 0x3e76c4e1
	s_delay_alu instid0(VALU_DEP_2) | instskip(NEXT) | instid1(VALU_DEP_1)
	v_add_co_u32 v1, s2, s36, v9
	v_add_co_ci_u32_e64 v2, null, s37, 0, s2
	v_add_co_u32 v3, s2, s38, v9
	s_delay_alu instid0(VALU_DEP_1)
	v_add_co_ci_u32_e64 v4, null, s39, 0, s2
	s_waitcnt lgkmcnt(0)
	s_and_b32 s0, s0, 0xffff
	s_and_b32 s1, s1, exec_lo
	v_mad_u64_u32 v[7:8], null, s0, 12, v[9:10]
	s_cselect_b32 s9, s35, 0
	s_cselect_b32 s8, s34, 0x10000
	s_mul_i32 s2, s0, 3
	s_lshl_b32 s3, s0, 3
	s_lshl_b32 s1, s0, 1
	v_add_co_u32 v14, s3, s3, v9
	v_add_co_u32 v9, s2, s2, v0
	s_delay_alu instid0(VALU_DEP_1) | instskip(SKIP_3) | instid1(VALU_DEP_3)
	v_add_co_ci_u32_e64 v10, null, 0, 0, s2
	v_add_co_u32 v13, s2, v0, s0
	v_add_co_u32 v5, vcc_lo, s36, v7
	v_add_co_ci_u32_e32 v6, vcc_lo, s37, v8, vcc_lo
	v_lshlrev_b32_e32 v21, 2, v13
	v_add_co_u32 v7, vcc_lo, s38, v7
	v_add_co_ci_u32_e64 v15, null, 0, 0, s3
	v_add_co_ci_u32_e32 v8, vcc_lo, s39, v8, vcc_lo
	v_add_co_u32 v17, s1, s1, v0
	v_add_co_u32 v11, vcc_lo, s36, v14
	v_add_co_ci_u32_e64 v18, null, 0, 0, s1
	v_add_co_u32 v19, s1, s36, v21
	v_add_co_ci_u32_e32 v12, vcc_lo, s37, v15, vcc_lo
	v_add_co_u32 v14, vcc_lo, s38, v14
	v_add_co_ci_u32_e64 v20, null, s37, 0, s1
	v_add_co_u32 v21, s1, s38, v21
	v_add_co_ci_u32_e32 v15, vcc_lo, s39, v15, vcc_lo
	v_add_co_ci_u32_e64 v16, null, 0, 0, s2
	v_add_co_ci_u32_e64 v22, null, s39, 0, s1
	s_lshl_b32 s7, s0, 2
	s_lshl_b32 s12, s0, 4
	s_branch .LBB138_9
.LBB138_8:                              ;   in Loop: Header=BB138_9 Depth=1
	s_or_b32 exec_lo, exec_lo, s4
	v_add_co_u32 v1, vcc_lo, v1, s12
	v_add_co_ci_u32_e32 v2, vcc_lo, 0, v2, vcc_lo
	v_add_co_u32 v3, vcc_lo, v3, s12
	v_add_co_ci_u32_e32 v4, vcc_lo, 0, v4, vcc_lo
	;; [unrolled: 2-line block ×5, first 2 shown]
	s_add_u32 s10, s10, s7
	v_add_co_u32 v14, vcc_lo, v14, s12
	s_addc_u32 s11, s11, 0
	v_add_co_ci_u32_e32 v15, vcc_lo, 0, v15, vcc_lo
	v_cmp_ge_i64_e64 s0, s[10:11], s[34:35]
	v_cmp_lt_u64_e64 s1, 0xffff, s[10:11]
	v_add_co_u32 v19, vcc_lo, v19, s12
	v_add_co_ci_u32_e32 v20, vcc_lo, 0, v20, vcc_lo
	v_add_co_u32 v21, vcc_lo, v21, s12
	v_add_co_ci_u32_e32 v22, vcc_lo, 0, v22, vcc_lo
	s_or_b32 s0, s0, s1
	s_delay_alu instid0(SALU_CYCLE_1)
	s_and_b32 vcc_lo, exec_lo, s0
	s_cbranch_vccnz .LBB138_25
.LBB138_9:                              ; =>This Inner Loop Header: Depth=1
	s_waitcnt vmcnt(1)
	v_add_co_u32 v23, s0, v0, s10
	s_delay_alu instid0(VALU_DEP_1) | instskip(SKIP_2) | instid1(VALU_DEP_2)
	v_add_co_ci_u32_e64 v24, null, 0, s11, s0
	s_waitcnt vmcnt(0)
	v_dual_mov_b32 v29, 0 :: v_dual_mov_b32 v30, 0
	v_cmp_gt_u64_e64 s2, s[8:9], v[23:24]
	s_delay_alu instid0(VALU_DEP_1)
	s_and_saveexec_b32 s0, s2
	s_cbranch_execz .LBB138_11
; %bb.10:                               ;   in Loop: Header=BB138_9 Depth=1
	v_add_co_u32 v23, vcc_lo, v1, s30
	v_add_co_ci_u32_e32 v24, vcc_lo, s31, v2, vcc_lo
	v_add_co_u32 v25, vcc_lo, v3, s30
	v_add_co_ci_u32_e32 v26, vcc_lo, s31, v4, vcc_lo
	global_load_b32 v29, v[23:24], off
	global_load_b32 v30, v[25:26], off
.LBB138_11:                             ;   in Loop: Header=BB138_9 Depth=1
	s_or_b32 exec_lo, exec_lo, s0
	v_add_co_u32 v25, vcc_lo, v13, s10
	v_add_co_ci_u32_e32 v26, vcc_lo, s11, v16, vcc_lo
	v_dual_mov_b32 v24, 0 :: v_dual_mov_b32 v27, 0
	v_mov_b32_e32 v28, 0
	s_delay_alu instid0(VALU_DEP_3) | instskip(NEXT) | instid1(VALU_DEP_1)
	v_cmp_gt_u64_e64 s1, s[8:9], v[25:26]
	s_and_saveexec_b32 s0, s1
	s_cbranch_execz .LBB138_13
; %bb.12:                               ;   in Loop: Header=BB138_9 Depth=1
	v_add_co_u32 v25, vcc_lo, v19, s30
	v_add_co_ci_u32_e32 v26, vcc_lo, s31, v20, vcc_lo
	v_add_co_u32 v31, vcc_lo, v21, s30
	v_add_co_ci_u32_e32 v32, vcc_lo, s31, v22, vcc_lo
	global_load_b32 v27, v[25:26], off
	global_load_b32 v28, v[31:32], off
.LBB138_13:                             ;   in Loop: Header=BB138_9 Depth=1
	s_or_b32 exec_lo, exec_lo, s0
	v_add_co_u32 v25, vcc_lo, v17, s10
	v_add_co_ci_u32_e32 v26, vcc_lo, s11, v18, vcc_lo
	s_delay_alu instid0(VALU_DEP_1) | instskip(SKIP_1) | instid1(VALU_DEP_2)
	v_cmp_gt_u64_e64 s0, s[8:9], v[25:26]
	v_mov_b32_e32 v26, 0
	s_and_saveexec_b32 s3, s0
	s_cbranch_execz .LBB138_15
; %bb.14:                               ;   in Loop: Header=BB138_9 Depth=1
	v_add_co_u32 v23, vcc_lo, v11, s30
	v_add_co_ci_u32_e32 v24, vcc_lo, s31, v12, vcc_lo
	v_add_co_u32 v25, vcc_lo, v14, s30
	v_add_co_ci_u32_e32 v26, vcc_lo, s31, v15, vcc_lo
	global_load_b32 v24, v[23:24], off
	global_load_b32 v26, v[25:26], off
.LBB138_15:                             ;   in Loop: Header=BB138_9 Depth=1
	s_or_b32 exec_lo, exec_lo, s3
	v_add_co_u32 v31, vcc_lo, v9, s10
	v_add_co_ci_u32_e32 v32, vcc_lo, s11, v10, vcc_lo
	v_mov_b32_e32 v23, 0
	v_mov_b32_e32 v25, 0
	s_delay_alu instid0(VALU_DEP_3)
	v_cmp_gt_u64_e32 vcc_lo, s[8:9], v[31:32]
	s_and_saveexec_b32 s4, vcc_lo
	s_cbranch_execnz .LBB138_20
; %bb.16:                               ;   in Loop: Header=BB138_9 Depth=1
	s_or_b32 exec_lo, exec_lo, s4
	s_and_saveexec_b32 s14, s2
	s_cbranch_execnz .LBB138_21
.LBB138_17:                             ;   in Loop: Header=BB138_9 Depth=1
	s_or_b32 exec_lo, exec_lo, s14
	s_and_saveexec_b32 s6, s1
	s_cbranch_execnz .LBB138_22
.LBB138_18:                             ;   in Loop: Header=BB138_9 Depth=1
	s_or_b32 exec_lo, exec_lo, s6
	s_and_saveexec_b32 s5, s0
	s_cbranch_execnz .LBB138_23
.LBB138_19:                             ;   in Loop: Header=BB138_9 Depth=1
	s_or_b32 exec_lo, exec_lo, s5
	s_and_saveexec_b32 s4, vcc_lo
	s_cbranch_execz .LBB138_8
	s_branch .LBB138_24
.LBB138_20:                             ;   in Loop: Header=BB138_9 Depth=1
	v_add_co_u32 v31, s3, v5, s30
	s_delay_alu instid0(VALU_DEP_1) | instskip(SKIP_1) | instid1(VALU_DEP_1)
	v_add_co_ci_u32_e64 v32, s3, s31, v6, s3
	v_add_co_u32 v33, s3, v7, s30
	v_add_co_ci_u32_e64 v34, s3, s31, v8, s3
	global_load_b32 v23, v[31:32], off
	global_load_b32 v25, v[33:34], off
	s_or_b32 exec_lo, exec_lo, s4
	s_and_saveexec_b32 s14, s2
	s_cbranch_execz .LBB138_17
.LBB138_21:                             ;   in Loop: Header=BB138_9 Depth=1
	s_waitcnt vmcnt(0)
	v_mul_f32_e32 v31, s29, v30
	v_cmp_eq_f32_e64 s2, 1.0, v29
	s_delay_alu instid0(VALU_DEP_1) | instskip(NEXT) | instid1(VALU_DEP_1)
	v_cndmask_b32_e64 v32, v31, 1.0, s2
	v_cmp_eq_f32_e64 s3, 0, v32
	v_cmp_gt_f32_e64 s5, 0, v32
	s_delay_alu instid0(VALU_DEP_2) | instskip(SKIP_1) | instid1(VALU_DEP_2)
	v_cndmask_b32_e64 v34, |v29|, 1.0, s3
	v_cndmask_b32_e64 v33, v29, 1.0, s3
	v_cvt_f64_f32_e32 v[29:30], v34
	s_delay_alu instid0(VALU_DEP_2) | instskip(NEXT) | instid1(VALU_DEP_2)
	v_cmp_eq_f32_e64 s6, 0, v33
	v_frexp_exp_i32_f64_e32 v29, v[29:30]
	v_frexp_mant_f32_e32 v30, v34
	s_delay_alu instid0(VALU_DEP_1) | instskip(NEXT) | instid1(VALU_DEP_1)
	v_cmp_gt_f32_e64 s3, 0x3f2aaaab, v30
	v_cndmask_b32_e64 v35, 1.0, 2.0, s3
	s_delay_alu instid0(VALU_DEP_1) | instskip(SKIP_1) | instid1(VALU_DEP_2)
	v_mul_f32_e32 v30, v30, v35
	v_cndmask_b32_e64 v31, |v31|, 1.0, s2
	v_add_f32_e32 v37, -1.0, v30
	v_add_f32_e32 v35, 1.0, v30
	s_delay_alu instid0(VALU_DEP_1) | instskip(SKIP_3) | instid1(VALU_DEP_2)
	v_rcp_f32_e32 v36, v35
	s_waitcnt_depctr 0xfff
	v_dual_mul_f32 v38, v37, v36 :: v_dual_add_f32 v39, -1.0, v35
	v_subrev_co_ci_u32_e64 v29, s4, 0, v29, s3
	v_mul_f32_e32 v40, v35, v38
	s_delay_alu instid0(VALU_DEP_3) | instskip(NEXT) | instid1(VALU_DEP_3)
	v_sub_f32_e32 v30, v30, v39
	v_cvt_f32_i32_e32 v29, v29
	s_delay_alu instid0(VALU_DEP_3) | instskip(NEXT) | instid1(VALU_DEP_1)
	v_fma_f32 v35, v38, v35, -v40
	v_fmac_f32_e32 v35, v38, v30
	s_delay_alu instid0(VALU_DEP_1) | instskip(NEXT) | instid1(VALU_DEP_1)
	v_add_f32_e32 v30, v40, v35
	v_dual_sub_f32 v39, v37, v30 :: v_dual_sub_f32 v40, v30, v40
	s_delay_alu instid0(VALU_DEP_1) | instskip(NEXT) | instid1(VALU_DEP_2)
	v_sub_f32_e32 v35, v40, v35
	v_sub_f32_e32 v37, v37, v39
	s_delay_alu instid0(VALU_DEP_1) | instskip(NEXT) | instid1(VALU_DEP_1)
	v_sub_f32_e32 v30, v37, v30
	v_add_f32_e32 v30, v35, v30
	s_delay_alu instid0(VALU_DEP_1) | instskip(NEXT) | instid1(VALU_DEP_1)
	v_add_f32_e32 v30, v39, v30
	v_mul_f32_e32 v30, v36, v30
	s_delay_alu instid0(VALU_DEP_1) | instskip(NEXT) | instid1(VALU_DEP_1)
	v_add_f32_e32 v35, v38, v30
	v_mul_f32_e32 v37, v35, v35
	v_sub_f32_e32 v36, v35, v38
	s_delay_alu instid0(VALU_DEP_1) | instskip(NEXT) | instid1(VALU_DEP_3)
	v_sub_f32_e32 v30, v30, v36
	v_fma_f32 v36, v35, v35, -v37
	s_delay_alu instid0(VALU_DEP_2) | instskip(NEXT) | instid1(VALU_DEP_1)
	v_add_f32_e32 v38, v30, v30
	v_fmac_f32_e32 v36, v35, v38
	s_delay_alu instid0(VALU_DEP_1) | instskip(NEXT) | instid1(VALU_DEP_1)
	v_add_f32_e32 v38, v37, v36
	v_fmaak_f32 v39, s13, v38, 0x3e91f4c4
	v_sub_f32_e32 v37, v38, v37
	s_delay_alu instid0(VALU_DEP_1) | instskip(NEXT) | instid1(VALU_DEP_1)
	v_dual_fmaak_f32 v39, v38, v39, 0x3ecccdef :: v_dual_sub_f32 v36, v36, v37
	v_mul_f32_e32 v40, v38, v39
	s_delay_alu instid0(VALU_DEP_1) | instskip(NEXT) | instid1(VALU_DEP_1)
	v_fma_f32 v37, v38, v39, -v40
	v_dual_fmac_f32 v37, v36, v39 :: v_dual_mul_f32 v42, v35, v38
	s_delay_alu instid0(VALU_DEP_1) | instskip(NEXT) | instid1(VALU_DEP_2)
	v_add_f32_e32 v39, v40, v37
	v_fma_f32 v43, v38, v35, -v42
	s_delay_alu instid0(VALU_DEP_1) | instskip(SKIP_2) | instid1(VALU_DEP_3)
	v_dual_sub_f32 v40, v39, v40 :: v_dual_fmac_f32 v43, v38, v30
	v_add_f32_e32 v41, 0x3f2aaaaa, v39
	v_ldexp_f32 v30, v30, 1
	v_sub_f32_e32 v37, v37, v40
	s_delay_alu instid0(VALU_DEP_4) | instskip(SKIP_1) | instid1(VALU_DEP_3)
	v_fmac_f32_e32 v43, v36, v35
	v_ldexp_f32 v35, v35, 1
	v_add_f32_e32 v37, 0x31739010, v37
	v_add_f32_e32 v40, 0xbf2aaaaa, v41
	s_delay_alu instid0(VALU_DEP_1) | instskip(NEXT) | instid1(VALU_DEP_1)
	v_sub_f32_e32 v39, v39, v40
	v_add_f32_e32 v37, v37, v39
	s_delay_alu instid0(VALU_DEP_1) | instskip(NEXT) | instid1(VALU_DEP_1)
	v_add_f32_e32 v36, v41, v37
	v_dual_add_f32 v38, v42, v43 :: v_dual_sub_f32 v39, v41, v36
	s_delay_alu instid0(VALU_DEP_1) | instskip(SKIP_1) | instid1(VALU_DEP_3)
	v_mul_f32_e32 v40, v38, v36
	v_sub_f32_e32 v41, v38, v42
	v_add_f32_e32 v37, v37, v39
	s_delay_alu instid0(VALU_DEP_3) | instskip(NEXT) | instid1(VALU_DEP_3)
	v_fma_f32 v39, v38, v36, -v40
	v_sub_f32_e32 v41, v43, v41
	s_delay_alu instid0(VALU_DEP_2) | instskip(NEXT) | instid1(VALU_DEP_1)
	v_fmac_f32_e32 v39, v38, v37
	v_fmac_f32_e32 v39, v41, v36
	s_delay_alu instid0(VALU_DEP_1) | instskip(NEXT) | instid1(VALU_DEP_1)
	v_add_f32_e32 v36, v40, v39
	v_sub_f32_e32 v37, v36, v40
	v_add_f32_e32 v38, v35, v36
	v_mul_f32_e32 v40, 0x3f317218, v29
	s_delay_alu instid0(VALU_DEP_3) | instskip(NEXT) | instid1(VALU_DEP_3)
	v_sub_f32_e32 v37, v39, v37
	v_sub_f32_e32 v35, v38, v35
	s_delay_alu instid0(VALU_DEP_3) | instskip(NEXT) | instid1(VALU_DEP_2)
	v_fma_f32 v39, 0x3f317218, v29, -v40
	v_dual_add_f32 v30, v30, v37 :: v_dual_sub_f32 v35, v36, v35
	s_delay_alu instid0(VALU_DEP_2) | instskip(NEXT) | instid1(VALU_DEP_2)
	v_fmac_f32_e32 v39, 0xb102e308, v29
	v_add_f32_e32 v29, v30, v35
	s_delay_alu instid0(VALU_DEP_1) | instskip(NEXT) | instid1(VALU_DEP_1)
	v_dual_add_f32 v30, v40, v39 :: v_dual_add_f32 v35, v38, v29
	v_sub_f32_e32 v40, v30, v40
	s_delay_alu instid0(VALU_DEP_2) | instskip(SKIP_1) | instid1(VALU_DEP_2)
	v_add_f32_e32 v36, v30, v35
	v_sub_f32_e32 v38, v35, v38
	v_sub_f32_e32 v37, v36, v30
	s_delay_alu instid0(VALU_DEP_2) | instskip(NEXT) | instid1(VALU_DEP_2)
	v_sub_f32_e32 v29, v29, v38
	v_sub_f32_e32 v41, v36, v37
	s_delay_alu instid0(VALU_DEP_1) | instskip(SKIP_1) | instid1(VALU_DEP_1)
	v_sub_f32_e32 v30, v30, v41
	v_sub_f32_e32 v35, v35, v37
	v_add_f32_e32 v30, v35, v30
	v_sub_f32_e32 v39, v39, v40
	s_delay_alu instid0(VALU_DEP_1) | instskip(NEXT) | instid1(VALU_DEP_1)
	v_add_f32_e32 v37, v39, v29
	v_add_f32_e32 v30, v37, v30
	s_delay_alu instid0(VALU_DEP_1) | instskip(NEXT) | instid1(VALU_DEP_1)
	v_dual_sub_f32 v35, v37, v39 :: v_dual_add_f32 v38, v36, v30
	v_dual_sub_f32 v37, v37, v35 :: v_dual_sub_f32 v36, v38, v36
	s_delay_alu instid0(VALU_DEP_1) | instskip(NEXT) | instid1(VALU_DEP_2)
	v_dual_sub_f32 v30, v30, v36 :: v_dual_sub_f32 v29, v29, v35
	v_sub_f32_e32 v35, v39, v37
	s_delay_alu instid0(VALU_DEP_1) | instskip(NEXT) | instid1(VALU_DEP_1)
	v_add_f32_e32 v29, v29, v35
	v_add_f32_e32 v29, v29, v30
	s_delay_alu instid0(VALU_DEP_1) | instskip(NEXT) | instid1(VALU_DEP_1)
	v_add_f32_e32 v30, v38, v29
	v_sub_f32_e32 v35, v30, v38
	s_delay_alu instid0(VALU_DEP_1) | instskip(NEXT) | instid1(VALU_DEP_1)
	v_dual_mul_f32 v36, v32, v30 :: v_dual_sub_f32 v29, v29, v35
	v_fma_f32 v30, v32, v30, -v36
	v_cmp_class_f32_e64 s3, v36, 0x204
	s_delay_alu instid0(VALU_DEP_2) | instskip(NEXT) | instid1(VALU_DEP_1)
	v_fmac_f32_e32 v30, v32, v29
	v_add_f32_e32 v29, v36, v30
	s_delay_alu instid0(VALU_DEP_1) | instskip(SKIP_1) | instid1(VALU_DEP_2)
	v_cndmask_b32_e64 v35, v29, v36, s3
	v_sub_f32_e32 v29, v29, v36
	v_cmp_eq_f32_e64 s3, 0x42b17218, v35
	s_delay_alu instid0(VALU_DEP_2) | instskip(SKIP_1) | instid1(VALU_DEP_3)
	v_sub_f32_e32 v29, v30, v29
	v_trunc_f32_e32 v30, v32
	v_cndmask_b32_e64 v37, 0, 0x37000000, s3
	v_cmp_neq_f32_e64 s3, 0x7f800000, |v35|
	s_delay_alu instid0(VALU_DEP_2) | instskip(NEXT) | instid1(VALU_DEP_2)
	v_sub_f32_e32 v38, v35, v37
	v_cndmask_b32_e64 v29, 0, v29, s3
	s_delay_alu instid0(VALU_DEP_2) | instskip(SKIP_2) | instid1(VALU_DEP_4)
	v_mul_f32_e32 v39, 0x3fb8aa3b, v38
	v_cmp_ngt_f32_e64 s3, 0xc2ce8ed0, v38
	v_cmp_nlt_f32_e64 s4, 0x42b17218, v38
	v_add_f32_e32 v29, v37, v29
	s_delay_alu instid0(VALU_DEP_4) | instskip(SKIP_1) | instid1(VALU_DEP_1)
	v_fma_f32 v40, 0x3fb8aa3b, v38, -v39
	v_rndne_f32_e32 v41, v39
	v_dual_fmac_f32 v40, 0x32a5705f, v38 :: v_dual_sub_f32 v39, v39, v41
	v_cvt_i32_f32_e32 v36, v41
	s_delay_alu instid0(VALU_DEP_2) | instskip(NEXT) | instid1(VALU_DEP_1)
	v_add_f32_e32 v39, v39, v40
	v_exp_f32_e32 v39, v39
	s_waitcnt_depctr 0xfff
	v_ldexp_f32 v36, v39, v36
	v_mul_f32_e32 v39, 0.5, v32
	s_delay_alu instid0(VALU_DEP_2) | instskip(NEXT) | instid1(VALU_DEP_2)
	v_cndmask_b32_e64 v35, 0, v36, s3
	v_trunc_f32_e32 v36, v39
	v_cmp_eq_f32_e64 s3, v30, v32
	s_delay_alu instid0(VALU_DEP_3) | instskip(NEXT) | instid1(VALU_DEP_3)
	v_cndmask_b32_e64 v30, 0x7f800000, v35, s4
	v_cmp_neq_f32_e64 s4, v36, v39
	s_delay_alu instid0(VALU_DEP_2) | instskip(NEXT) | instid1(VALU_DEP_2)
	v_fma_f32 v29, v30, v29, v30
	s_and_b32 s2, s3, s4
	v_cmp_gt_f32_e64 s4, 1.0, v34
	v_cndmask_b32_e64 v35, 0, v33, s2
	v_cndmask_b32_e64 v36, 1.0, v33, s2
	v_cmp_class_f32_e64 s2, v30, 0x204
	s_delay_alu instid0(VALU_DEP_1) | instskip(SKIP_1) | instid1(VALU_DEP_2)
	v_cndmask_b32_e64 v29, v29, v30, s2
	v_cmp_neq_f32_e64 s2, v32, v31
	v_bfi_b32 v29, 0x7fffffff, v29, v36
	s_delay_alu instid0(VALU_DEP_2) | instskip(NEXT) | instid1(SALU_CYCLE_1)
	s_xor_b32 s2, s2, s4
	v_cndmask_b32_e64 v30, v31, 0, s2
	s_xor_b32 s2, s5, s6
	s_delay_alu instid0(VALU_DEP_2) | instskip(SKIP_3) | instid1(VALU_DEP_2)
	v_cndmask_b32_e64 v36, 0x7fc00000, v29, s3
	v_cndmask_b32_e64 v37, 0x7f800000, 0, s2
	v_cmp_eq_f32_e64 s2, 1.0, v34
	v_cmp_eq_f32_e64 s3, 0x7f800000, v31
	v_cndmask_b32_e64 v30, v30, v34, s2
	v_cmp_gt_f32_e64 s2, 0, v33
	s_delay_alu instid0(VALU_DEP_1) | instskip(SKIP_2) | instid1(VALU_DEP_3)
	v_cndmask_b32_e64 v29, v29, v36, s2
	v_cmp_eq_f32_e64 s2, 0x7f800000, v34
	v_bfi_b32 v34, 0x7fffffff, v37, v35
	v_cndmask_b32_e64 v29, v29, v30, s3
	s_delay_alu instid0(VALU_DEP_3)
	s_or_b32 s2, s2, s6
	s_delay_alu instid0(VALU_DEP_1) | instid1(SALU_CYCLE_1)
	v_cndmask_b32_e64 v29, v29, v34, s2
	v_cmp_o_f32_e64 s2, v33, v32
	s_delay_alu instid0(VALU_DEP_1) | instskip(SKIP_1) | instid1(VALU_DEP_1)
	v_cndmask_b32_e64 v31, 0x7fc00000, v29, s2
	v_add_co_u32 v29, s2, v1, s30
	v_add_co_ci_u32_e64 v30, s2, s31, v2, s2
	global_store_b32 v[29:30], v31, off
	s_or_b32 exec_lo, exec_lo, s14
	s_and_saveexec_b32 s6, s1
	s_cbranch_execz .LBB138_18
.LBB138_22:                             ;   in Loop: Header=BB138_9 Depth=1
	s_waitcnt vmcnt(0)
	v_mul_f32_e32 v30, s29, v28
	v_cmp_eq_f32_e64 s2, 1.0, v27
	s_delay_alu instid0(VALU_DEP_1) | instskip(NEXT) | instid1(VALU_DEP_1)
	v_cndmask_b32_e64 v31, v30, 1.0, s2
	v_cmp_eq_f32_e64 s1, 0, v31
	s_delay_alu instid0(VALU_DEP_1) | instskip(SKIP_1) | instid1(VALU_DEP_2)
	v_cndmask_b32_e64 v32, |v27|, 1.0, s1
	v_cndmask_b32_e64 v27, v27, 1.0, s1
	v_frexp_mant_f32_e32 v28, v32
	v_cmp_gt_f32_e64 s4, 1.0, v32
	s_delay_alu instid0(VALU_DEP_2) | instskip(NEXT) | instid1(VALU_DEP_1)
	v_cmp_gt_f32_e64 s3, 0x3f2aaaab, v28
	v_cndmask_b32_e64 v29, 1.0, 2.0, s3
	s_delay_alu instid0(VALU_DEP_1) | instskip(NEXT) | instid1(VALU_DEP_1)
	v_mul_f32_e32 v28, v28, v29
	v_add_f32_e32 v29, 1.0, v28
	v_add_f32_e32 v34, -1.0, v28
	s_delay_alu instid0(VALU_DEP_2) | instskip(SKIP_2) | instid1(VALU_DEP_1)
	v_rcp_f32_e32 v33, v29
	s_waitcnt_depctr 0xfff
	v_mul_f32_e32 v35, v34, v33
	v_dual_add_f32 v36, -1.0, v29 :: v_dual_mul_f32 v37, v29, v35
	s_delay_alu instid0(VALU_DEP_1) | instskip(NEXT) | instid1(VALU_DEP_2)
	v_sub_f32_e32 v28, v28, v36
	v_fma_f32 v29, v35, v29, -v37
	s_delay_alu instid0(VALU_DEP_1) | instskip(NEXT) | instid1(VALU_DEP_1)
	v_fmac_f32_e32 v29, v35, v28
	v_add_f32_e32 v28, v37, v29
	s_delay_alu instid0(VALU_DEP_1) | instskip(NEXT) | instid1(VALU_DEP_1)
	v_dual_sub_f32 v37, v28, v37 :: v_dual_sub_f32 v36, v34, v28
	v_dual_sub_f32 v29, v37, v29 :: v_dual_sub_f32 v34, v34, v36
	s_delay_alu instid0(VALU_DEP_1) | instskip(NEXT) | instid1(VALU_DEP_1)
	v_sub_f32_e32 v28, v34, v28
	v_add_f32_e32 v28, v29, v28
	s_delay_alu instid0(VALU_DEP_1) | instskip(NEXT) | instid1(VALU_DEP_1)
	v_add_f32_e32 v28, v36, v28
	v_mul_f32_e32 v28, v33, v28
	s_delay_alu instid0(VALU_DEP_1) | instskip(NEXT) | instid1(VALU_DEP_1)
	v_add_f32_e32 v33, v35, v28
	v_sub_f32_e32 v29, v33, v35
	v_mul_f32_e32 v34, v33, v33
	s_delay_alu instid0(VALU_DEP_2) | instskip(NEXT) | instid1(VALU_DEP_2)
	v_sub_f32_e32 v35, v28, v29
	v_fma_f32 v36, v33, v33, -v34
	s_delay_alu instid0(VALU_DEP_2) | instskip(NEXT) | instid1(VALU_DEP_1)
	v_add_f32_e32 v28, v35, v35
	v_fmac_f32_e32 v36, v33, v28
	v_cvt_f64_f32_e32 v[28:29], v32
	s_delay_alu instid0(VALU_DEP_2) | instskip(NEXT) | instid1(VALU_DEP_1)
	v_add_f32_e32 v37, v34, v36
	v_fmaak_f32 v38, s13, v37, 0x3e91f4c4
	v_sub_f32_e32 v34, v37, v34
	v_mul_f32_e32 v41, v33, v37
	s_delay_alu instid0(VALU_DEP_3) | instskip(NEXT) | instid1(VALU_DEP_3)
	v_fmaak_f32 v38, v37, v38, 0x3ecccdef
	v_sub_f32_e32 v34, v36, v34
	s_delay_alu instid0(VALU_DEP_2) | instskip(NEXT) | instid1(VALU_DEP_1)
	v_mul_f32_e32 v39, v37, v38
	v_fma_f32 v36, v37, v38, -v39
	s_delay_alu instid0(VALU_DEP_1) | instskip(NEXT) | instid1(VALU_DEP_1)
	v_fmac_f32_e32 v36, v34, v38
	v_add_f32_e32 v38, v39, v36
	v_frexp_exp_i32_f64_e32 v28, v[28:29]
	s_delay_alu instid0(VALU_DEP_2) | instskip(NEXT) | instid1(VALU_DEP_1)
	v_sub_f32_e32 v39, v38, v39
	v_sub_f32_e32 v29, v36, v39
	v_fma_f32 v39, v37, v33, -v41
	s_delay_alu instid0(VALU_DEP_2) | instskip(NEXT) | instid1(VALU_DEP_2)
	v_add_f32_e32 v29, 0x31739010, v29
	v_dual_add_f32 v40, 0x3f2aaaaa, v38 :: v_dual_fmac_f32 v39, v37, v35
	v_ldexp_f32 v35, v35, 1
	s_delay_alu instid0(VALU_DEP_2) | instskip(NEXT) | instid1(VALU_DEP_1)
	v_dual_add_f32 v36, 0xbf2aaaaa, v40 :: v_dual_fmac_f32 v39, v34, v33
	v_sub_f32_e32 v36, v38, v36
	s_delay_alu instid0(VALU_DEP_1) | instskip(NEXT) | instid1(VALU_DEP_3)
	v_add_f32_e32 v29, v29, v36
	v_add_f32_e32 v36, v41, v39
	s_delay_alu instid0(VALU_DEP_2) | instskip(NEXT) | instid1(VALU_DEP_1)
	v_add_f32_e32 v34, v40, v29
	v_sub_f32_e32 v37, v40, v34
	s_delay_alu instid0(VALU_DEP_3) | instskip(SKIP_1) | instid1(VALU_DEP_3)
	v_mul_f32_e32 v38, v36, v34
	v_subrev_co_ci_u32_e64 v28, s3, 0, v28, s3
	v_add_f32_e32 v29, v29, v37
	s_delay_alu instid0(VALU_DEP_3) | instskip(NEXT) | instid1(VALU_DEP_3)
	v_fma_f32 v37, v36, v34, -v38
	v_cvt_f32_i32_e32 v28, v28
	v_sub_f32_e32 v40, v36, v41
	s_delay_alu instid0(VALU_DEP_3) | instskip(SKIP_1) | instid1(VALU_DEP_3)
	v_fmac_f32_e32 v37, v36, v29
	v_ldexp_f32 v29, v33, 1
	v_sub_f32_e32 v39, v39, v40
	s_delay_alu instid0(VALU_DEP_1) | instskip(NEXT) | instid1(VALU_DEP_1)
	v_fmac_f32_e32 v37, v39, v34
	v_add_f32_e32 v33, v38, v37
	s_delay_alu instid0(VALU_DEP_1) | instskip(NEXT) | instid1(VALU_DEP_1)
	v_add_f32_e32 v34, v29, v33
	v_dual_sub_f32 v29, v34, v29 :: v_dual_sub_f32 v36, v33, v38
	s_delay_alu instid0(VALU_DEP_1) | instskip(NEXT) | instid1(VALU_DEP_2)
	v_dual_mul_f32 v38, 0x3f317218, v28 :: v_dual_sub_f32 v29, v33, v29
	v_sub_f32_e32 v36, v37, v36
	s_delay_alu instid0(VALU_DEP_2) | instskip(NEXT) | instid1(VALU_DEP_2)
	v_fma_f32 v37, 0x3f317218, v28, -v38
	v_add_f32_e32 v33, v35, v36
	s_delay_alu instid0(VALU_DEP_1) | instskip(NEXT) | instid1(VALU_DEP_1)
	v_dual_fmac_f32 v37, 0xb102e308, v28 :: v_dual_add_f32 v28, v33, v29
	v_add_f32_e32 v29, v38, v37
	s_delay_alu instid0(VALU_DEP_2) | instskip(NEXT) | instid1(VALU_DEP_1)
	v_add_f32_e32 v33, v34, v28
	v_add_f32_e32 v35, v29, v33
	v_sub_f32_e32 v38, v29, v38
	s_delay_alu instid0(VALU_DEP_1) | instskip(NEXT) | instid1(VALU_DEP_1)
	v_dual_sub_f32 v36, v35, v29 :: v_dual_sub_f32 v37, v37, v38
	v_dual_sub_f32 v39, v35, v36 :: v_dual_sub_f32 v34, v33, v34
	s_delay_alu instid0(VALU_DEP_1) | instskip(NEXT) | instid1(VALU_DEP_2)
	v_dual_sub_f32 v33, v33, v36 :: v_dual_sub_f32 v28, v28, v34
	v_sub_f32_e32 v29, v29, v39
	s_delay_alu instid0(VALU_DEP_2) | instskip(NEXT) | instid1(VALU_DEP_2)
	v_add_f32_e32 v34, v37, v28
	v_add_f32_e32 v29, v33, v29
	s_delay_alu instid0(VALU_DEP_2) | instskip(NEXT) | instid1(VALU_DEP_2)
	v_sub_f32_e32 v33, v34, v37
	v_add_f32_e32 v29, v34, v29
	s_delay_alu instid0(VALU_DEP_2) | instskip(NEXT) | instid1(VALU_DEP_2)
	v_sub_f32_e32 v34, v34, v33
	v_add_f32_e32 v36, v35, v29
	s_delay_alu instid0(VALU_DEP_2) | instskip(NEXT) | instid1(VALU_DEP_2)
	v_dual_sub_f32 v28, v28, v33 :: v_dual_sub_f32 v33, v37, v34
	v_sub_f32_e32 v34, v36, v35
	s_delay_alu instid0(VALU_DEP_1) | instskip(NEXT) | instid1(VALU_DEP_1)
	v_dual_add_f32 v28, v28, v33 :: v_dual_sub_f32 v29, v29, v34
	v_add_f32_e32 v28, v28, v29
	s_delay_alu instid0(VALU_DEP_1) | instskip(NEXT) | instid1(VALU_DEP_1)
	v_add_f32_e32 v29, v36, v28
	v_dual_sub_f32 v33, v29, v36 :: v_dual_mul_f32 v34, v31, v29
	s_delay_alu instid0(VALU_DEP_1) | instskip(NEXT) | instid1(VALU_DEP_2)
	v_sub_f32_e32 v28, v28, v33
	v_fma_f32 v29, v31, v29, -v34
	v_cmp_class_f32_e64 s3, v34, 0x204
	s_delay_alu instid0(VALU_DEP_2) | instskip(NEXT) | instid1(VALU_DEP_1)
	v_fmac_f32_e32 v29, v31, v28
	v_add_f32_e32 v28, v34, v29
	s_delay_alu instid0(VALU_DEP_1) | instskip(NEXT) | instid1(VALU_DEP_1)
	v_cndmask_b32_e64 v33, v28, v34, s3
	v_cmp_eq_f32_e64 s3, 0x42b17218, v33
	s_delay_alu instid0(VALU_DEP_1) | instskip(NEXT) | instid1(VALU_DEP_1)
	v_cndmask_b32_e64 v35, 0, 0x37000000, s3
	v_sub_f32_e32 v36, v33, v35
	s_delay_alu instid0(VALU_DEP_1) | instskip(NEXT) | instid1(VALU_DEP_1)
	v_mul_f32_e32 v37, 0x3fb8aa3b, v36
	v_fma_f32 v38, 0x3fb8aa3b, v36, -v37
	v_rndne_f32_e32 v39, v37
	s_delay_alu instid0(VALU_DEP_1) | instskip(SKIP_2) | instid1(VALU_DEP_3)
	v_dual_fmac_f32 v38, 0x32a5705f, v36 :: v_dual_sub_f32 v37, v37, v39
	v_sub_f32_e32 v28, v28, v34
	v_cvt_i32_f32_e32 v34, v39
	v_add_f32_e32 v37, v37, v38
	s_delay_alu instid0(VALU_DEP_3) | instskip(SKIP_4) | instid1(VALU_DEP_3)
	v_sub_f32_e32 v28, v29, v28
	v_cndmask_b32_e64 v29, |v30|, 1.0, s2
	v_cmp_neq_f32_e64 s2, 0x7f800000, |v33|
	v_trunc_f32_e32 v33, v31
	v_exp_f32_e32 v37, v37
	v_cmp_neq_f32_e64 s1, v31, v29
	s_delay_alu instid0(VALU_DEP_3) | instskip(SKIP_1) | instid1(VALU_DEP_3)
	v_cndmask_b32_e64 v28, 0, v28, s2
	v_cmp_ngt_f32_e64 s2, 0xc2ce8ed0, v36
	s_xor_b32 s1, s1, s4
	s_delay_alu instid0(VALU_DEP_2) | instskip(SKIP_4) | instid1(VALU_DEP_2)
	v_add_f32_e32 v28, v35, v28
	v_cmp_eq_f32_e64 s4, 1.0, v32
	s_waitcnt_depctr 0xfff
	v_ldexp_f32 v30, v37, v34
	v_mul_f32_e32 v34, 0.5, v31
	v_cndmask_b32_e64 v30, 0, v30, s2
	v_cmp_nlt_f32_e64 s2, 0x42b17218, v36
	s_delay_alu instid0(VALU_DEP_3) | instskip(NEXT) | instid1(VALU_DEP_2)
	v_trunc_f32_e32 v37, v34
	v_cndmask_b32_e64 v30, 0x7f800000, v30, s2
	v_cmp_eq_f32_e64 s2, v33, v31
	s_delay_alu instid0(VALU_DEP_3) | instskip(NEXT) | instid1(VALU_DEP_3)
	v_cmp_neq_f32_e64 s3, v37, v34
	v_fma_f32 v28, v30, v28, v30
	v_cmp_class_f32_e64 s5, v30, 0x204
	s_delay_alu instid0(VALU_DEP_3) | instskip(NEXT) | instid1(SALU_CYCLE_1)
	s_and_b32 s3, s2, s3
	v_cndmask_b32_e64 v33, 1.0, v27, s3
	v_cndmask_b32_e64 v35, 0, v27, s3
	s_delay_alu instid0(VALU_DEP_3)
	v_cndmask_b32_e64 v28, v28, v30, s5
	v_cmp_gt_f32_e64 s5, 0, v31
	v_cndmask_b32_e64 v30, v29, 0, s1
	v_cmp_eq_f32_e64 s1, 0, v27
	v_cmp_eq_f32_e64 s3, 0x7f800000, v29
	v_bfi_b32 v28, 0x7fffffff, v28, v33
	s_delay_alu instid0(VALU_DEP_4) | instskip(NEXT) | instid1(VALU_DEP_2)
	v_cndmask_b32_e64 v30, v30, v32, s4
	v_cndmask_b32_e64 v33, 0x7fc00000, v28, s2
	s_xor_b32 s2, s5, s1
	s_delay_alu instid0(SALU_CYCLE_1) | instskip(SKIP_1) | instid1(VALU_DEP_1)
	v_cndmask_b32_e64 v34, 0x7f800000, 0, s2
	v_cmp_gt_f32_e64 s2, 0, v27
	v_cndmask_b32_e64 v28, v28, v33, s2
	v_cmp_eq_f32_e64 s2, 0x7f800000, v32
	s_delay_alu instid0(VALU_DEP_4) | instskip(NEXT) | instid1(VALU_DEP_3)
	v_bfi_b32 v32, 0x7fffffff, v34, v35
	v_cndmask_b32_e64 v28, v28, v30, s3
	s_delay_alu instid0(VALU_DEP_3)
	s_or_b32 s1, s2, s1
	s_delay_alu instid0(VALU_DEP_1) | instid1(SALU_CYCLE_1)
	v_cndmask_b32_e64 v28, v28, v32, s1
	v_cmp_o_f32_e64 s1, v27, v31
	s_delay_alu instid0(VALU_DEP_1) | instskip(SKIP_1) | instid1(VALU_DEP_1)
	v_cndmask_b32_e64 v29, 0x7fc00000, v28, s1
	v_add_co_u32 v27, s1, v19, s30
	v_add_co_ci_u32_e64 v28, s1, s31, v20, s1
	global_store_b32 v[27:28], v29, off
	s_or_b32 exec_lo, exec_lo, s6
	s_and_saveexec_b32 s5, s0
	s_cbranch_execz .LBB138_19
.LBB138_23:                             ;   in Loop: Header=BB138_9 Depth=1
	s_waitcnt vmcnt(0)
	v_mul_f32_e32 v28, s29, v26
	v_cmp_eq_f32_e64 s1, 1.0, v24
	s_delay_alu instid0(VALU_DEP_1) | instskip(NEXT) | instid1(VALU_DEP_1)
	v_cndmask_b32_e64 v29, v28, 1.0, s1
	v_cmp_eq_f32_e64 s0, 0, v29
	s_delay_alu instid0(VALU_DEP_1) | instskip(SKIP_1) | instid1(VALU_DEP_2)
	v_cndmask_b32_e64 v30, |v24|, 1.0, s0
	v_cndmask_b32_e64 v24, v24, 1.0, s0
	v_frexp_mant_f32_e32 v26, v30
	v_cmp_gt_f32_e64 s3, 1.0, v30
	s_delay_alu instid0(VALU_DEP_2) | instskip(NEXT) | instid1(VALU_DEP_1)
	v_cmp_gt_f32_e64 s2, 0x3f2aaaab, v26
	v_cndmask_b32_e64 v27, 1.0, 2.0, s2
	s_delay_alu instid0(VALU_DEP_1) | instskip(NEXT) | instid1(VALU_DEP_1)
	v_mul_f32_e32 v26, v26, v27
	v_add_f32_e32 v27, 1.0, v26
	v_add_f32_e32 v32, -1.0, v26
	s_delay_alu instid0(VALU_DEP_2) | instskip(SKIP_2) | instid1(VALU_DEP_1)
	v_rcp_f32_e32 v31, v27
	s_waitcnt_depctr 0xfff
	v_mul_f32_e32 v33, v32, v31
	v_dual_add_f32 v34, -1.0, v27 :: v_dual_mul_f32 v35, v27, v33
	s_delay_alu instid0(VALU_DEP_1) | instskip(NEXT) | instid1(VALU_DEP_2)
	v_sub_f32_e32 v26, v26, v34
	v_fma_f32 v27, v33, v27, -v35
	s_delay_alu instid0(VALU_DEP_1) | instskip(NEXT) | instid1(VALU_DEP_1)
	v_fmac_f32_e32 v27, v33, v26
	v_add_f32_e32 v26, v35, v27
	s_delay_alu instid0(VALU_DEP_1) | instskip(NEXT) | instid1(VALU_DEP_1)
	v_dual_sub_f32 v35, v26, v35 :: v_dual_sub_f32 v34, v32, v26
	v_dual_sub_f32 v27, v35, v27 :: v_dual_sub_f32 v32, v32, v34
	s_delay_alu instid0(VALU_DEP_1) | instskip(NEXT) | instid1(VALU_DEP_1)
	v_sub_f32_e32 v26, v32, v26
	v_add_f32_e32 v26, v27, v26
	s_delay_alu instid0(VALU_DEP_1) | instskip(NEXT) | instid1(VALU_DEP_1)
	v_add_f32_e32 v26, v34, v26
	v_mul_f32_e32 v26, v31, v26
	s_delay_alu instid0(VALU_DEP_1) | instskip(NEXT) | instid1(VALU_DEP_1)
	v_add_f32_e32 v31, v33, v26
	v_sub_f32_e32 v27, v31, v33
	v_mul_f32_e32 v32, v31, v31
	s_delay_alu instid0(VALU_DEP_2) | instskip(NEXT) | instid1(VALU_DEP_2)
	v_sub_f32_e32 v33, v26, v27
	v_fma_f32 v34, v31, v31, -v32
	s_delay_alu instid0(VALU_DEP_2) | instskip(NEXT) | instid1(VALU_DEP_1)
	v_add_f32_e32 v26, v33, v33
	v_fmac_f32_e32 v34, v31, v26
	v_cvt_f64_f32_e32 v[26:27], v30
	s_delay_alu instid0(VALU_DEP_2) | instskip(NEXT) | instid1(VALU_DEP_1)
	v_add_f32_e32 v35, v32, v34
	v_fmaak_f32 v36, s13, v35, 0x3e91f4c4
	v_sub_f32_e32 v32, v35, v32
	v_mul_f32_e32 v39, v31, v35
	s_delay_alu instid0(VALU_DEP_3) | instskip(NEXT) | instid1(VALU_DEP_3)
	v_fmaak_f32 v36, v35, v36, 0x3ecccdef
	v_sub_f32_e32 v32, v34, v32
	s_delay_alu instid0(VALU_DEP_2) | instskip(NEXT) | instid1(VALU_DEP_1)
	v_mul_f32_e32 v37, v35, v36
	v_fma_f32 v34, v35, v36, -v37
	s_delay_alu instid0(VALU_DEP_1) | instskip(NEXT) | instid1(VALU_DEP_1)
	v_fmac_f32_e32 v34, v32, v36
	v_add_f32_e32 v36, v37, v34
	v_frexp_exp_i32_f64_e32 v26, v[26:27]
	s_delay_alu instid0(VALU_DEP_2) | instskip(NEXT) | instid1(VALU_DEP_1)
	v_sub_f32_e32 v37, v36, v37
	v_sub_f32_e32 v27, v34, v37
	v_fma_f32 v37, v35, v31, -v39
	s_delay_alu instid0(VALU_DEP_2) | instskip(NEXT) | instid1(VALU_DEP_2)
	v_add_f32_e32 v27, 0x31739010, v27
	v_dual_add_f32 v38, 0x3f2aaaaa, v36 :: v_dual_fmac_f32 v37, v35, v33
	v_ldexp_f32 v33, v33, 1
	s_delay_alu instid0(VALU_DEP_2) | instskip(NEXT) | instid1(VALU_DEP_1)
	v_dual_add_f32 v34, 0xbf2aaaaa, v38 :: v_dual_fmac_f32 v37, v32, v31
	v_sub_f32_e32 v34, v36, v34
	s_delay_alu instid0(VALU_DEP_1) | instskip(NEXT) | instid1(VALU_DEP_3)
	v_add_f32_e32 v27, v27, v34
	v_add_f32_e32 v34, v39, v37
	s_delay_alu instid0(VALU_DEP_2) | instskip(NEXT) | instid1(VALU_DEP_1)
	v_add_f32_e32 v32, v38, v27
	v_sub_f32_e32 v35, v38, v32
	s_delay_alu instid0(VALU_DEP_3) | instskip(SKIP_1) | instid1(VALU_DEP_3)
	v_mul_f32_e32 v36, v34, v32
	v_subrev_co_ci_u32_e64 v26, s2, 0, v26, s2
	v_add_f32_e32 v27, v27, v35
	s_delay_alu instid0(VALU_DEP_3) | instskip(NEXT) | instid1(VALU_DEP_3)
	v_fma_f32 v35, v34, v32, -v36
	v_cvt_f32_i32_e32 v26, v26
	v_sub_f32_e32 v38, v34, v39
	s_delay_alu instid0(VALU_DEP_3) | instskip(SKIP_1) | instid1(VALU_DEP_3)
	v_fmac_f32_e32 v35, v34, v27
	v_ldexp_f32 v27, v31, 1
	v_sub_f32_e32 v37, v37, v38
	s_delay_alu instid0(VALU_DEP_1) | instskip(NEXT) | instid1(VALU_DEP_1)
	v_fmac_f32_e32 v35, v37, v32
	v_add_f32_e32 v31, v36, v35
	s_delay_alu instid0(VALU_DEP_1) | instskip(NEXT) | instid1(VALU_DEP_1)
	v_add_f32_e32 v32, v27, v31
	v_dual_sub_f32 v27, v32, v27 :: v_dual_sub_f32 v34, v31, v36
	s_delay_alu instid0(VALU_DEP_1) | instskip(NEXT) | instid1(VALU_DEP_2)
	v_dual_mul_f32 v36, 0x3f317218, v26 :: v_dual_sub_f32 v27, v31, v27
	v_sub_f32_e32 v34, v35, v34
	s_delay_alu instid0(VALU_DEP_2) | instskip(NEXT) | instid1(VALU_DEP_2)
	v_fma_f32 v35, 0x3f317218, v26, -v36
	v_add_f32_e32 v31, v33, v34
	s_delay_alu instid0(VALU_DEP_1) | instskip(NEXT) | instid1(VALU_DEP_1)
	v_dual_fmac_f32 v35, 0xb102e308, v26 :: v_dual_add_f32 v26, v31, v27
	v_add_f32_e32 v27, v36, v35
	s_delay_alu instid0(VALU_DEP_2) | instskip(NEXT) | instid1(VALU_DEP_1)
	v_add_f32_e32 v31, v32, v26
	v_add_f32_e32 v33, v27, v31
	v_sub_f32_e32 v36, v27, v36
	s_delay_alu instid0(VALU_DEP_1) | instskip(NEXT) | instid1(VALU_DEP_1)
	v_dual_sub_f32 v34, v33, v27 :: v_dual_sub_f32 v35, v35, v36
	v_dual_sub_f32 v37, v33, v34 :: v_dual_sub_f32 v32, v31, v32
	s_delay_alu instid0(VALU_DEP_1) | instskip(NEXT) | instid1(VALU_DEP_2)
	v_dual_sub_f32 v31, v31, v34 :: v_dual_sub_f32 v26, v26, v32
	v_sub_f32_e32 v27, v27, v37
	s_delay_alu instid0(VALU_DEP_2) | instskip(NEXT) | instid1(VALU_DEP_2)
	v_add_f32_e32 v32, v35, v26
	v_add_f32_e32 v27, v31, v27
	s_delay_alu instid0(VALU_DEP_2) | instskip(NEXT) | instid1(VALU_DEP_2)
	v_sub_f32_e32 v31, v32, v35
	v_add_f32_e32 v27, v32, v27
	s_delay_alu instid0(VALU_DEP_2) | instskip(NEXT) | instid1(VALU_DEP_2)
	v_sub_f32_e32 v32, v32, v31
	v_add_f32_e32 v34, v33, v27
	s_delay_alu instid0(VALU_DEP_2) | instskip(NEXT) | instid1(VALU_DEP_2)
	v_dual_sub_f32 v26, v26, v31 :: v_dual_sub_f32 v31, v35, v32
	v_sub_f32_e32 v32, v34, v33
	s_delay_alu instid0(VALU_DEP_1) | instskip(NEXT) | instid1(VALU_DEP_1)
	v_dual_add_f32 v26, v26, v31 :: v_dual_sub_f32 v27, v27, v32
	v_add_f32_e32 v26, v26, v27
	s_delay_alu instid0(VALU_DEP_1) | instskip(NEXT) | instid1(VALU_DEP_1)
	v_add_f32_e32 v27, v34, v26
	v_dual_sub_f32 v31, v27, v34 :: v_dual_mul_f32 v32, v29, v27
	s_delay_alu instid0(VALU_DEP_1) | instskip(NEXT) | instid1(VALU_DEP_2)
	v_sub_f32_e32 v26, v26, v31
	v_fma_f32 v27, v29, v27, -v32
	v_cmp_class_f32_e64 s2, v32, 0x204
	s_delay_alu instid0(VALU_DEP_2) | instskip(NEXT) | instid1(VALU_DEP_1)
	v_fmac_f32_e32 v27, v29, v26
	v_add_f32_e32 v26, v32, v27
	s_delay_alu instid0(VALU_DEP_1) | instskip(NEXT) | instid1(VALU_DEP_1)
	v_cndmask_b32_e64 v31, v26, v32, s2
	v_cmp_eq_f32_e64 s2, 0x42b17218, v31
	s_delay_alu instid0(VALU_DEP_1) | instskip(NEXT) | instid1(VALU_DEP_1)
	v_cndmask_b32_e64 v33, 0, 0x37000000, s2
	v_sub_f32_e32 v34, v31, v33
	s_delay_alu instid0(VALU_DEP_1) | instskip(NEXT) | instid1(VALU_DEP_1)
	v_mul_f32_e32 v35, 0x3fb8aa3b, v34
	v_fma_f32 v36, 0x3fb8aa3b, v34, -v35
	v_rndne_f32_e32 v37, v35
	s_delay_alu instid0(VALU_DEP_1) | instskip(SKIP_2) | instid1(VALU_DEP_3)
	v_dual_fmac_f32 v36, 0x32a5705f, v34 :: v_dual_sub_f32 v35, v35, v37
	v_sub_f32_e32 v26, v26, v32
	v_cvt_i32_f32_e32 v32, v37
	v_add_f32_e32 v35, v35, v36
	s_delay_alu instid0(VALU_DEP_3) | instskip(SKIP_4) | instid1(VALU_DEP_3)
	v_sub_f32_e32 v26, v27, v26
	v_cndmask_b32_e64 v27, |v28|, 1.0, s1
	v_cmp_neq_f32_e64 s1, 0x7f800000, |v31|
	v_trunc_f32_e32 v31, v29
	v_exp_f32_e32 v35, v35
	v_cmp_neq_f32_e64 s0, v29, v27
	s_delay_alu instid0(VALU_DEP_3) | instskip(SKIP_1) | instid1(VALU_DEP_3)
	v_cndmask_b32_e64 v26, 0, v26, s1
	v_cmp_ngt_f32_e64 s1, 0xc2ce8ed0, v34
	s_xor_b32 s0, s0, s3
	s_delay_alu instid0(VALU_DEP_2) | instskip(SKIP_4) | instid1(VALU_DEP_2)
	v_add_f32_e32 v26, v33, v26
	v_cmp_eq_f32_e64 s3, 1.0, v30
	s_waitcnt_depctr 0xfff
	v_ldexp_f32 v28, v35, v32
	v_mul_f32_e32 v32, 0.5, v29
	v_cndmask_b32_e64 v28, 0, v28, s1
	v_cmp_nlt_f32_e64 s1, 0x42b17218, v34
	s_delay_alu instid0(VALU_DEP_3) | instskip(NEXT) | instid1(VALU_DEP_2)
	v_trunc_f32_e32 v35, v32
	v_cndmask_b32_e64 v28, 0x7f800000, v28, s1
	v_cmp_eq_f32_e64 s1, v31, v29
	s_delay_alu instid0(VALU_DEP_3) | instskip(NEXT) | instid1(VALU_DEP_3)
	v_cmp_neq_f32_e64 s2, v35, v32
	v_fma_f32 v26, v28, v26, v28
	v_cmp_class_f32_e64 s4, v28, 0x204
	s_delay_alu instid0(VALU_DEP_3) | instskip(NEXT) | instid1(SALU_CYCLE_1)
	s_and_b32 s2, s1, s2
	v_cndmask_b32_e64 v31, 1.0, v24, s2
	v_cndmask_b32_e64 v33, 0, v24, s2
	s_delay_alu instid0(VALU_DEP_3)
	v_cndmask_b32_e64 v26, v26, v28, s4
	v_cmp_gt_f32_e64 s4, 0, v29
	v_cndmask_b32_e64 v28, v27, 0, s0
	v_cmp_eq_f32_e64 s0, 0, v24
	v_cmp_eq_f32_e64 s2, 0x7f800000, v27
	v_bfi_b32 v26, 0x7fffffff, v26, v31
	s_delay_alu instid0(VALU_DEP_4) | instskip(NEXT) | instid1(VALU_DEP_2)
	v_cndmask_b32_e64 v28, v28, v30, s3
	v_cndmask_b32_e64 v31, 0x7fc00000, v26, s1
	s_xor_b32 s1, s4, s0
	s_delay_alu instid0(SALU_CYCLE_1) | instskip(SKIP_1) | instid1(VALU_DEP_1)
	v_cndmask_b32_e64 v32, 0x7f800000, 0, s1
	v_cmp_gt_f32_e64 s1, 0, v24
	v_cndmask_b32_e64 v26, v26, v31, s1
	v_cmp_eq_f32_e64 s1, 0x7f800000, v30
	s_delay_alu instid0(VALU_DEP_4) | instskip(NEXT) | instid1(VALU_DEP_3)
	v_bfi_b32 v30, 0x7fffffff, v32, v33
	v_cndmask_b32_e64 v26, v26, v28, s2
	s_delay_alu instid0(VALU_DEP_3)
	s_or_b32 s0, s1, s0
	s_delay_alu instid0(VALU_DEP_1) | instid1(SALU_CYCLE_1)
	v_cndmask_b32_e64 v26, v26, v30, s0
	v_cmp_o_f32_e64 s0, v24, v29
	s_delay_alu instid0(VALU_DEP_1) | instskip(SKIP_1) | instid1(VALU_DEP_1)
	v_cndmask_b32_e64 v24, 0x7fc00000, v26, s0
	v_add_co_u32 v26, s0, v11, s30
	v_add_co_ci_u32_e64 v27, s0, s31, v12, s0
	global_store_b32 v[26:27], v24, off
	s_or_b32 exec_lo, exec_lo, s5
	s_and_saveexec_b32 s4, vcc_lo
	s_cbranch_execz .LBB138_8
.LBB138_24:                             ;   in Loop: Header=BB138_9 Depth=1
	s_waitcnt vmcnt(0)
	v_mul_f32_e32 v26, s29, v25
	v_cmp_eq_f32_e64 s0, 1.0, v23
	s_delay_alu instid0(VALU_DEP_1) | instskip(NEXT) | instid1(VALU_DEP_1)
	v_cndmask_b32_e64 v27, v26, 1.0, s0
	v_cmp_eq_f32_e32 vcc_lo, 0, v27
	v_cndmask_b32_e64 v28, |v23|, 1.0, vcc_lo
	v_cndmask_b32_e64 v23, v23, 1.0, vcc_lo
	s_delay_alu instid0(VALU_DEP_2) | instskip(SKIP_1) | instid1(VALU_DEP_2)
	v_frexp_mant_f32_e32 v24, v28
	v_cmp_gt_f32_e64 s2, 1.0, v28
	v_cmp_gt_f32_e64 s1, 0x3f2aaaab, v24
	s_delay_alu instid0(VALU_DEP_1) | instskip(NEXT) | instid1(VALU_DEP_1)
	v_cndmask_b32_e64 v25, 1.0, 2.0, s1
	v_mul_f32_e32 v24, v24, v25
	s_delay_alu instid0(VALU_DEP_1) | instskip(SKIP_1) | instid1(VALU_DEP_2)
	v_add_f32_e32 v25, 1.0, v24
	v_add_f32_e32 v30, -1.0, v24
	v_rcp_f32_e32 v29, v25
	v_add_f32_e32 v32, -1.0, v25
	s_waitcnt_depctr 0xfff
	v_mul_f32_e32 v31, v30, v29
	s_delay_alu instid0(VALU_DEP_1) | instskip(NEXT) | instid1(VALU_DEP_1)
	v_dual_mul_f32 v33, v25, v31 :: v_dual_sub_f32 v24, v24, v32
	v_fma_f32 v25, v31, v25, -v33
	s_delay_alu instid0(VALU_DEP_1) | instskip(NEXT) | instid1(VALU_DEP_1)
	v_fmac_f32_e32 v25, v31, v24
	v_add_f32_e32 v24, v33, v25
	s_delay_alu instid0(VALU_DEP_1) | instskip(NEXT) | instid1(VALU_DEP_1)
	v_dual_sub_f32 v33, v24, v33 :: v_dual_sub_f32 v32, v30, v24
	v_dual_sub_f32 v25, v33, v25 :: v_dual_sub_f32 v30, v30, v32
	s_delay_alu instid0(VALU_DEP_1) | instskip(NEXT) | instid1(VALU_DEP_1)
	v_sub_f32_e32 v24, v30, v24
	v_add_f32_e32 v24, v25, v24
	s_delay_alu instid0(VALU_DEP_1) | instskip(NEXT) | instid1(VALU_DEP_1)
	v_add_f32_e32 v24, v32, v24
	v_mul_f32_e32 v24, v29, v24
	s_delay_alu instid0(VALU_DEP_1) | instskip(NEXT) | instid1(VALU_DEP_1)
	v_add_f32_e32 v29, v31, v24
	v_sub_f32_e32 v25, v29, v31
	v_mul_f32_e32 v30, v29, v29
	s_delay_alu instid0(VALU_DEP_1) | instskip(NEXT) | instid1(VALU_DEP_3)
	v_fma_f32 v32, v29, v29, -v30
	v_sub_f32_e32 v31, v24, v25
	s_delay_alu instid0(VALU_DEP_1) | instskip(NEXT) | instid1(VALU_DEP_1)
	v_add_f32_e32 v24, v31, v31
	v_fmac_f32_e32 v32, v29, v24
	v_cvt_f64_f32_e32 v[24:25], v28
	s_delay_alu instid0(VALU_DEP_2) | instskip(NEXT) | instid1(VALU_DEP_1)
	v_add_f32_e32 v33, v30, v32
	v_fmaak_f32 v34, s13, v33, 0x3e91f4c4
	v_sub_f32_e32 v30, v33, v30
	s_delay_alu instid0(VALU_DEP_1) | instskip(NEXT) | instid1(VALU_DEP_3)
	v_dual_mul_f32 v37, v29, v33 :: v_dual_sub_f32 v30, v32, v30
	v_fmaak_f32 v34, v33, v34, 0x3ecccdef
	s_delay_alu instid0(VALU_DEP_1) | instskip(NEXT) | instid1(VALU_DEP_1)
	v_mul_f32_e32 v35, v33, v34
	v_fma_f32 v32, v33, v34, -v35
	s_delay_alu instid0(VALU_DEP_1) | instskip(NEXT) | instid1(VALU_DEP_1)
	v_fmac_f32_e32 v32, v30, v34
	v_add_f32_e32 v34, v35, v32
	v_frexp_exp_i32_f64_e32 v24, v[24:25]
	s_delay_alu instid0(VALU_DEP_2) | instskip(NEXT) | instid1(VALU_DEP_1)
	v_sub_f32_e32 v35, v34, v35
	v_sub_f32_e32 v25, v32, v35
	v_fma_f32 v35, v33, v29, -v37
	s_delay_alu instid0(VALU_DEP_2) | instskip(NEXT) | instid1(VALU_DEP_2)
	v_add_f32_e32 v25, 0x31739010, v25
	v_dual_add_f32 v36, 0x3f2aaaaa, v34 :: v_dual_fmac_f32 v35, v33, v31
	v_ldexp_f32 v31, v31, 1
	s_delay_alu instid0(VALU_DEP_2) | instskip(NEXT) | instid1(VALU_DEP_1)
	v_dual_add_f32 v32, 0xbf2aaaaa, v36 :: v_dual_fmac_f32 v35, v30, v29
	v_sub_f32_e32 v32, v34, v32
	s_delay_alu instid0(VALU_DEP_1) | instskip(NEXT) | instid1(VALU_DEP_3)
	v_add_f32_e32 v25, v25, v32
	v_add_f32_e32 v32, v37, v35
	s_delay_alu instid0(VALU_DEP_2) | instskip(SKIP_1) | instid1(VALU_DEP_2)
	v_add_f32_e32 v30, v36, v25
	v_subrev_co_ci_u32_e64 v24, s1, 0, v24, s1
	v_sub_f32_e32 v33, v36, v30
	s_delay_alu instid0(VALU_DEP_4) | instskip(NEXT) | instid1(VALU_DEP_3)
	v_mul_f32_e32 v34, v32, v30
	v_cvt_f32_i32_e32 v24, v24
	v_sub_f32_e32 v36, v32, v37
	s_delay_alu instid0(VALU_DEP_4) | instskip(NEXT) | instid1(VALU_DEP_4)
	v_add_f32_e32 v25, v25, v33
	v_fma_f32 v33, v32, v30, -v34
	s_delay_alu instid0(VALU_DEP_3) | instskip(NEXT) | instid1(VALU_DEP_2)
	v_sub_f32_e32 v35, v35, v36
	v_fmac_f32_e32 v33, v32, v25
	v_ldexp_f32 v25, v29, 1
	s_delay_alu instid0(VALU_DEP_2) | instskip(NEXT) | instid1(VALU_DEP_1)
	v_fmac_f32_e32 v33, v35, v30
	v_add_f32_e32 v29, v34, v33
	s_delay_alu instid0(VALU_DEP_1) | instskip(NEXT) | instid1(VALU_DEP_1)
	v_add_f32_e32 v30, v25, v29
	v_dual_sub_f32 v25, v30, v25 :: v_dual_sub_f32 v32, v29, v34
	s_delay_alu instid0(VALU_DEP_1) | instskip(NEXT) | instid1(VALU_DEP_2)
	v_dual_mul_f32 v34, 0x3f317218, v24 :: v_dual_sub_f32 v25, v29, v25
	v_sub_f32_e32 v32, v33, v32
	s_delay_alu instid0(VALU_DEP_2) | instskip(NEXT) | instid1(VALU_DEP_2)
	v_fma_f32 v33, 0x3f317218, v24, -v34
	v_add_f32_e32 v29, v31, v32
	s_delay_alu instid0(VALU_DEP_1) | instskip(NEXT) | instid1(VALU_DEP_1)
	v_dual_fmac_f32 v33, 0xb102e308, v24 :: v_dual_add_f32 v24, v29, v25
	v_add_f32_e32 v25, v34, v33
	s_delay_alu instid0(VALU_DEP_2) | instskip(NEXT) | instid1(VALU_DEP_1)
	v_add_f32_e32 v29, v30, v24
	v_add_f32_e32 v31, v25, v29
	v_sub_f32_e32 v34, v25, v34
	s_delay_alu instid0(VALU_DEP_1) | instskip(NEXT) | instid1(VALU_DEP_1)
	v_dual_sub_f32 v32, v31, v25 :: v_dual_sub_f32 v33, v33, v34
	v_dual_sub_f32 v35, v31, v32 :: v_dual_sub_f32 v30, v29, v30
	s_delay_alu instid0(VALU_DEP_1) | instskip(NEXT) | instid1(VALU_DEP_2)
	v_dual_sub_f32 v29, v29, v32 :: v_dual_sub_f32 v24, v24, v30
	v_sub_f32_e32 v25, v25, v35
	s_delay_alu instid0(VALU_DEP_2) | instskip(NEXT) | instid1(VALU_DEP_2)
	v_add_f32_e32 v30, v33, v24
	v_add_f32_e32 v25, v29, v25
	s_delay_alu instid0(VALU_DEP_2) | instskip(NEXT) | instid1(VALU_DEP_2)
	v_sub_f32_e32 v29, v30, v33
	v_add_f32_e32 v25, v30, v25
	s_delay_alu instid0(VALU_DEP_2) | instskip(NEXT) | instid1(VALU_DEP_2)
	v_sub_f32_e32 v30, v30, v29
	v_add_f32_e32 v32, v31, v25
	s_delay_alu instid0(VALU_DEP_2) | instskip(NEXT) | instid1(VALU_DEP_2)
	v_dual_sub_f32 v24, v24, v29 :: v_dual_sub_f32 v29, v33, v30
	v_sub_f32_e32 v30, v32, v31
	s_delay_alu instid0(VALU_DEP_1) | instskip(NEXT) | instid1(VALU_DEP_1)
	v_dual_add_f32 v24, v24, v29 :: v_dual_sub_f32 v25, v25, v30
	v_add_f32_e32 v24, v24, v25
	s_delay_alu instid0(VALU_DEP_1) | instskip(NEXT) | instid1(VALU_DEP_1)
	v_add_f32_e32 v25, v32, v24
	v_dual_sub_f32 v29, v25, v32 :: v_dual_mul_f32 v30, v27, v25
	s_delay_alu instid0(VALU_DEP_1) | instskip(NEXT) | instid1(VALU_DEP_2)
	v_sub_f32_e32 v24, v24, v29
	v_fma_f32 v25, v27, v25, -v30
	v_cmp_class_f32_e64 s1, v30, 0x204
	s_delay_alu instid0(VALU_DEP_2) | instskip(NEXT) | instid1(VALU_DEP_1)
	v_fmac_f32_e32 v25, v27, v24
	v_add_f32_e32 v24, v30, v25
	s_delay_alu instid0(VALU_DEP_1) | instskip(NEXT) | instid1(VALU_DEP_1)
	v_cndmask_b32_e64 v29, v24, v30, s1
	v_cmp_eq_f32_e64 s1, 0x42b17218, v29
	s_delay_alu instid0(VALU_DEP_1) | instskip(NEXT) | instid1(VALU_DEP_1)
	v_cndmask_b32_e64 v31, 0, 0x37000000, s1
	v_sub_f32_e32 v32, v29, v31
	s_delay_alu instid0(VALU_DEP_1) | instskip(NEXT) | instid1(VALU_DEP_1)
	v_mul_f32_e32 v33, 0x3fb8aa3b, v32
	v_fma_f32 v34, 0x3fb8aa3b, v32, -v33
	v_rndne_f32_e32 v35, v33
	s_delay_alu instid0(VALU_DEP_1) | instskip(SKIP_2) | instid1(VALU_DEP_3)
	v_dual_fmac_f32 v34, 0x32a5705f, v32 :: v_dual_sub_f32 v33, v33, v35
	v_sub_f32_e32 v24, v24, v30
	v_cvt_i32_f32_e32 v30, v35
	v_add_f32_e32 v33, v33, v34
	s_delay_alu instid0(VALU_DEP_3) | instskip(SKIP_4) | instid1(VALU_DEP_3)
	v_sub_f32_e32 v24, v25, v24
	v_cndmask_b32_e64 v25, |v26|, 1.0, s0
	v_cmp_neq_f32_e64 s0, 0x7f800000, |v29|
	v_trunc_f32_e32 v29, v27
	v_exp_f32_e32 v33, v33
	v_cmp_neq_f32_e32 vcc_lo, v27, v25
	s_delay_alu instid0(VALU_DEP_3) | instskip(SKIP_2) | instid1(VALU_DEP_2)
	v_cndmask_b32_e64 v24, 0, v24, s0
	v_cmp_ngt_f32_e64 s0, 0xc2ce8ed0, v32
	s_xor_b32 s2, vcc_lo, s2
	v_add_f32_e32 v24, v31, v24
	v_cmp_eq_f32_e32 vcc_lo, 0, v23
	s_waitcnt_depctr 0xfff
	v_ldexp_f32 v26, v33, v30
	v_mul_f32_e32 v30, 0.5, v27
	s_delay_alu instid0(VALU_DEP_2) | instskip(SKIP_1) | instid1(VALU_DEP_3)
	v_cndmask_b32_e64 v26, 0, v26, s0
	v_cmp_nlt_f32_e64 s0, 0x42b17218, v32
	v_trunc_f32_e32 v33, v30
	s_delay_alu instid0(VALU_DEP_2) | instskip(SKIP_1) | instid1(VALU_DEP_3)
	v_cndmask_b32_e64 v26, 0x7f800000, v26, s0
	v_cmp_eq_f32_e64 s0, v29, v27
	v_cmp_neq_f32_e64 s1, v33, v30
	s_delay_alu instid0(VALU_DEP_3) | instskip(SKIP_1) | instid1(VALU_DEP_3)
	v_fma_f32 v24, v26, v24, v26
	v_cmp_class_f32_e64 s3, v26, 0x204
	s_and_b32 s1, s0, s1
	s_delay_alu instid0(SALU_CYCLE_1) | instskip(SKIP_1) | instid1(VALU_DEP_3)
	v_cndmask_b32_e64 v29, 1.0, v23, s1
	v_cndmask_b32_e64 v31, 0, v23, s1
	v_cndmask_b32_e64 v24, v24, v26, s3
	v_cmp_gt_f32_e64 s3, 0, v27
	v_cndmask_b32_e64 v26, v25, 0, s2
	v_cmp_eq_f32_e64 s2, 1.0, v28
	v_cmp_eq_f32_e64 s1, 0x7f800000, v25
	v_bfi_b32 v24, 0x7fffffff, v24, v29
	s_delay_alu instid0(VALU_DEP_3) | instskip(NEXT) | instid1(VALU_DEP_2)
	v_cndmask_b32_e64 v26, v26, v28, s2
	v_cndmask_b32_e64 v29, 0x7fc00000, v24, s0
	s_xor_b32 s0, s3, vcc_lo
	s_delay_alu instid0(SALU_CYCLE_1) | instskip(SKIP_1) | instid1(VALU_DEP_1)
	v_cndmask_b32_e64 v30, 0x7f800000, 0, s0
	v_cmp_gt_f32_e64 s0, 0, v23
	v_cndmask_b32_e64 v24, v24, v29, s0
	v_cmp_eq_f32_e64 s0, 0x7f800000, v28
	s_delay_alu instid0(VALU_DEP_4) | instskip(NEXT) | instid1(VALU_DEP_3)
	v_bfi_b32 v28, 0x7fffffff, v30, v31
	v_cndmask_b32_e64 v24, v24, v26, s1
	s_delay_alu instid0(VALU_DEP_3) | instskip(NEXT) | instid1(VALU_DEP_1)
	s_or_b32 vcc_lo, s0, vcc_lo
	v_cndmask_b32_e32 v24, v24, v28, vcc_lo
	v_cmp_o_f32_e32 vcc_lo, v23, v27
	s_delay_alu instid0(VALU_DEP_2)
	v_cndmask_b32_e32 v25, 0x7fc00000, v24, vcc_lo
	v_add_co_u32 v23, vcc_lo, v5, s30
	v_add_co_ci_u32_e32 v24, vcc_lo, s31, v6, vcc_lo
	global_store_b32 v[23:24], v25, off
	s_branch .LBB138_8
.LBB138_25:
	s_nop 0
	s_sendmsg sendmsg(MSG_DEALLOC_VGPRS)
	s_endpgm
	.section	.rodata,"a",@progbits
	.p2align	6, 0x0
	.amdhsa_kernel _ZN2at6native12_GLOBAL__N_125multi_tensor_apply_kernelINS1_18TensorListMetadataILi2EEENS1_24BinaryOpListAlphaFunctorIfLi2ELi2ELi0EEEJNS1_13power_functorIfEEfEEEvT_T0_DpT1_
		.amdhsa_group_segment_fixed_size 0
		.amdhsa_private_segment_fixed_size 0
		.amdhsa_kernarg_size 3408
		.amdhsa_user_sgpr_count 15
		.amdhsa_user_sgpr_dispatch_ptr 0
		.amdhsa_user_sgpr_queue_ptr 0
		.amdhsa_user_sgpr_kernarg_segment_ptr 1
		.amdhsa_user_sgpr_dispatch_id 0
		.amdhsa_user_sgpr_private_segment_size 0
		.amdhsa_wavefront_size32 1
		.amdhsa_uses_dynamic_stack 0
		.amdhsa_enable_private_segment 0
		.amdhsa_system_sgpr_workgroup_id_x 1
		.amdhsa_system_sgpr_workgroup_id_y 0
		.amdhsa_system_sgpr_workgroup_id_z 0
		.amdhsa_system_sgpr_workgroup_info 0
		.amdhsa_system_vgpr_workitem_id 0
		.amdhsa_next_free_vgpr 74
		.amdhsa_next_free_sgpr 49
		.amdhsa_reserve_vcc 1
		.amdhsa_float_round_mode_32 0
		.amdhsa_float_round_mode_16_64 0
		.amdhsa_float_denorm_mode_32 3
		.amdhsa_float_denorm_mode_16_64 3
		.amdhsa_dx10_clamp 1
		.amdhsa_ieee_mode 1
		.amdhsa_fp16_overflow 0
		.amdhsa_workgroup_processor_mode 1
		.amdhsa_memory_ordered 1
		.amdhsa_forward_progress 0
		.amdhsa_shared_vgpr_count 0
		.amdhsa_exception_fp_ieee_invalid_op 0
		.amdhsa_exception_fp_denorm_src 0
		.amdhsa_exception_fp_ieee_div_zero 0
		.amdhsa_exception_fp_ieee_overflow 0
		.amdhsa_exception_fp_ieee_underflow 0
		.amdhsa_exception_fp_ieee_inexact 0
		.amdhsa_exception_int_div_zero 0
	.end_amdhsa_kernel
	.section	.text._ZN2at6native12_GLOBAL__N_125multi_tensor_apply_kernelINS1_18TensorListMetadataILi2EEENS1_24BinaryOpListAlphaFunctorIfLi2ELi2ELi0EEEJNS1_13power_functorIfEEfEEEvT_T0_DpT1_,"axG",@progbits,_ZN2at6native12_GLOBAL__N_125multi_tensor_apply_kernelINS1_18TensorListMetadataILi2EEENS1_24BinaryOpListAlphaFunctorIfLi2ELi2ELi0EEEJNS1_13power_functorIfEEfEEEvT_T0_DpT1_,comdat
.Lfunc_end138:
	.size	_ZN2at6native12_GLOBAL__N_125multi_tensor_apply_kernelINS1_18TensorListMetadataILi2EEENS1_24BinaryOpListAlphaFunctorIfLi2ELi2ELi0EEEJNS1_13power_functorIfEEfEEEvT_T0_DpT1_, .Lfunc_end138-_ZN2at6native12_GLOBAL__N_125multi_tensor_apply_kernelINS1_18TensorListMetadataILi2EEENS1_24BinaryOpListAlphaFunctorIfLi2ELi2ELi0EEEJNS1_13power_functorIfEEfEEEvT_T0_DpT1_
                                        ; -- End function
	.section	.AMDGPU.csdata,"",@progbits
; Kernel info:
; codeLenInByte = 10920
; NumSgprs: 51
; NumVgprs: 74
; ScratchSize: 0
; MemoryBound: 0
; FloatMode: 240
; IeeeMode: 1
; LDSByteSize: 0 bytes/workgroup (compile time only)
; SGPRBlocks: 6
; VGPRBlocks: 9
; NumSGPRsForWavesPerEU: 51
; NumVGPRsForWavesPerEU: 74
; Occupancy: 16
; WaveLimiterHint : 0
; COMPUTE_PGM_RSRC2:SCRATCH_EN: 0
; COMPUTE_PGM_RSRC2:USER_SGPR: 15
; COMPUTE_PGM_RSRC2:TRAP_HANDLER: 0
; COMPUTE_PGM_RSRC2:TGID_X_EN: 1
; COMPUTE_PGM_RSRC2:TGID_Y_EN: 0
; COMPUTE_PGM_RSRC2:TGID_Z_EN: 0
; COMPUTE_PGM_RSRC2:TIDIG_COMP_CNT: 0
	.text
	.p2align	2                               ; -- Begin function _ZNK2at6native12_GLOBAL__N_113power_functorIN3c107complexIdEEEclERKS5_S8_
	.type	_ZNK2at6native12_GLOBAL__N_113power_functorIN3c107complexIdEEEclERKS5_S8_,@function
_ZNK2at6native12_GLOBAL__N_113power_functorIN3c107complexIdEEEclERKS5_S8_: ; @_ZNK2at6native12_GLOBAL__N_113power_functorIN3c107complexIdEEEclERKS5_S8_
; %bb.0:
                                        ; implicit-def: $vgpr12_vgpr13
                                        ; implicit-def: $vgpr14_vgpr15
	s_waitcnt vmcnt(0) expcnt(0) lgkmcnt(0)
	s_mov_b32 s0, exec_lo
	v_cmpx_o_f64_e32 v[0:1], v[2:3]
	s_xor_b32 s11, exec_lo, s0
	s_cbranch_execz .LBB139_28
; %bb.1:
	v_cmp_lt_f64_e64 s0, |v[0:1]|, |v[2:3]|
	v_and_b32_e32 v8, 0x7fffffff, v1
	v_dual_mov_b32 v16, v2 :: v_dual_and_b32 v9, 0x7fffffff, v3
	s_mov_b32 s2, 0x85ebc8a0
	s_mov_b32 s3, 0x7fd1ccf3
                                        ; implicit-def: $vgpr12_vgpr13
                                        ; implicit-def: $vgpr14_vgpr15
	s_mov_b32 s1, exec_lo
	s_delay_alu instid0(VALU_DEP_1) | instskip(SKIP_1) | instid1(VALU_DEP_1)
	v_cndmask_b32_e64 v11, v9, v8, s0
	v_cndmask_b32_e64 v10, v16, v0, s0
	v_cmpx_nlt_f64_e32 s[2:3], v[10:11]
	s_xor_b32 s12, exec_lo, s1
	s_cbranch_execz .LBB139_25
; %bb.2:
	v_cndmask_b32_e64 v17, v8, v9, s0
	v_cndmask_b32_e64 v16, v0, v16, s0
                                        ; implicit-def: $vgpr12_vgpr13
                                        ; implicit-def: $vgpr14_vgpr15
	s_mov_b32 s1, exec_lo
	s_delay_alu instid0(VALU_DEP_1)
	v_cmpx_neq_f64_e32 1.0, v[16:17]
	s_xor_b32 s13, exec_lo, s1
	s_cbranch_execz .LBB139_18
; %bb.3:
	v_max_f64 v[8:9], v[10:11], v[10:11]
	v_max_f64 v[12:13], v[16:17], v[16:17]
	s_mov_b32 s2, 0x4ad4b81f
	s_mov_b32 s4, 0xc57e649a
	;; [unrolled: 1-line block ×4, first 2 shown]
	s_delay_alu instid0(VALU_DEP_1) | instskip(SKIP_1) | instid1(VALU_DEP_2)
	v_min_f64 v[14:15], v[12:13], v[8:9]
	v_max_f64 v[8:9], v[12:13], v[8:9]
                                        ; implicit-def: $vgpr12_vgpr13
	v_cmp_ngt_f64_e32 vcc_lo, s[2:3], v[14:15]
	s_delay_alu instid0(VALU_DEP_2) | instskip(NEXT) | instid1(VALU_DEP_1)
	v_cmp_nlt_f64_e64 s1, s[4:5], v[8:9]
                                        ; implicit-def: $vgpr14_vgpr15
	s_and_b32 s1, s1, vcc_lo
	s_delay_alu instid0(SALU_CYCLE_1) | instskip(NEXT) | instid1(SALU_CYCLE_1)
	s_and_saveexec_b32 s2, s1
	s_xor_b32 s14, exec_lo, s2
	s_cbranch_execz .LBB139_15
; %bb.4:
                                        ; implicit-def: $vgpr12_vgpr13
                                        ; implicit-def: $vgpr14_vgpr15
	s_mov_b32 s1, exec_lo
	v_cmpx_le_f64_e32 1.0, v[16:17]
	s_xor_b32 s4, exec_lo, s1
	s_cbranch_execz .LBB139_6
; %bb.5:
	v_add_f64 v[8:9], v[16:17], -1.0
	v_add_f64 v[12:13], v[16:17], 1.0
	s_mov_b32 s3, 0x3fe55555
	s_mov_b32 s2, 0x55555555
	;; [unrolled: 1-line block ×6, first 2 shown]
	v_cmp_gt_i32_e64 s1, 0, v1
	s_delay_alu instid0(VALU_DEP_2) | instskip(NEXT) | instid1(VALU_DEP_1)
	v_mul_f64 v[8:9], v[8:9], v[12:13]
	v_fma_f64 v[8:9], v[10:11], v[10:11], v[8:9]
	s_delay_alu instid0(VALU_DEP_1) | instskip(NEXT) | instid1(VALU_DEP_1)
	v_add_f64 v[10:11], v[8:9], 1.0
	v_frexp_mant_f64_e32 v[12:13], v[10:11]
	v_frexp_exp_i32_f64_e32 v16, v[10:11]
	v_add_f64 v[14:15], v[10:11], -1.0
	s_delay_alu instid0(VALU_DEP_3) | instskip(SKIP_1) | instid1(VALU_DEP_2)
	v_cmp_gt_f64_e32 vcc_lo, s[2:3], v[12:13]
	s_mov_b32 s2, 0x55555780
	v_add_f64 v[12:13], v[14:15], -v[10:11]
	v_add_f64 v[14:15], v[8:9], -v[14:15]
	v_subrev_co_ci_u32_e32 v48, vcc_lo, 0, v16, vcc_lo
	s_delay_alu instid0(VALU_DEP_3) | instskip(NEXT) | instid1(VALU_DEP_2)
	v_add_f64 v[12:13], v[12:13], 1.0
	v_sub_nc_u32_e32 v18, 0, v48
	s_delay_alu instid0(VALU_DEP_1) | instskip(NEXT) | instid1(VALU_DEP_3)
	v_ldexp_f64 v[10:11], v[10:11], v18
	v_add_f64 v[12:13], v[14:15], v[12:13]
	s_delay_alu instid0(VALU_DEP_2) | instskip(SKIP_1) | instid1(VALU_DEP_3)
	v_add_f64 v[16:17], v[10:11], 1.0
	v_add_f64 v[22:23], v[10:11], -1.0
	v_ldexp_f64 v[12:13], v[12:13], v18
	s_delay_alu instid0(VALU_DEP_3) | instskip(NEXT) | instid1(VALU_DEP_3)
	v_add_f64 v[14:15], v[16:17], -1.0
	v_add_f64 v[24:25], v[22:23], 1.0
	s_delay_alu instid0(VALU_DEP_2) | instskip(NEXT) | instid1(VALU_DEP_2)
	v_add_f64 v[14:15], v[10:11], -v[14:15]
	v_add_f64 v[10:11], v[10:11], -v[24:25]
	s_delay_alu instid0(VALU_DEP_2) | instskip(NEXT) | instid1(VALU_DEP_2)
	v_add_f64 v[14:15], v[12:13], v[14:15]
	v_add_f64 v[10:11], v[12:13], v[10:11]
	s_delay_alu instid0(VALU_DEP_2) | instskip(NEXT) | instid1(VALU_DEP_2)
	v_add_f64 v[18:19], v[16:17], v[14:15]
	v_add_f64 v[24:25], v[22:23], v[10:11]
	s_delay_alu instid0(VALU_DEP_2) | instskip(SKIP_1) | instid1(VALU_DEP_2)
	v_rcp_f64_e32 v[20:21], v[18:19]
	v_add_f64 v[16:17], v[18:19], -v[16:17]
	v_add_f64 v[22:23], v[24:25], -v[22:23]
	s_delay_alu instid0(VALU_DEP_2) | instskip(SKIP_3) | instid1(VALU_DEP_2)
	v_add_f64 v[14:15], v[14:15], -v[16:17]
	s_waitcnt_depctr 0xfff
	v_fma_f64 v[26:27], -v[18:19], v[20:21], 1.0
	v_add_f64 v[10:11], v[10:11], -v[22:23]
	v_fma_f64 v[20:21], v[26:27], v[20:21], v[20:21]
	s_delay_alu instid0(VALU_DEP_1) | instskip(NEXT) | instid1(VALU_DEP_1)
	v_fma_f64 v[12:13], -v[18:19], v[20:21], 1.0
	v_fma_f64 v[12:13], v[12:13], v[20:21], v[20:21]
	s_delay_alu instid0(VALU_DEP_1) | instskip(NEXT) | instid1(VALU_DEP_1)
	v_mul_f64 v[20:21], v[24:25], v[12:13]
	v_mul_f64 v[26:27], v[18:19], v[20:21]
	s_delay_alu instid0(VALU_DEP_1) | instskip(NEXT) | instid1(VALU_DEP_1)
	v_fma_f64 v[16:17], v[20:21], v[18:19], -v[26:27]
	v_fma_f64 v[16:17], v[20:21], v[14:15], v[16:17]
	s_delay_alu instid0(VALU_DEP_1) | instskip(NEXT) | instid1(VALU_DEP_1)
	v_add_f64 v[28:29], v[26:27], v[16:17]
	v_add_f64 v[30:31], v[24:25], -v[28:29]
	v_add_f64 v[22:23], v[28:29], -v[26:27]
	v_max_f64 v[26:27], |v[2:3]|, |v[2:3]|
	s_delay_alu instid0(VALU_DEP_3) | instskip(NEXT) | instid1(VALU_DEP_3)
	v_add_f64 v[24:25], v[24:25], -v[30:31]
	v_add_f64 v[16:17], v[22:23], -v[16:17]
	s_delay_alu instid0(VALU_DEP_2) | instskip(SKIP_1) | instid1(VALU_DEP_2)
	v_add_f64 v[24:25], v[24:25], -v[28:29]
	v_max_f64 v[28:29], |v[0:1]|, |v[0:1]|
	v_add_f64 v[10:11], v[10:11], v[24:25]
	s_delay_alu instid0(VALU_DEP_2) | instskip(SKIP_1) | instid1(VALU_DEP_3)
	v_max_f64 v[32:33], v[28:29], v[26:27]
	v_min_f64 v[26:27], v[28:29], v[26:27]
	v_add_f64 v[10:11], v[16:17], v[10:11]
	s_delay_alu instid0(VALU_DEP_1) | instskip(NEXT) | instid1(VALU_DEP_1)
	v_add_f64 v[16:17], v[30:31], v[10:11]
	v_mul_f64 v[22:23], v[12:13], v[16:17]
	v_add_f64 v[30:31], v[30:31], -v[16:17]
	s_delay_alu instid0(VALU_DEP_2) | instskip(NEXT) | instid1(VALU_DEP_2)
	v_mul_f64 v[24:25], v[18:19], v[22:23]
	v_add_f64 v[10:11], v[10:11], v[30:31]
	s_delay_alu instid0(VALU_DEP_2) | instskip(NEXT) | instid1(VALU_DEP_1)
	v_fma_f64 v[18:19], v[22:23], v[18:19], -v[24:25]
	v_fma_f64 v[14:15], v[22:23], v[14:15], v[18:19]
	v_div_scale_f64 v[18:19], null, v[32:33], v[32:33], v[26:27]
	s_delay_alu instid0(VALU_DEP_2) | instskip(NEXT) | instid1(VALU_DEP_2)
	v_add_f64 v[28:29], v[24:25], v[14:15]
	v_rcp_f64_e32 v[34:35], v[18:19]
	s_delay_alu instid0(VALU_DEP_1)
	v_add_f64 v[36:37], v[16:17], -v[28:29]
	v_add_f64 v[24:25], v[28:29], -v[24:25]
	s_waitcnt_depctr 0xfff
	v_fma_f64 v[38:39], -v[18:19], v[34:35], 1.0
	v_add_f64 v[16:17], v[16:17], -v[36:37]
	v_add_f64 v[14:15], v[24:25], -v[14:15]
	s_delay_alu instid0(VALU_DEP_3) | instskip(NEXT) | instid1(VALU_DEP_3)
	v_fma_f64 v[34:35], v[34:35], v[38:39], v[34:35]
	v_add_f64 v[16:17], v[16:17], -v[28:29]
	s_delay_alu instid0(VALU_DEP_2) | instskip(NEXT) | instid1(VALU_DEP_2)
	v_fma_f64 v[28:29], -v[18:19], v[34:35], 1.0
	v_add_f64 v[10:11], v[10:11], v[16:17]
	v_div_scale_f64 v[16:17], vcc_lo, v[26:27], v[32:33], v[26:27]
	s_delay_alu instid0(VALU_DEP_3) | instskip(SKIP_1) | instid1(VALU_DEP_4)
	v_fma_f64 v[24:25], v[34:35], v[28:29], v[34:35]
	v_add_f64 v[28:29], v[20:21], v[22:23]
	v_add_f64 v[10:11], v[14:15], v[10:11]
	s_delay_alu instid0(VALU_DEP_3) | instskip(NEXT) | instid1(VALU_DEP_3)
	v_mul_f64 v[14:15], v[16:17], v[24:25]
	v_add_f64 v[20:21], v[28:29], -v[20:21]
	s_delay_alu instid0(VALU_DEP_3) | instskip(NEXT) | instid1(VALU_DEP_3)
	v_add_f64 v[10:11], v[36:37], v[10:11]
	v_fma_f64 v[16:17], -v[18:19], v[14:15], v[16:17]
	s_delay_alu instid0(VALU_DEP_3) | instskip(NEXT) | instid1(VALU_DEP_3)
	v_add_f64 v[18:19], v[22:23], -v[20:21]
	v_mul_f64 v[10:11], v[12:13], v[10:11]
	s_delay_alu instid0(VALU_DEP_3) | instskip(SKIP_1) | instid1(VALU_DEP_3)
	v_div_fmas_f64 v[12:13], v[16:17], v[24:25], v[14:15]
	v_cmp_eq_f64_e32 vcc_lo, 0x7ff00000, v[8:9]
	v_add_f64 v[10:11], v[18:19], v[10:11]
	s_delay_alu instid0(VALU_DEP_3) | instskip(NEXT) | instid1(VALU_DEP_2)
	v_div_fixup_f64 v[12:13], v[12:13], v[32:33], v[26:27]
	v_add_f64 v[14:15], v[28:29], v[10:11]
	s_delay_alu instid0(VALU_DEP_2) | instskip(NEXT) | instid1(VALU_DEP_2)
	v_mul_f64 v[16:17], v[12:13], v[12:13]
	v_mul_f64 v[18:19], v[14:15], v[14:15]
	s_delay_alu instid0(VALU_DEP_2)
	v_fma_f64 v[20:21], v[16:17], s[8:9], s[6:7]
	s_mov_b32 s6, 0x6b47b09a
	s_mov_b32 s8, 0xbf559e2b
	;; [unrolled: 1-line block ×4, first 2 shown]
	s_delay_alu instid0(VALU_DEP_2) | instid1(SALU_CYCLE_1)
	v_fma_f64 v[22:23], v[18:19], s[8:9], s[6:7]
	s_mov_b32 s6, 0x69efb384
	s_mov_b32 s7, 0x3f4b2bb0
	v_mul_f64 v[24:25], v[14:15], v[18:19]
	s_delay_alu instid0(VALU_DEP_3)
	v_fma_f64 v[20:21], v[16:17], v[20:21], s[6:7]
	s_mov_b32 s6, 0xd7f4df2e
	s_mov_b32 s7, 0x3fc7474d
	s_delay_alu instid0(VALU_DEP_3) | instid1(SALU_CYCLE_1)
	v_fma_f64 v[22:23], v[18:19], v[22:23], s[6:7]
	s_mov_b32 s6, 0xaf56de9b
	s_mov_b32 s7, 0xbf67952d
	s_delay_alu instid0(VALU_DEP_2) | instid1(SALU_CYCLE_1)
	v_fma_f64 v[20:21], v[16:17], v[20:21], s[6:7]
	s_mov_b32 s6, 0x16291751
	s_mov_b32 s7, 0x3fcc71c0
	s_delay_alu instid0(VALU_DEP_2) | instid1(SALU_CYCLE_1)
	;; [unrolled: 4-line block ×7, first 2 shown]
	v_fma_f64 v[20:21], v[16:17], v[20:21], s[6:7]
	s_mov_b32 s6, 0x6ef28734
	s_mov_b32 s7, 0x3fa82d5d
	s_delay_alu instid0(VALU_DEP_2) | instskip(SKIP_3) | instid1(VALU_DEP_3)
	v_fma_f64 v[18:19], v[18:19], v[22:23], s[2:3]
	s_mov_b32 s2, 0xfc27006a
	s_mov_b32 s3, 0xbf9e9ae6
	v_ldexp_f64 v[22:23], v[14:15], 1
	v_fma_f64 v[20:21], v[16:17], v[20:21], s[2:3]
	s_mov_b32 s2, 0x5711927a
	s_mov_b32 s3, 0x3fa2c15b
	v_add_f64 v[14:15], v[14:15], -v[28:29]
	s_delay_alu instid0(VALU_DEP_4) | instskip(SKIP_1) | instid1(VALU_DEP_4)
	v_mul_f64 v[18:19], v[24:25], v[18:19]
	v_cvt_f64_i32_e32 v[24:25], v48
	v_fma_f64 v[20:21], v[16:17], v[20:21], s[2:3]
	s_mov_b32 s2, 0xe82d3ff0
	s_mov_b32 s3, 0xbfa59976
	s_delay_alu instid0(VALU_DEP_4) | instskip(NEXT) | instid1(VALU_DEP_4)
	v_add_f64 v[10:11], v[10:11], -v[14:15]
	v_add_f64 v[26:27], v[22:23], v[18:19]
	s_delay_alu instid0(VALU_DEP_3) | instskip(SKIP_2) | instid1(VALU_DEP_3)
	v_fma_f64 v[20:21], v[16:17], v[20:21], s[2:3]
	s_mov_b32 s2, 0xfefa39ef
	s_mov_b32 s3, 0x3fe62e42
	v_ldexp_f64 v[10:11], v[10:11], 1
	v_mul_f64 v[28:29], v[24:25], s[2:3]
	s_delay_alu instid0(VALU_DEP_4) | instskip(NEXT) | instid1(VALU_DEP_4)
	v_add_f64 v[14:15], v[26:27], -v[22:23]
	v_fma_f64 v[20:21], v[16:17], v[20:21], s[6:7]
	s_delay_alu instid0(VALU_DEP_3) | instskip(SKIP_2) | instid1(VALU_DEP_3)
	v_fma_f64 v[22:23], v[24:25], s[2:3], -v[28:29]
	s_mov_b32 s2, 0x6a214619
	s_mov_b32 s3, 0xbfaae5ce
	v_add_f64 v[14:15], v[18:19], -v[14:15]
	s_delay_alu instid0(VALU_DEP_3)
	v_fma_f64 v[18:19], v[16:17], v[20:21], s[2:3]
	s_mov_b32 s2, 0x3b39803f
	s_mov_b32 s3, 0x3c7abc9e
	s_delay_alu instid0(VALU_DEP_3) | instid1(SALU_CYCLE_1)
	v_fma_f64 v[20:21], v[24:25], s[2:3], v[22:23]
	s_mov_b32 s2, 0x8427b883
	s_mov_b32 s3, 0x3fae1bb4
	s_delay_alu instid0(VALU_DEP_3) | instskip(NEXT) | instid1(VALU_DEP_3)
	v_add_f64 v[10:11], v[10:11], v[14:15]
	v_fma_f64 v[14:15], v[16:17], v[18:19], s[2:3]
	s_mov_b32 s2, 0x8b207f05
	s_mov_b32 s3, 0xbfb110e4
	s_delay_alu instid0(VALU_DEP_3) | instskip(NEXT) | instid1(VALU_DEP_3)
	v_add_f64 v[18:19], v[28:29], v[20:21]
	v_add_f64 v[22:23], v[26:27], v[10:11]
	s_delay_alu instid0(VALU_DEP_3) | instskip(SKIP_2) | instid1(VALU_DEP_3)
	v_fma_f64 v[14:15], v[16:17], v[14:15], s[2:3]
	s_mov_b32 s2, 0x57b87036
	s_mov_b32 s3, 0x3fb3b136
	v_add_f64 v[28:29], v[18:19], -v[28:29]
	s_delay_alu instid0(VALU_DEP_3) | instskip(SKIP_1) | instid1(VALU_DEP_4)
	v_add_f64 v[24:25], v[18:19], v[22:23]
	v_add_f64 v[26:27], v[22:23], -v[26:27]
	v_fma_f64 v[14:15], v[16:17], v[14:15], s[2:3]
	s_mov_b32 s2, 0x19378e4f
	s_mov_b32 s3, 0xbfb745d1
	s_delay_alu instid0(VALU_DEP_4) | instskip(NEXT) | instid1(VALU_DEP_4)
	v_add_f64 v[20:21], v[20:21], -v[28:29]
	v_add_f64 v[30:31], v[24:25], -v[18:19]
	s_delay_alu instid0(VALU_DEP_4) | instskip(NEXT) | instid1(VALU_DEP_4)
	v_add_f64 v[10:11], v[10:11], -v[26:27]
	v_fma_f64 v[14:15], v[16:17], v[14:15], s[2:3]
	s_mov_b32 s2, 0x17e1913c
	s_mov_b32 s3, 0x3fbc71c7
	s_delay_alu instid0(VALU_DEP_3) | instskip(SKIP_1) | instid1(VALU_DEP_4)
	v_add_f64 v[32:33], v[24:25], -v[30:31]
	v_add_f64 v[22:23], v[22:23], -v[30:31]
	v_add_f64 v[26:27], v[20:21], v[10:11]
	s_delay_alu instid0(VALU_DEP_4) | instskip(SKIP_2) | instid1(VALU_DEP_4)
	v_fma_f64 v[14:15], v[16:17], v[14:15], s[2:3]
	s_mov_b32 s2, 0x92376b7d
	s_mov_b32 s3, 0xbfc24924
	v_add_f64 v[18:19], v[18:19], -v[32:33]
	s_delay_alu instid0(VALU_DEP_2) | instskip(SKIP_2) | instid1(VALU_DEP_2)
	v_fma_f64 v[14:15], v[16:17], v[14:15], s[2:3]
	s_mov_b32 s2, 0x999952cc
	s_mov_b32 s3, 0x3fc99999
	v_add_f64 v[18:19], v[22:23], v[18:19]
	v_add_f64 v[22:23], v[26:27], -v[20:21]
	s_delay_alu instid0(VALU_DEP_3) | instskip(SKIP_2) | instid1(VALU_DEP_3)
	v_fma_f64 v[14:15], v[16:17], v[14:15], s[2:3]
	s_mov_b32 s2, 0x55555523
	s_mov_b32 s3, 0xbfd55555
	v_add_f64 v[18:19], v[26:27], v[18:19]
	s_delay_alu instid0(VALU_DEP_3) | instskip(SKIP_1) | instid1(VALU_DEP_4)
	v_add_f64 v[26:27], v[26:27], -v[22:23]
	v_add_f64 v[10:11], v[10:11], -v[22:23]
	v_fma_f64 v[14:15], v[16:17], v[14:15], s[2:3]
	s_mov_b32 s2, 0x54442d18
	s_mov_b32 s3, 0x3ff921fb
	s_delay_alu instid0(VALU_DEP_4) | instskip(NEXT) | instid1(VALU_DEP_2)
	v_add_f64 v[28:29], v[24:25], v[18:19]
	v_mul_f64 v[14:15], v[16:17], v[14:15]
	v_add_f64 v[16:17], v[20:21], -v[26:27]
	s_delay_alu instid0(VALU_DEP_3) | instskip(NEXT) | instid1(VALU_DEP_3)
	v_add_f64 v[20:21], v[28:29], -v[24:25]
	v_fma_f64 v[12:13], v[12:13], v[14:15], v[12:13]
	s_delay_alu instid0(VALU_DEP_3) | instskip(NEXT) | instid1(VALU_DEP_3)
	v_add_f64 v[10:11], v[10:11], v[16:17]
	v_add_f64 v[14:15], v[18:19], -v[20:21]
	s_delay_alu instid0(VALU_DEP_3) | instskip(SKIP_1) | instid1(VALU_DEP_2)
	v_add_f64 v[16:17], -v[12:13], s[2:3]
	s_mov_b32 s3, 0x400921fb
	v_add_f64 v[10:11], v[10:11], v[14:15]
	s_delay_alu instid0(VALU_DEP_2) | instskip(NEXT) | instid1(VALU_DEP_3)
	v_cndmask_b32_e64 v13, v13, v17, s0
	v_cndmask_b32_e64 v12, v12, v16, s0
	v_ashrrev_i32_e32 v17, 31, v1
	s_delay_alu instid0(VALU_DEP_2) | instskip(SKIP_2) | instid1(VALU_DEP_4)
	v_add_f64 v[14:15], -v[12:13], s[2:3]
	v_cmp_class_f64_e64 s3, v[0:1], 0x204
	v_cmp_class_f64_e64 s2, v[2:3], 0x204
	v_and_b32_e32 v1, 0x400921fb, v17
	v_add_f64 v[10:11], v[28:29], v[10:11]
	v_mov_b32_e32 v16, 0x7f3321d2
	v_cndmask_b32_e64 v13, v13, v15, s1
	v_cndmask_b32_e64 v12, v12, v14, s1
	s_delay_alu instid0(VALU_DEP_4) | instskip(SKIP_3) | instid1(VALU_DEP_4)
	v_dual_cndmask_b32 v11, v11, v9 :: v_dual_cndmask_b32 v10, v10, v8
	v_cmp_eq_f64_e32 vcc_lo, 0, v[2:3]
	v_mov_b32_e32 v0, 0x4002d97c
	v_cndmask_b32_e64 v16, 0x54442d18, v16, s1
	v_mul_f64 v[10:11], v[10:11], 0.5
	v_cndmask_b32_e32 v1, v13, v1, vcc_lo
	s_delay_alu instid0(VALU_DEP_4) | instskip(SKIP_1) | instid1(VALU_DEP_2)
	v_cndmask_b32_e64 v0, 0x3fe921fb, v0, s1
	v_cmp_nge_f64_e64 s1, -1.0, v[8:9]
	v_bfi_b32 v0, 0x7fffffff, v0, v3
	v_and_b32_e32 v18, 0x54442d18, v17
	s_delay_alu instid0(VALU_DEP_1)
	v_cndmask_b32_e32 v14, v12, v18, vcc_lo
	v_cmp_ngt_f64_e32 vcc_lo, -1.0, v[8:9]
	v_cndmask_b32_e64 v12, 0, v10, s1
	v_cmp_neq_f64_e64 s1, -1.0, v[8:9]
	v_cndmask_b32_e32 v11, 0x7ff80000, v11, vcc_lo
	s_and_b32 vcc_lo, s3, s2
	v_cndmask_b32_e32 v15, v1, v0, vcc_lo
	v_cndmask_b32_e32 v14, v14, v16, vcc_lo
                                        ; implicit-def: $vgpr0_vgpr1
                                        ; implicit-def: $vgpr16_vgpr17
	s_delay_alu instid0(VALU_DEP_3)
	v_cndmask_b32_e64 v13, 0xfff00000, v11, s1
                                        ; implicit-def: $vgpr10_vgpr11
.LBB139_6:
	s_and_not1_saveexec_b32 s15, s4
	s_cbranch_execz .LBB139_14
; %bb.7:
	v_mul_f64 v[8:9], v[10:11], v[10:11]
	s_mov_b32 s2, 0x66666666
	s_mov_b32 s3, 0x3fe66666
                                        ; implicit-def: $vgpr12_vgpr13
                                        ; implicit-def: $vgpr14_vgpr15
	s_mov_b32 s1, exec_lo
	s_delay_alu instid0(VALU_DEP_1) | instskip(NEXT) | instid1(VALU_DEP_1)
	v_fma_f64 v[8:9], v[16:17], v[16:17], v[8:9]
	v_cmpx_ge_f64_e32 s[2:3], v[8:9]
	s_xor_b32 s4, exec_lo, s1
	s_cbranch_execz .LBB139_9
; %bb.8:
	v_frexp_mant_f64_e32 v[10:11], v[8:9]
	s_mov_b32 s3, 0x3fe55555
	s_mov_b32 s2, 0x55555555
	v_mov_b32_e32 v12, 0
	v_max_f64 v[20:21], |v[0:1]|, |v[0:1]|
	s_mov_b32 s6, 0xbd3237f4
	s_mov_b32 s8, 0xb5e68a13
	;; [unrolled: 1-line block ×4, first 2 shown]
	v_cmp_class_f64_e64 s5, v[0:1], 0x204
	s_delay_alu instid0(VALU_DEP_4) | instskip(SKIP_1) | instid1(VALU_DEP_1)
	v_cmp_gt_f64_e64 s1, s[2:3], v[10:11]
	s_mov_b32 s2, 0x55555780
	v_cndmask_b32_e64 v13, 0x3ff00000, 2.0, s1
	s_delay_alu instid0(VALU_DEP_1) | instskip(NEXT) | instid1(VALU_DEP_1)
	v_mul_f64 v[10:11], v[10:11], v[12:13]
	v_add_f64 v[12:13], v[10:11], 1.0
	v_add_f64 v[18:19], v[10:11], -1.0
	s_delay_alu instid0(VALU_DEP_2) | instskip(SKIP_2) | instid1(VALU_DEP_1)
	v_rcp_f64_e32 v[14:15], v[12:13]
	s_waitcnt_depctr 0xfff
	v_fma_f64 v[16:17], -v[12:13], v[14:15], 1.0
	v_fma_f64 v[14:15], v[16:17], v[14:15], v[14:15]
	s_delay_alu instid0(VALU_DEP_1) | instskip(NEXT) | instid1(VALU_DEP_1)
	v_fma_f64 v[16:17], -v[12:13], v[14:15], 1.0
	v_fma_f64 v[14:15], v[16:17], v[14:15], v[14:15]
	v_max_f64 v[16:17], |v[2:3]|, |v[2:3]|
	s_delay_alu instid0(VALU_DEP_2) | instskip(NEXT) | instid1(VALU_DEP_2)
	v_mul_f64 v[22:23], v[18:19], v[14:15]
	v_max_f64 v[24:25], v[20:21], v[16:17]
	v_min_f64 v[16:17], v[20:21], v[16:17]
	v_add_f64 v[20:21], v[12:13], -1.0
	s_delay_alu instid0(VALU_DEP_4) | instskip(NEXT) | instid1(VALU_DEP_3)
	v_mul_f64 v[26:27], v[12:13], v[22:23]
	v_div_scale_f64 v[28:29], null, v[24:25], v[24:25], v[16:17]
	s_delay_alu instid0(VALU_DEP_3) | instskip(SKIP_1) | instid1(VALU_DEP_4)
	v_add_f64 v[10:11], v[10:11], -v[20:21]
	v_div_scale_f64 v[34:35], vcc_lo, v[16:17], v[24:25], v[16:17]
	v_fma_f64 v[12:13], v[22:23], v[12:13], -v[26:27]
	s_delay_alu instid0(VALU_DEP_4) | instskip(NEXT) | instid1(VALU_DEP_1)
	v_rcp_f64_e32 v[20:21], v[28:29]
	v_fma_f64 v[10:11], v[22:23], v[10:11], v[12:13]
	s_waitcnt_depctr 0xfff
	v_fma_f64 v[12:13], -v[28:29], v[20:21], 1.0
	v_add_f64 v[30:31], v[26:27], v[10:11]
	s_delay_alu instid0(VALU_DEP_2) | instskip(NEXT) | instid1(VALU_DEP_2)
	v_fma_f64 v[12:13], v[20:21], v[12:13], v[20:21]
	v_add_f64 v[20:21], v[18:19], -v[30:31]
	v_add_f64 v[26:27], v[30:31], -v[26:27]
	s_delay_alu instid0(VALU_DEP_3) | instskip(NEXT) | instid1(VALU_DEP_3)
	v_fma_f64 v[32:33], -v[28:29], v[12:13], 1.0
	v_add_f64 v[18:19], v[18:19], -v[20:21]
	s_delay_alu instid0(VALU_DEP_3) | instskip(NEXT) | instid1(VALU_DEP_3)
	v_add_f64 v[10:11], v[26:27], -v[10:11]
	v_fma_f64 v[12:13], v[12:13], v[32:33], v[12:13]
	s_delay_alu instid0(VALU_DEP_3) | instskip(NEXT) | instid1(VALU_DEP_2)
	v_add_f64 v[18:19], v[18:19], -v[30:31]
	v_mul_f64 v[26:27], v[34:35], v[12:13]
	s_delay_alu instid0(VALU_DEP_2) | instskip(NEXT) | instid1(VALU_DEP_2)
	v_add_f64 v[10:11], v[10:11], v[18:19]
	v_fma_f64 v[18:19], -v[28:29], v[26:27], v[34:35]
	v_frexp_exp_i32_f64_e32 v28, v[8:9]
	s_delay_alu instid0(VALU_DEP_3) | instskip(NEXT) | instid1(VALU_DEP_3)
	v_add_f64 v[10:11], v[20:21], v[10:11]
	v_div_fmas_f64 v[12:13], v[18:19], v[12:13], v[26:27]
	s_delay_alu instid0(VALU_DEP_2) | instskip(NEXT) | instid1(VALU_DEP_2)
	v_mul_f64 v[10:11], v[14:15], v[10:11]
	v_div_fixup_f64 v[12:13], v[12:13], v[24:25], v[16:17]
	s_delay_alu instid0(VALU_DEP_2) | instskip(NEXT) | instid1(VALU_DEP_2)
	v_add_f64 v[14:15], v[22:23], v[10:11]
	v_mul_f64 v[16:17], v[12:13], v[12:13]
	s_delay_alu instid0(VALU_DEP_2) | instskip(NEXT) | instid1(VALU_DEP_2)
	v_mul_f64 v[18:19], v[14:15], v[14:15]
	v_fma_f64 v[20:21], v[16:17], s[8:9], s[6:7]
	s_mov_b32 s6, 0x6b47b09a
	s_mov_b32 s8, 0xbf559e2b
	;; [unrolled: 1-line block ×4, first 2 shown]
	s_delay_alu instid0(VALU_DEP_2) | instid1(SALU_CYCLE_1)
	v_fma_f64 v[24:25], v[18:19], s[8:9], s[6:7]
	s_mov_b32 s6, 0x69efb384
	s_mov_b32 s7, 0x3f4b2bb0
	v_mul_f64 v[26:27], v[14:15], v[18:19]
	s_delay_alu instid0(VALU_DEP_3)
	v_fma_f64 v[20:21], v[16:17], v[20:21], s[6:7]
	s_mov_b32 s6, 0xd7f4df2e
	s_mov_b32 s7, 0x3fc7474d
	s_delay_alu instid0(VALU_DEP_3) | instid1(SALU_CYCLE_1)
	v_fma_f64 v[24:25], v[18:19], v[24:25], s[6:7]
	s_mov_b32 s6, 0xaf56de9b
	s_mov_b32 s7, 0xbf67952d
	s_delay_alu instid0(VALU_DEP_2) | instid1(SALU_CYCLE_1)
	v_fma_f64 v[20:21], v[16:17], v[20:21], s[6:7]
	s_mov_b32 s6, 0x16291751
	s_mov_b32 s7, 0x3fcc71c0
	s_delay_alu instid0(VALU_DEP_2) | instid1(SALU_CYCLE_1)
	v_fma_f64 v[24:25], v[18:19], v[24:25], s[6:7]
	s_mov_b32 s6, 0xa595c56f
	s_mov_b32 s7, 0x3f7d6d43
	s_delay_alu instid0(VALU_DEP_2) | instid1(SALU_CYCLE_1)
	v_fma_f64 v[20:21], v[16:17], v[20:21], s[6:7]
	s_mov_b32 s6, 0x9b27acf1
	s_mov_b32 s7, 0x3fd24924
	s_delay_alu instid0(VALU_DEP_2) | instid1(SALU_CYCLE_1)
	v_fma_f64 v[24:25], v[18:19], v[24:25], s[6:7]
	s_mov_b32 s6, 0xa57d9582
	s_mov_b32 s7, 0xbf8c6ea4
	s_delay_alu instid0(VALU_DEP_2) | instid1(SALU_CYCLE_1)
	v_fma_f64 v[20:21], v[16:17], v[20:21], s[6:7]
	s_mov_b32 s6, 0x998ef7b6
	s_mov_b32 s7, 0x3fd99999
	s_delay_alu instid0(VALU_DEP_2) | instid1(SALU_CYCLE_1)
	v_fma_f64 v[24:25], v[18:19], v[24:25], s[6:7]
	s_mov_b32 s6, 0x5f08b19f
	s_mov_b32 s7, 0x3f967e29
	s_delay_alu instid0(VALU_DEP_2) | instid1(SALU_CYCLE_1)
	v_fma_f64 v[20:21], v[16:17], v[20:21], s[6:7]
	s_mov_b32 s6, 0x6ef28734
	s_mov_b32 s7, 0x3fa82d5d
	s_delay_alu instid0(VALU_DEP_2) | instskip(SKIP_3) | instid1(VALU_DEP_3)
	v_fma_f64 v[18:19], v[18:19], v[24:25], s[2:3]
	s_mov_b32 s2, 0xfc27006a
	s_mov_b32 s3, 0xbf9e9ae6
	v_ldexp_f64 v[24:25], v[14:15], 1
	v_fma_f64 v[20:21], v[16:17], v[20:21], s[2:3]
	s_mov_b32 s2, 0x5711927a
	s_mov_b32 s3, 0x3fa2c15b
	v_add_f64 v[14:15], v[14:15], -v[22:23]
	s_delay_alu instid0(VALU_DEP_4) | instskip(SKIP_4) | instid1(VALU_DEP_3)
	v_mul_f64 v[18:19], v[26:27], v[18:19]
	v_subrev_co_ci_u32_e64 v26, vcc_lo, 0, v28, s1
	v_cmp_eq_f64_e64 s1, 0, v[2:3]
	v_fma_f64 v[20:21], v[16:17], v[20:21], s[2:3]
	s_mov_b32 s2, 0xe82d3ff0
	v_cvt_f64_i32_e32 v[26:27], v26
	s_mov_b32 s3, 0xbfa59976
	v_add_f64 v[10:11], v[10:11], -v[14:15]
	v_cmp_gt_i32_e32 vcc_lo, 0, v1
	v_add_f64 v[22:23], v[24:25], v[18:19]
	v_fma_f64 v[20:21], v[16:17], v[20:21], s[2:3]
	s_mov_b32 s2, 0xfefa39ef
	s_mov_b32 s3, 0x3fe62e42
	s_delay_alu instid0(SALU_CYCLE_1) | instskip(SKIP_1) | instid1(VALU_DEP_4)
	v_mul_f64 v[28:29], v[26:27], s[2:3]
	v_ldexp_f64 v[10:11], v[10:11], 1
	v_add_f64 v[14:15], v[22:23], -v[24:25]
	s_delay_alu instid0(VALU_DEP_4) | instskip(NEXT) | instid1(VALU_DEP_4)
	v_fma_f64 v[20:21], v[16:17], v[20:21], s[6:7]
	v_fma_f64 v[24:25], v[26:27], s[2:3], -v[28:29]
	s_mov_b32 s2, 0x6a214619
	s_mov_b32 s3, 0xbfaae5ce
	s_delay_alu instid0(VALU_DEP_3) | instskip(NEXT) | instid1(VALU_DEP_3)
	v_add_f64 v[14:15], v[18:19], -v[14:15]
	v_fma_f64 v[18:19], v[16:17], v[20:21], s[2:3]
	s_mov_b32 s2, 0x3b39803f
	s_mov_b32 s3, 0x3c7abc9e
	s_delay_alu instid0(VALU_DEP_3) | instid1(SALU_CYCLE_1)
	v_fma_f64 v[20:21], v[26:27], s[2:3], v[24:25]
	s_mov_b32 s2, 0x8427b883
	s_mov_b32 s3, 0x3fae1bb4
	s_delay_alu instid0(VALU_DEP_3) | instskip(NEXT) | instid1(VALU_DEP_3)
	v_add_f64 v[10:11], v[10:11], v[14:15]
	v_fma_f64 v[14:15], v[16:17], v[18:19], s[2:3]
	s_mov_b32 s2, 0x8b207f05
	s_mov_b32 s3, 0xbfb110e4
	s_delay_alu instid0(VALU_DEP_3) | instskip(NEXT) | instid1(VALU_DEP_3)
	v_add_f64 v[18:19], v[28:29], v[20:21]
	v_add_f64 v[24:25], v[22:23], v[10:11]
	s_delay_alu instid0(VALU_DEP_3) | instskip(SKIP_2) | instid1(VALU_DEP_3)
	v_fma_f64 v[14:15], v[16:17], v[14:15], s[2:3]
	s_mov_b32 s2, 0x57b87036
	s_mov_b32 s3, 0x3fb3b136
	v_add_f64 v[28:29], v[18:19], -v[28:29]
	s_delay_alu instid0(VALU_DEP_3) | instskip(SKIP_1) | instid1(VALU_DEP_4)
	v_add_f64 v[26:27], v[18:19], v[24:25]
	v_add_f64 v[22:23], v[24:25], -v[22:23]
	v_fma_f64 v[14:15], v[16:17], v[14:15], s[2:3]
	s_mov_b32 s2, 0x19378e4f
	s_mov_b32 s3, 0xbfb745d1
	s_delay_alu instid0(VALU_DEP_4) | instskip(NEXT) | instid1(VALU_DEP_4)
	v_add_f64 v[20:21], v[20:21], -v[28:29]
	v_add_f64 v[30:31], v[26:27], -v[18:19]
	s_delay_alu instid0(VALU_DEP_4) | instskip(NEXT) | instid1(VALU_DEP_4)
	v_add_f64 v[10:11], v[10:11], -v[22:23]
	v_fma_f64 v[14:15], v[16:17], v[14:15], s[2:3]
	s_mov_b32 s2, 0x17e1913c
	s_mov_b32 s3, 0x3fbc71c7
	s_delay_alu instid0(VALU_DEP_3) | instskip(SKIP_1) | instid1(VALU_DEP_4)
	v_add_f64 v[32:33], v[26:27], -v[30:31]
	v_add_f64 v[22:23], v[24:25], -v[30:31]
	v_add_f64 v[24:25], v[20:21], v[10:11]
	s_delay_alu instid0(VALU_DEP_4) | instskip(SKIP_2) | instid1(VALU_DEP_4)
	v_fma_f64 v[14:15], v[16:17], v[14:15], s[2:3]
	s_mov_b32 s2, 0x92376b7d
	s_mov_b32 s3, 0xbfc24924
	v_add_f64 v[18:19], v[18:19], -v[32:33]
	s_delay_alu instid0(VALU_DEP_2) | instskip(SKIP_2) | instid1(VALU_DEP_2)
	v_fma_f64 v[14:15], v[16:17], v[14:15], s[2:3]
	s_mov_b32 s2, 0x999952cc
	s_mov_b32 s3, 0x3fc99999
	v_add_f64 v[18:19], v[22:23], v[18:19]
	v_add_f64 v[22:23], v[24:25], -v[20:21]
	s_delay_alu instid0(VALU_DEP_3) | instskip(SKIP_2) | instid1(VALU_DEP_3)
	v_fma_f64 v[14:15], v[16:17], v[14:15], s[2:3]
	s_mov_b32 s2, 0x55555523
	s_mov_b32 s3, 0xbfd55555
	v_add_f64 v[18:19], v[24:25], v[18:19]
	s_delay_alu instid0(VALU_DEP_3) | instskip(SKIP_1) | instid1(VALU_DEP_4)
	v_add_f64 v[24:25], v[24:25], -v[22:23]
	v_add_f64 v[10:11], v[10:11], -v[22:23]
	v_fma_f64 v[14:15], v[16:17], v[14:15], s[2:3]
	s_mov_b32 s2, 0x54442d18
	s_mov_b32 s3, 0x3ff921fb
	s_delay_alu instid0(VALU_DEP_4) | instskip(NEXT) | instid1(VALU_DEP_2)
	v_add_f64 v[28:29], v[26:27], v[18:19]
	v_mul_f64 v[14:15], v[16:17], v[14:15]
	v_add_f64 v[16:17], v[20:21], -v[24:25]
	s_delay_alu instid0(VALU_DEP_3) | instskip(NEXT) | instid1(VALU_DEP_3)
	v_add_f64 v[20:21], v[28:29], -v[26:27]
	v_fma_f64 v[12:13], v[12:13], v[14:15], v[12:13]
	s_delay_alu instid0(VALU_DEP_3) | instskip(NEXT) | instid1(VALU_DEP_3)
	v_add_f64 v[10:11], v[10:11], v[16:17]
	v_add_f64 v[14:15], v[18:19], -v[20:21]
	s_delay_alu instid0(VALU_DEP_3) | instskip(SKIP_1) | instid1(VALU_DEP_2)
	v_add_f64 v[16:17], -v[12:13], s[2:3]
	s_mov_b32 s3, 0x400921fb
	v_add_f64 v[10:11], v[10:11], v[14:15]
	s_delay_alu instid0(VALU_DEP_2) | instskip(NEXT) | instid1(VALU_DEP_3)
	v_cndmask_b32_e64 v13, v13, v17, s0
	v_cndmask_b32_e64 v12, v12, v16, s0
	v_ashrrev_i32_e32 v17, 31, v1
	s_delay_alu instid0(VALU_DEP_2) | instskip(SKIP_2) | instid1(VALU_DEP_4)
	v_add_f64 v[14:15], -v[12:13], s[2:3]
	v_cmp_class_f64_e64 s3, v[2:3], 0x204
	v_cmp_neq_f64_e64 s2, 0, v[8:9]
	v_and_b32_e32 v9, 0x400921fb, v17
	v_mov_b32_e32 v8, 0x4002d97c
	v_and_b32_e32 v18, 0x54442d18, v17
	s_delay_alu instid0(VALU_DEP_2) | instskip(NEXT) | instid1(VALU_DEP_1)
	v_cndmask_b32_e32 v8, 0x3fe921fb, v8, vcc_lo
	v_bfi_b32 v8, 0x7fffffff, v8, v3
	v_add_f64 v[10:11], v[28:29], v[10:11]
	v_cndmask_b32_e32 v12, v12, v14, vcc_lo
	s_delay_alu instid0(VALU_DEP_2) | instskip(SKIP_1) | instid1(VALU_DEP_3)
	v_mul_f64 v[0:1], v[10:11], 0.5
	v_cndmask_b32_e32 v10, v13, v15, vcc_lo
	v_cndmask_b32_e64 v11, v12, v18, s1
	s_delay_alu instid0(VALU_DEP_2) | instskip(SKIP_1) | instid1(VALU_DEP_1)
	v_cndmask_b32_e64 v9, v10, v9, s1
	v_mov_b32_e32 v16, 0x7f3321d2
	v_cndmask_b32_e32 v16, 0x54442d18, v16, vcc_lo
	s_and_b32 vcc_lo, s5, s3
	s_delay_alu instid0(VALU_DEP_3) | instskip(NEXT) | instid1(VALU_DEP_2)
	v_cndmask_b32_e32 v15, v9, v8, vcc_lo
	v_cndmask_b32_e32 v14, v11, v16, vcc_lo
                                        ; implicit-def: $vgpr16_vgpr17
                                        ; implicit-def: $vgpr10_vgpr11
	v_cndmask_b32_e64 v13, 0xfff00000, v1, s2
	v_cndmask_b32_e64 v12, 0, v0, s2
                                        ; implicit-def: $vgpr0_vgpr1
.LBB139_9:
	s_and_not1_saveexec_b32 s16, s4
	s_cbranch_execz .LBB139_13
; %bb.10:
	v_dual_mov_b32 v8, 0 :: v_dual_and_b32 v9, 0x7ffffff8, v17
	v_and_b32_e32 v13, 0x7ffffff8, v11
	s_mov_b32 s17, 0
	s_delay_alu instid0(VALU_DEP_2) | instskip(NEXT) | instid1(VALU_DEP_3)
	v_mov_b32_e32 v12, v8
	v_add_f64 v[14:15], v[16:17], -v[8:9]
	v_mov_b32_e32 v18, v8
	v_add_f64 v[26:27], v[8:9], v[8:9]
	s_delay_alu instid0(VALU_DEP_4)
	v_add_f64 v[10:11], v[10:11], -v[12:13]
	v_mov_b32_e32 v24, v8
	v_add_f64 v[30:31], v[12:13], v[12:13]
	v_mul_f64 v[8:9], v[8:9], v[8:9]
	v_mul_f64 v[16:17], v[12:13], v[12:13]
	v_and_b32_e32 v19, -8, v15
	v_and_b32_e32 v25, -8, v11
	s_delay_alu instid0(VALU_DEP_2)
	v_add_f64 v[28:29], v[14:15], -v[18:19]
	v_add_f64 v[32:33], v[18:19], v[18:19]
	v_mul_f64 v[22:23], v[26:27], v[18:19]
	v_mul_f64 v[14:15], v[18:19], v[18:19]
	v_add_f64 v[34:35], v[10:11], -v[24:25]
	v_add_f64 v[36:37], v[24:25], v[24:25]
	v_mul_f64 v[20:21], v[30:31], v[24:25]
	v_mul_f64 v[12:13], v[24:25], v[24:25]
	v_mul_f64 v[18:19], v[26:27], v[28:29]
	v_mul_f64 v[10:11], v[32:33], v[28:29]
	v_mul_f64 v[28:29], v[28:29], v[28:29]
	v_mul_f64 v[26:27], v[30:31], v[34:35]
	v_mul_f64 v[24:25], v[36:37], v[34:35]
	v_mul_f64 v[30:31], v[34:35], v[34:35]
.LBB139_11:                             ; =>This Inner Loop Header: Depth=1
	v_cmp_nlt_f64_e32 vcc_lo, v[8:9], v[16:17]
	v_dual_cndmask_b32 v33, v9, v17 :: v_dual_cndmask_b32 v32, v8, v16
	v_dual_cndmask_b32 v9, v17, v9 :: v_dual_cndmask_b32 v8, v16, v8
	s_delay_alu instid0(VALU_DEP_2) | instskip(NEXT) | instid1(VALU_DEP_1)
	v_cmp_nlt_f64_e64 s1, v[32:33], v[22:23]
	v_cndmask_b32_e64 v35, v33, v23, s1
	v_cndmask_b32_e64 v34, v32, v22, s1
	;; [unrolled: 1-line block ×4, first 2 shown]
	s_and_b32 s1, vcc_lo, s1
	s_delay_alu instid0(VALU_DEP_3) | instskip(NEXT) | instid1(VALU_DEP_1)
	v_cmp_nlt_f64_e64 s2, v[34:35], v[20:21]
	v_cndmask_b32_e64 v37, v35, v21, s2
	v_cndmask_b32_e64 v36, v34, v20, s2
	;; [unrolled: 1-line block ×4, first 2 shown]
	s_delay_alu instid0(VALU_DEP_3) | instskip(NEXT) | instid1(VALU_DEP_1)
	v_cmp_nlt_f64_e64 s3, v[36:37], v[14:15]
	v_cndmask_b32_e64 v39, v37, v15, s3
	v_cndmask_b32_e64 v38, v36, v14, s3
	v_cndmask_b32_e64 v21, v15, v37, s3
	v_cndmask_b32_e64 v20, v14, v36, s3
	s_and_b32 s2, s2, s3
	s_delay_alu instid0(VALU_DEP_3) | instskip(NEXT) | instid1(VALU_DEP_1)
	v_cmp_nlt_f64_e64 s4, v[38:39], v[12:13]
	v_cndmask_b32_e64 v49, v39, v13, s4
	v_cndmask_b32_e64 v48, v38, v12, s4
	v_cndmask_b32_e64 v15, v13, v39, s4
	v_cndmask_b32_e64 v14, v12, v38, s4
	s_delay_alu instid0(VALU_DEP_3) | instskip(NEXT) | instid1(VALU_DEP_1)
	v_cmp_nlt_f64_e64 s5, v[48:49], v[18:19]
	v_cndmask_b32_e64 v51, v49, v19, s5
	v_cndmask_b32_e64 v50, v48, v18, s5
	s_and_b32 s3, s4, s5
	v_cndmask_b32_e64 v13, v19, v49, s5
	v_cndmask_b32_e64 v12, v18, v48, s5
	s_delay_alu instid0(VALU_DEP_3) | instskip(NEXT) | instid1(VALU_DEP_1)
	v_cmp_nlt_f64_e64 s6, v[50:51], v[26:27]
	v_cndmask_b32_e64 v53, v51, v27, s6
	v_cndmask_b32_e64 v52, v50, v26, s6
	s_and_b32 s3, s3, s6
	v_cndmask_b32_e64 v19, v27, v51, s6
	v_cndmask_b32_e64 v18, v26, v50, s6
	;; [unrolled: 7-line block ×5, first 2 shown]
	s_delay_alu instid0(VALU_DEP_3) | instskip(NEXT) | instid1(VALU_DEP_1)
	v_cmp_nlt_f64_e64 s10, v[66:67], v[30:31]
	v_cndmask_b32_e64 v33, v67, v31, s10
	v_cndmask_b32_e64 v32, v66, v30, s10
	s_and_b32 s3, s3, s10
	v_cndmask_b32_e64 v29, v31, v67, s10
	s_and_b32 s2, s3, s2
	;; [unrolled: 2-line block ×3, first 2 shown]
	v_dual_mov_b32 v30, v32 :: v_dual_mov_b32 v31, v33
	s_and_b32 s1, exec_lo, s1
	s_delay_alu instid0(SALU_CYCLE_1) | instskip(NEXT) | instid1(SALU_CYCLE_1)
	s_or_b32 s17, s1, s17
	s_and_not1_b32 exec_lo, exec_lo, s17
	s_cbranch_execnz .LBB139_11
; %bb.12:
	s_or_b32 exec_lo, exec_lo, s17
	v_add_f64 v[8:9], v[8:9], -1.0
	s_mov_b32 s3, 0x3fe55555
	s_mov_b32 s2, 0x55555555
	;; [unrolled: 1-line block ×6, first 2 shown]
	v_cmp_gt_i32_e64 s1, 0, v1
	s_delay_alu instid0(VALU_DEP_2) | instskip(NEXT) | instid1(VALU_DEP_1)
	v_add_f64 v[8:9], v[8:9], v[16:17]
	v_add_f64 v[8:9], v[8:9], v[22:23]
	s_delay_alu instid0(VALU_DEP_1) | instskip(NEXT) | instid1(VALU_DEP_1)
	v_add_f64 v[8:9], v[8:9], v[20:21]
	v_add_f64 v[8:9], v[8:9], v[14:15]
	s_delay_alu instid0(VALU_DEP_1) | instskip(NEXT) | instid1(VALU_DEP_1)
	;; [unrolled: 3-line block ×5, first 2 shown]
	v_add_f64 v[8:9], v[32:33], v[8:9]
	v_add_f64 v[10:11], v[8:9], 1.0
	s_delay_alu instid0(VALU_DEP_1) | instskip(SKIP_2) | instid1(VALU_DEP_3)
	v_frexp_mant_f64_e32 v[12:13], v[10:11]
	v_frexp_exp_i32_f64_e32 v16, v[10:11]
	v_add_f64 v[14:15], v[10:11], -1.0
	v_cmp_gt_f64_e32 vcc_lo, s[2:3], v[12:13]
	s_mov_b32 s2, 0x55555780
	s_delay_alu instid0(VALU_DEP_2) | instskip(SKIP_2) | instid1(VALU_DEP_3)
	v_add_f64 v[12:13], v[14:15], -v[10:11]
	v_add_f64 v[14:15], v[8:9], -v[14:15]
	v_subrev_co_ci_u32_e32 v48, vcc_lo, 0, v16, vcc_lo
	v_add_f64 v[12:13], v[12:13], 1.0
	s_delay_alu instid0(VALU_DEP_2) | instskip(NEXT) | instid1(VALU_DEP_1)
	v_sub_nc_u32_e32 v18, 0, v48
	v_ldexp_f64 v[10:11], v[10:11], v18
	s_delay_alu instid0(VALU_DEP_3) | instskip(NEXT) | instid1(VALU_DEP_2)
	v_add_f64 v[12:13], v[14:15], v[12:13]
	v_add_f64 v[16:17], v[10:11], 1.0
	v_add_f64 v[22:23], v[10:11], -1.0
	s_delay_alu instid0(VALU_DEP_3) | instskip(NEXT) | instid1(VALU_DEP_3)
	v_ldexp_f64 v[12:13], v[12:13], v18
	v_add_f64 v[14:15], v[16:17], -1.0
	s_delay_alu instid0(VALU_DEP_3) | instskip(NEXT) | instid1(VALU_DEP_2)
	v_add_f64 v[24:25], v[22:23], 1.0
	v_add_f64 v[14:15], v[10:11], -v[14:15]
	s_delay_alu instid0(VALU_DEP_2) | instskip(NEXT) | instid1(VALU_DEP_2)
	v_add_f64 v[10:11], v[10:11], -v[24:25]
	v_add_f64 v[14:15], v[12:13], v[14:15]
	s_delay_alu instid0(VALU_DEP_2) | instskip(NEXT) | instid1(VALU_DEP_2)
	v_add_f64 v[10:11], v[12:13], v[10:11]
	v_add_f64 v[18:19], v[16:17], v[14:15]
	s_delay_alu instid0(VALU_DEP_2) | instskip(NEXT) | instid1(VALU_DEP_2)
	v_add_f64 v[24:25], v[22:23], v[10:11]
	v_rcp_f64_e32 v[20:21], v[18:19]
	v_add_f64 v[16:17], v[18:19], -v[16:17]
	s_delay_alu instid0(VALU_DEP_2) | instskip(NEXT) | instid1(VALU_DEP_2)
	v_add_f64 v[22:23], v[24:25], -v[22:23]
	v_add_f64 v[14:15], v[14:15], -v[16:17]
	s_waitcnt_depctr 0xfff
	v_fma_f64 v[26:27], -v[18:19], v[20:21], 1.0
	v_add_f64 v[10:11], v[10:11], -v[22:23]
	s_delay_alu instid0(VALU_DEP_2) | instskip(NEXT) | instid1(VALU_DEP_1)
	v_fma_f64 v[20:21], v[26:27], v[20:21], v[20:21]
	v_fma_f64 v[12:13], -v[18:19], v[20:21], 1.0
	s_delay_alu instid0(VALU_DEP_1) | instskip(NEXT) | instid1(VALU_DEP_1)
	v_fma_f64 v[12:13], v[12:13], v[20:21], v[20:21]
	v_mul_f64 v[20:21], v[24:25], v[12:13]
	s_delay_alu instid0(VALU_DEP_1) | instskip(NEXT) | instid1(VALU_DEP_1)
	v_mul_f64 v[26:27], v[18:19], v[20:21]
	v_fma_f64 v[16:17], v[20:21], v[18:19], -v[26:27]
	s_delay_alu instid0(VALU_DEP_1) | instskip(NEXT) | instid1(VALU_DEP_1)
	v_fma_f64 v[16:17], v[20:21], v[14:15], v[16:17]
	v_add_f64 v[28:29], v[26:27], v[16:17]
	s_delay_alu instid0(VALU_DEP_1) | instskip(SKIP_2) | instid1(VALU_DEP_3)
	v_add_f64 v[30:31], v[24:25], -v[28:29]
	v_add_f64 v[22:23], v[28:29], -v[26:27]
	v_max_f64 v[26:27], |v[2:3]|, |v[2:3]|
	v_add_f64 v[24:25], v[24:25], -v[30:31]
	s_delay_alu instid0(VALU_DEP_3) | instskip(NEXT) | instid1(VALU_DEP_2)
	v_add_f64 v[16:17], v[22:23], -v[16:17]
	v_add_f64 v[24:25], v[24:25], -v[28:29]
	v_max_f64 v[28:29], |v[0:1]|, |v[0:1]|
	s_delay_alu instid0(VALU_DEP_2) | instskip(NEXT) | instid1(VALU_DEP_2)
	v_add_f64 v[10:11], v[10:11], v[24:25]
	v_max_f64 v[32:33], v[28:29], v[26:27]
	v_min_f64 v[26:27], v[28:29], v[26:27]
	s_delay_alu instid0(VALU_DEP_3) | instskip(NEXT) | instid1(VALU_DEP_1)
	v_add_f64 v[10:11], v[16:17], v[10:11]
	v_add_f64 v[16:17], v[30:31], v[10:11]
	s_delay_alu instid0(VALU_DEP_1) | instskip(SKIP_1) | instid1(VALU_DEP_2)
	v_mul_f64 v[22:23], v[12:13], v[16:17]
	v_add_f64 v[30:31], v[30:31], -v[16:17]
	v_mul_f64 v[24:25], v[18:19], v[22:23]
	s_delay_alu instid0(VALU_DEP_2) | instskip(NEXT) | instid1(VALU_DEP_2)
	v_add_f64 v[10:11], v[10:11], v[30:31]
	v_fma_f64 v[18:19], v[22:23], v[18:19], -v[24:25]
	s_delay_alu instid0(VALU_DEP_1) | instskip(SKIP_1) | instid1(VALU_DEP_2)
	v_fma_f64 v[14:15], v[22:23], v[14:15], v[18:19]
	v_div_scale_f64 v[18:19], null, v[32:33], v[32:33], v[26:27]
	v_add_f64 v[28:29], v[24:25], v[14:15]
	s_delay_alu instid0(VALU_DEP_2) | instskip(NEXT) | instid1(VALU_DEP_1)
	v_rcp_f64_e32 v[34:35], v[18:19]
	v_add_f64 v[36:37], v[16:17], -v[28:29]
	v_add_f64 v[24:25], v[28:29], -v[24:25]
	s_waitcnt_depctr 0xfff
	v_fma_f64 v[38:39], -v[18:19], v[34:35], 1.0
	v_add_f64 v[16:17], v[16:17], -v[36:37]
	v_add_f64 v[14:15], v[24:25], -v[14:15]
	s_delay_alu instid0(VALU_DEP_3) | instskip(NEXT) | instid1(VALU_DEP_3)
	v_fma_f64 v[34:35], v[34:35], v[38:39], v[34:35]
	v_add_f64 v[16:17], v[16:17], -v[28:29]
	s_delay_alu instid0(VALU_DEP_2) | instskip(NEXT) | instid1(VALU_DEP_2)
	v_fma_f64 v[28:29], -v[18:19], v[34:35], 1.0
	v_add_f64 v[10:11], v[10:11], v[16:17]
	v_div_scale_f64 v[16:17], vcc_lo, v[26:27], v[32:33], v[26:27]
	s_delay_alu instid0(VALU_DEP_3) | instskip(SKIP_1) | instid1(VALU_DEP_4)
	v_fma_f64 v[24:25], v[34:35], v[28:29], v[34:35]
	v_add_f64 v[28:29], v[20:21], v[22:23]
	v_add_f64 v[10:11], v[14:15], v[10:11]
	s_delay_alu instid0(VALU_DEP_3) | instskip(NEXT) | instid1(VALU_DEP_3)
	v_mul_f64 v[14:15], v[16:17], v[24:25]
	v_add_f64 v[20:21], v[28:29], -v[20:21]
	s_delay_alu instid0(VALU_DEP_3) | instskip(NEXT) | instid1(VALU_DEP_3)
	v_add_f64 v[10:11], v[36:37], v[10:11]
	v_fma_f64 v[16:17], -v[18:19], v[14:15], v[16:17]
	s_delay_alu instid0(VALU_DEP_3) | instskip(NEXT) | instid1(VALU_DEP_3)
	v_add_f64 v[18:19], v[22:23], -v[20:21]
	v_mul_f64 v[10:11], v[12:13], v[10:11]
	s_delay_alu instid0(VALU_DEP_3) | instskip(SKIP_1) | instid1(VALU_DEP_3)
	v_div_fmas_f64 v[12:13], v[16:17], v[24:25], v[14:15]
	v_cmp_eq_f64_e32 vcc_lo, 0x7ff00000, v[8:9]
	v_add_f64 v[10:11], v[18:19], v[10:11]
	s_delay_alu instid0(VALU_DEP_3) | instskip(NEXT) | instid1(VALU_DEP_2)
	v_div_fixup_f64 v[12:13], v[12:13], v[32:33], v[26:27]
	v_add_f64 v[14:15], v[28:29], v[10:11]
	s_delay_alu instid0(VALU_DEP_2) | instskip(NEXT) | instid1(VALU_DEP_2)
	v_mul_f64 v[16:17], v[12:13], v[12:13]
	v_mul_f64 v[18:19], v[14:15], v[14:15]
	s_delay_alu instid0(VALU_DEP_2)
	v_fma_f64 v[20:21], v[16:17], s[6:7], s[4:5]
	s_mov_b32 s4, 0x6b47b09a
	s_mov_b32 s6, 0xbf559e2b
	;; [unrolled: 1-line block ×4, first 2 shown]
	s_delay_alu instid0(VALU_DEP_2) | instid1(SALU_CYCLE_1)
	v_fma_f64 v[22:23], v[18:19], s[6:7], s[4:5]
	s_mov_b32 s4, 0x69efb384
	s_mov_b32 s5, 0x3f4b2bb0
	v_mul_f64 v[24:25], v[14:15], v[18:19]
	s_delay_alu instid0(VALU_DEP_3)
	v_fma_f64 v[20:21], v[16:17], v[20:21], s[4:5]
	s_mov_b32 s4, 0xd7f4df2e
	s_mov_b32 s5, 0x3fc7474d
	s_delay_alu instid0(VALU_DEP_3) | instid1(SALU_CYCLE_1)
	v_fma_f64 v[22:23], v[18:19], v[22:23], s[4:5]
	s_mov_b32 s4, 0xaf56de9b
	s_mov_b32 s5, 0xbf67952d
	s_delay_alu instid0(VALU_DEP_2) | instid1(SALU_CYCLE_1)
	v_fma_f64 v[20:21], v[16:17], v[20:21], s[4:5]
	s_mov_b32 s4, 0x16291751
	s_mov_b32 s5, 0x3fcc71c0
	s_delay_alu instid0(VALU_DEP_2) | instid1(SALU_CYCLE_1)
	;; [unrolled: 4-line block ×7, first 2 shown]
	v_fma_f64 v[20:21], v[16:17], v[20:21], s[4:5]
	s_mov_b32 s4, 0x6ef28734
	s_mov_b32 s5, 0x3fa82d5d
	s_delay_alu instid0(VALU_DEP_2) | instskip(SKIP_3) | instid1(VALU_DEP_3)
	v_fma_f64 v[18:19], v[18:19], v[22:23], s[2:3]
	s_mov_b32 s2, 0xfc27006a
	s_mov_b32 s3, 0xbf9e9ae6
	v_ldexp_f64 v[22:23], v[14:15], 1
	v_fma_f64 v[20:21], v[16:17], v[20:21], s[2:3]
	s_mov_b32 s2, 0x5711927a
	s_mov_b32 s3, 0x3fa2c15b
	v_add_f64 v[14:15], v[14:15], -v[28:29]
	s_delay_alu instid0(VALU_DEP_4) | instskip(SKIP_1) | instid1(VALU_DEP_4)
	v_mul_f64 v[18:19], v[24:25], v[18:19]
	v_cvt_f64_i32_e32 v[24:25], v48
	v_fma_f64 v[20:21], v[16:17], v[20:21], s[2:3]
	s_mov_b32 s2, 0xe82d3ff0
	s_mov_b32 s3, 0xbfa59976
	s_delay_alu instid0(VALU_DEP_4) | instskip(NEXT) | instid1(VALU_DEP_4)
	v_add_f64 v[10:11], v[10:11], -v[14:15]
	v_add_f64 v[26:27], v[22:23], v[18:19]
	s_delay_alu instid0(VALU_DEP_3) | instskip(SKIP_2) | instid1(VALU_DEP_3)
	v_fma_f64 v[20:21], v[16:17], v[20:21], s[2:3]
	s_mov_b32 s2, 0xfefa39ef
	s_mov_b32 s3, 0x3fe62e42
	v_ldexp_f64 v[10:11], v[10:11], 1
	v_mul_f64 v[28:29], v[24:25], s[2:3]
	s_delay_alu instid0(VALU_DEP_4) | instskip(NEXT) | instid1(VALU_DEP_4)
	v_add_f64 v[14:15], v[26:27], -v[22:23]
	v_fma_f64 v[20:21], v[16:17], v[20:21], s[4:5]
	s_delay_alu instid0(VALU_DEP_3) | instskip(SKIP_2) | instid1(VALU_DEP_3)
	v_fma_f64 v[22:23], v[24:25], s[2:3], -v[28:29]
	s_mov_b32 s2, 0x6a214619
	s_mov_b32 s3, 0xbfaae5ce
	v_add_f64 v[14:15], v[18:19], -v[14:15]
	s_delay_alu instid0(VALU_DEP_3)
	v_fma_f64 v[18:19], v[16:17], v[20:21], s[2:3]
	s_mov_b32 s2, 0x3b39803f
	s_mov_b32 s3, 0x3c7abc9e
	s_delay_alu instid0(VALU_DEP_3) | instid1(SALU_CYCLE_1)
	v_fma_f64 v[20:21], v[24:25], s[2:3], v[22:23]
	s_mov_b32 s2, 0x8427b883
	s_mov_b32 s3, 0x3fae1bb4
	s_delay_alu instid0(VALU_DEP_3) | instskip(NEXT) | instid1(VALU_DEP_3)
	v_add_f64 v[10:11], v[10:11], v[14:15]
	v_fma_f64 v[14:15], v[16:17], v[18:19], s[2:3]
	s_mov_b32 s2, 0x8b207f05
	s_mov_b32 s3, 0xbfb110e4
	s_delay_alu instid0(VALU_DEP_3) | instskip(NEXT) | instid1(VALU_DEP_3)
	v_add_f64 v[18:19], v[28:29], v[20:21]
	v_add_f64 v[22:23], v[26:27], v[10:11]
	s_delay_alu instid0(VALU_DEP_3) | instskip(SKIP_2) | instid1(VALU_DEP_3)
	v_fma_f64 v[14:15], v[16:17], v[14:15], s[2:3]
	s_mov_b32 s2, 0x57b87036
	s_mov_b32 s3, 0x3fb3b136
	v_add_f64 v[28:29], v[18:19], -v[28:29]
	s_delay_alu instid0(VALU_DEP_3) | instskip(SKIP_1) | instid1(VALU_DEP_4)
	v_add_f64 v[24:25], v[18:19], v[22:23]
	v_add_f64 v[26:27], v[22:23], -v[26:27]
	v_fma_f64 v[14:15], v[16:17], v[14:15], s[2:3]
	s_mov_b32 s2, 0x19378e4f
	s_mov_b32 s3, 0xbfb745d1
	s_delay_alu instid0(VALU_DEP_4) | instskip(NEXT) | instid1(VALU_DEP_4)
	v_add_f64 v[20:21], v[20:21], -v[28:29]
	v_add_f64 v[30:31], v[24:25], -v[18:19]
	s_delay_alu instid0(VALU_DEP_4) | instskip(NEXT) | instid1(VALU_DEP_4)
	v_add_f64 v[10:11], v[10:11], -v[26:27]
	v_fma_f64 v[14:15], v[16:17], v[14:15], s[2:3]
	s_mov_b32 s2, 0x17e1913c
	s_mov_b32 s3, 0x3fbc71c7
	s_delay_alu instid0(VALU_DEP_3) | instskip(SKIP_1) | instid1(VALU_DEP_4)
	v_add_f64 v[32:33], v[24:25], -v[30:31]
	v_add_f64 v[22:23], v[22:23], -v[30:31]
	v_add_f64 v[26:27], v[20:21], v[10:11]
	s_delay_alu instid0(VALU_DEP_4) | instskip(SKIP_2) | instid1(VALU_DEP_4)
	v_fma_f64 v[14:15], v[16:17], v[14:15], s[2:3]
	s_mov_b32 s2, 0x92376b7d
	s_mov_b32 s3, 0xbfc24924
	v_add_f64 v[18:19], v[18:19], -v[32:33]
	s_delay_alu instid0(VALU_DEP_2) | instskip(SKIP_2) | instid1(VALU_DEP_2)
	v_fma_f64 v[14:15], v[16:17], v[14:15], s[2:3]
	s_mov_b32 s2, 0x999952cc
	s_mov_b32 s3, 0x3fc99999
	v_add_f64 v[18:19], v[22:23], v[18:19]
	v_add_f64 v[22:23], v[26:27], -v[20:21]
	s_delay_alu instid0(VALU_DEP_3) | instskip(SKIP_2) | instid1(VALU_DEP_3)
	v_fma_f64 v[14:15], v[16:17], v[14:15], s[2:3]
	s_mov_b32 s2, 0x55555523
	s_mov_b32 s3, 0xbfd55555
	v_add_f64 v[18:19], v[26:27], v[18:19]
	s_delay_alu instid0(VALU_DEP_3) | instskip(SKIP_1) | instid1(VALU_DEP_4)
	v_add_f64 v[26:27], v[26:27], -v[22:23]
	v_add_f64 v[10:11], v[10:11], -v[22:23]
	v_fma_f64 v[14:15], v[16:17], v[14:15], s[2:3]
	s_mov_b32 s2, 0x54442d18
	s_mov_b32 s3, 0x3ff921fb
	s_delay_alu instid0(VALU_DEP_4) | instskip(NEXT) | instid1(VALU_DEP_2)
	v_add_f64 v[28:29], v[24:25], v[18:19]
	v_mul_f64 v[14:15], v[16:17], v[14:15]
	v_add_f64 v[16:17], v[20:21], -v[26:27]
	s_delay_alu instid0(VALU_DEP_3) | instskip(NEXT) | instid1(VALU_DEP_3)
	v_add_f64 v[20:21], v[28:29], -v[24:25]
	v_fma_f64 v[12:13], v[12:13], v[14:15], v[12:13]
	s_delay_alu instid0(VALU_DEP_3) | instskip(NEXT) | instid1(VALU_DEP_3)
	v_add_f64 v[10:11], v[10:11], v[16:17]
	v_add_f64 v[14:15], v[18:19], -v[20:21]
	s_delay_alu instid0(VALU_DEP_3) | instskip(SKIP_1) | instid1(VALU_DEP_2)
	v_add_f64 v[16:17], -v[12:13], s[2:3]
	s_mov_b32 s3, 0x400921fb
	v_add_f64 v[10:11], v[10:11], v[14:15]
	s_delay_alu instid0(VALU_DEP_2) | instskip(NEXT) | instid1(VALU_DEP_3)
	v_cndmask_b32_e64 v13, v13, v17, s0
	v_cndmask_b32_e64 v12, v12, v16, s0
	v_ashrrev_i32_e32 v17, 31, v1
	s_delay_alu instid0(VALU_DEP_2) | instskip(SKIP_2) | instid1(VALU_DEP_4)
	v_add_f64 v[14:15], -v[12:13], s[2:3]
	v_cmp_class_f64_e64 s3, v[0:1], 0x204
	v_cmp_class_f64_e64 s2, v[2:3], 0x204
	v_and_b32_e32 v1, 0x400921fb, v17
	v_add_f64 v[10:11], v[28:29], v[10:11]
	v_mov_b32_e32 v16, 0x7f3321d2
	v_cndmask_b32_e64 v13, v13, v15, s1
	v_cndmask_b32_e64 v12, v12, v14, s1
	s_delay_alu instid0(VALU_DEP_4) | instskip(SKIP_3) | instid1(VALU_DEP_4)
	v_dual_cndmask_b32 v11, v11, v9 :: v_dual_cndmask_b32 v10, v10, v8
	v_cmp_eq_f64_e32 vcc_lo, 0, v[2:3]
	v_mov_b32_e32 v0, 0x4002d97c
	v_cndmask_b32_e64 v16, 0x54442d18, v16, s1
	v_mul_f64 v[10:11], v[10:11], 0.5
	v_cndmask_b32_e32 v1, v13, v1, vcc_lo
	s_delay_alu instid0(VALU_DEP_4) | instskip(SKIP_1) | instid1(VALU_DEP_2)
	v_cndmask_b32_e64 v0, 0x3fe921fb, v0, s1
	v_cmp_nge_f64_e64 s1, -1.0, v[8:9]
	v_bfi_b32 v0, 0x7fffffff, v0, v3
	v_and_b32_e32 v18, 0x54442d18, v17
	s_delay_alu instid0(VALU_DEP_1)
	v_cndmask_b32_e32 v14, v12, v18, vcc_lo
	v_cmp_ngt_f64_e32 vcc_lo, -1.0, v[8:9]
	v_cndmask_b32_e64 v12, 0, v10, s1
	v_cmp_neq_f64_e64 s1, -1.0, v[8:9]
	v_cndmask_b32_e32 v11, 0x7ff80000, v11, vcc_lo
	s_and_b32 vcc_lo, s3, s2
	v_cndmask_b32_e32 v15, v1, v0, vcc_lo
	v_cndmask_b32_e32 v14, v14, v16, vcc_lo
	s_delay_alu instid0(VALU_DEP_3)
	v_cndmask_b32_e64 v13, 0xfff00000, v11, s1
.LBB139_13:
	s_or_b32 exec_lo, exec_lo, s16
.LBB139_14:
	s_delay_alu instid0(SALU_CYCLE_1)
	s_or_b32 exec_lo, exec_lo, s15
                                        ; implicit-def: $vgpr0_vgpr1
.LBB139_15:
	s_and_not1_saveexec_b32 s4, s14
	s_cbranch_execz .LBB139_17
; %bb.16:
	v_max_f64 v[8:9], |v[2:3]|, |v[2:3]|
	v_max_f64 v[10:11], |v[0:1]|, |v[0:1]|
	v_cmp_class_f64_e64 s5, v[0:1], 0x204
	v_cmp_class_f64_e64 s6, v[2:3], 0x204
	s_mov_b32 s3, 0x3fe55555
	s_mov_b32 s2, 0x55555555
	;; [unrolled: 1-line block ×6, first 2 shown]
	s_delay_alu instid0(VALU_DEP_3) | instskip(SKIP_1) | instid1(VALU_DEP_3)
	v_max_f64 v[12:13], v[10:11], v[8:9]
	v_min_f64 v[8:9], v[10:11], v[8:9]
	s_or_b32 s7, s5, s6
	s_delay_alu instid0(VALU_DEP_2) | instskip(NEXT) | instid1(VALU_DEP_1)
	v_frexp_exp_i32_f64_e32 v22, v[12:13]
	v_sub_nc_u32_e32 v16, 0, v22
	s_delay_alu instid0(VALU_DEP_1) | instskip(SKIP_1) | instid1(VALU_DEP_2)
	v_ldexp_f64 v[14:15], |v[2:3]|, v16
	v_ldexp_f64 v[16:17], |v[0:1]|, v16
	v_mul_f64 v[14:15], v[14:15], v[14:15]
	s_delay_alu instid0(VALU_DEP_1) | instskip(NEXT) | instid1(VALU_DEP_1)
	v_fma_f64 v[14:15], v[16:17], v[16:17], v[14:15]
	v_rsq_f64_e32 v[16:17], v[14:15]
	v_cmp_eq_f64_e32 vcc_lo, 0, v[14:15]
	s_waitcnt_depctr 0xfff
	v_mul_f64 v[18:19], v[14:15], v[16:17]
	v_mul_f64 v[16:17], v[16:17], 0.5
	s_delay_alu instid0(VALU_DEP_1) | instskip(NEXT) | instid1(VALU_DEP_1)
	v_fma_f64 v[20:21], -v[16:17], v[18:19], 0.5
	v_fma_f64 v[18:19], v[18:19], v[20:21], v[18:19]
	v_fma_f64 v[16:17], v[16:17], v[20:21], v[16:17]
	s_delay_alu instid0(VALU_DEP_2) | instskip(NEXT) | instid1(VALU_DEP_1)
	v_fma_f64 v[20:21], -v[18:19], v[18:19], v[14:15]
	v_fma_f64 v[16:17], v[20:21], v[16:17], v[18:19]
	s_delay_alu instid0(VALU_DEP_1) | instskip(NEXT) | instid1(VALU_DEP_2)
	v_dual_mov_b32 v20, 0 :: v_dual_cndmask_b32 v15, v17, v15
	v_cndmask_b32_e32 v14, v16, v14, vcc_lo
	v_div_scale_f64 v[36:37], vcc_lo, v[8:9], v[12:13], v[8:9]
	s_delay_alu instid0(VALU_DEP_2) | instskip(NEXT) | instid1(VALU_DEP_1)
	v_ldexp_f64 v[14:15], v[14:15], v22
	v_cndmask_b32_e64 v17, v15, 0x7ff00000, s7
	s_delay_alu instid0(VALU_DEP_2) | instskip(NEXT) | instid1(VALU_DEP_1)
	v_cndmask_b32_e64 v16, v14, 0, s7
	v_frexp_mant_f64_e32 v[18:19], v[16:17]
	v_frexp_exp_i32_f64_e32 v0, v[16:17]
	s_delay_alu instid0(VALU_DEP_2) | instskip(SKIP_1) | instid1(VALU_DEP_1)
	v_cmp_gt_f64_e64 s1, s[2:3], v[18:19]
	s_mov_b32 s2, 0x55555780
	v_cndmask_b32_e64 v21, 0x3ff00000, 2.0, s1
	s_delay_alu instid0(VALU_DEP_1) | instskip(NEXT) | instid1(VALU_DEP_1)
	v_mul_f64 v[18:19], v[18:19], v[20:21]
	v_add_f64 v[20:21], v[18:19], 1.0
	v_add_f64 v[26:27], v[18:19], -1.0
	s_delay_alu instid0(VALU_DEP_2) | instskip(SKIP_1) | instid1(VALU_DEP_1)
	v_rcp_f64_e32 v[22:23], v[20:21]
	v_add_f64 v[28:29], v[20:21], -1.0
	v_add_f64 v[18:19], v[18:19], -v[28:29]
	s_waitcnt_depctr 0xfff
	v_fma_f64 v[24:25], -v[20:21], v[22:23], 1.0
	s_delay_alu instid0(VALU_DEP_1) | instskip(NEXT) | instid1(VALU_DEP_1)
	v_fma_f64 v[22:23], v[24:25], v[22:23], v[22:23]
	v_fma_f64 v[24:25], -v[20:21], v[22:23], 1.0
	s_delay_alu instid0(VALU_DEP_1) | instskip(SKIP_1) | instid1(VALU_DEP_2)
	v_fma_f64 v[22:23], v[24:25], v[22:23], v[22:23]
	v_div_scale_f64 v[24:25], null, v[12:13], v[12:13], v[8:9]
	v_mul_f64 v[10:11], v[26:27], v[22:23]
	s_delay_alu instid0(VALU_DEP_2) | instskip(NEXT) | instid1(VALU_DEP_1)
	v_rcp_f64_e32 v[32:33], v[24:25]
	v_mul_f64 v[30:31], v[20:21], v[10:11]
	s_waitcnt_depctr 0xfff
	v_fma_f64 v[28:29], -v[24:25], v[32:33], 1.0
	v_fma_f64 v[20:21], v[10:11], v[20:21], -v[30:31]
	s_delay_alu instid0(VALU_DEP_1) | instskip(NEXT) | instid1(VALU_DEP_3)
	v_fma_f64 v[18:19], v[10:11], v[18:19], v[20:21]
	v_fma_f64 v[20:21], v[32:33], v[28:29], v[32:33]
	s_delay_alu instid0(VALU_DEP_2) | instskip(NEXT) | instid1(VALU_DEP_2)
	v_add_f64 v[28:29], v[30:31], v[18:19]
	v_fma_f64 v[32:33], -v[24:25], v[20:21], 1.0
	s_delay_alu instid0(VALU_DEP_2) | instskip(NEXT) | instid1(VALU_DEP_2)
	v_add_f64 v[34:35], v[26:27], -v[28:29]
	v_fma_f64 v[20:21], v[20:21], v[32:33], v[20:21]
	v_add_f64 v[30:31], v[28:29], -v[30:31]
	s_delay_alu instid0(VALU_DEP_3) | instskip(NEXT) | instid1(VALU_DEP_3)
	v_add_f64 v[26:27], v[26:27], -v[34:35]
	v_mul_f64 v[32:33], v[36:37], v[20:21]
	s_delay_alu instid0(VALU_DEP_3) | instskip(NEXT) | instid1(VALU_DEP_3)
	v_add_f64 v[18:19], v[30:31], -v[18:19]
	v_add_f64 v[26:27], v[26:27], -v[28:29]
	s_delay_alu instid0(VALU_DEP_3) | instskip(NEXT) | instid1(VALU_DEP_2)
	v_fma_f64 v[24:25], -v[24:25], v[32:33], v[36:37]
	v_add_f64 v[18:19], v[18:19], v[26:27]
	s_delay_alu instid0(VALU_DEP_2)
	v_div_fmas_f64 v[20:21], v[24:25], v[20:21], v[32:33]
	v_subrev_co_ci_u32_e64 v0, vcc_lo, 0, v0, s1
	v_cmp_class_f64_e64 s1, v[14:15], 0x204
	v_cmp_gt_i32_e32 vcc_lo, 0, v1
	v_add_f64 v[18:19], v[34:35], v[18:19]
	v_div_fixup_f64 v[8:9], v[20:21], v[12:13], v[8:9]
	s_delay_alu instid0(VALU_DEP_2) | instskip(NEXT) | instid1(VALU_DEP_2)
	v_mul_f64 v[12:13], v[22:23], v[18:19]
	v_mul_f64 v[18:19], v[8:9], v[8:9]
	s_delay_alu instid0(VALU_DEP_2) | instskip(NEXT) | instid1(VALU_DEP_2)
	v_add_f64 v[20:21], v[10:11], v[12:13]
	v_fma_f64 v[22:23], v[18:19], s[14:15], s[8:9]
	s_mov_b32 s8, 0x69efb384
	s_mov_b32 s9, 0x3f4b2bb0
	;; [unrolled: 1-line block ×4, first 2 shown]
	s_delay_alu instid0(VALU_DEP_2) | instskip(NEXT) | instid1(VALU_DEP_2)
	v_mul_f64 v[24:25], v[20:21], v[20:21]
	v_fma_f64 v[22:23], v[18:19], v[22:23], s[8:9]
	s_mov_b32 s8, 0xbf559e2b
	s_mov_b32 s9, 0x3fc3ab76
	v_add_f64 v[10:11], v[20:21], -v[10:11]
	s_delay_alu instid0(VALU_DEP_3) | instskip(SKIP_3) | instid1(VALU_DEP_4)
	v_fma_f64 v[26:27], v[24:25], s[8:9], s[14:15]
	s_mov_b32 s8, 0xaf56de9b
	s_mov_b32 s9, 0xbf67952d
	v_mul_f64 v[28:29], v[20:21], v[24:25]
	v_fma_f64 v[22:23], v[18:19], v[22:23], s[8:9]
	s_mov_b32 s8, 0xd7f4df2e
	s_mov_b32 s9, 0x3fc7474d
	s_delay_alu instid0(VALU_DEP_4) | instskip(NEXT) | instid1(VALU_DEP_4)
	v_add_f64 v[10:11], v[12:13], -v[10:11]
	v_fma_f64 v[26:27], v[24:25], v[26:27], s[8:9]
	s_mov_b32 s8, 0xa595c56f
	s_mov_b32 s9, 0x3f7d6d43
	s_delay_alu instid0(VALU_DEP_3) | instid1(SALU_CYCLE_1)
	v_fma_f64 v[22:23], v[18:19], v[22:23], s[8:9]
	s_mov_b32 s8, 0x16291751
	s_mov_b32 s9, 0x3fcc71c0
	s_delay_alu instid0(VALU_DEP_3) | instskip(NEXT) | instid1(VALU_DEP_3)
	v_ldexp_f64 v[10:11], v[10:11], 1
	v_fma_f64 v[26:27], v[24:25], v[26:27], s[8:9]
	s_mov_b32 s8, 0xa57d9582
	s_mov_b32 s9, 0xbf8c6ea4
	s_delay_alu instid0(VALU_DEP_3) | instid1(SALU_CYCLE_1)
	v_fma_f64 v[22:23], v[18:19], v[22:23], s[8:9]
	s_mov_b32 s8, 0x9b27acf1
	s_mov_b32 s9, 0x3fd24924
	s_delay_alu instid0(VALU_DEP_2) | instid1(SALU_CYCLE_1)
	v_fma_f64 v[26:27], v[24:25], v[26:27], s[8:9]
	s_mov_b32 s8, 0x5f08b19f
	s_mov_b32 s9, 0x3f967e29
	s_delay_alu instid0(VALU_DEP_2) | instid1(SALU_CYCLE_1)
	;; [unrolled: 4-line block ×4, first 2 shown]
	v_fma_f64 v[22:23], v[18:19], v[22:23], s[8:9]
	s_mov_b32 s8, 0xfefa39ef
	s_mov_b32 s9, 0x3fe62e42
	s_delay_alu instid0(VALU_DEP_2) | instskip(SKIP_3) | instid1(VALU_DEP_3)
	v_fma_f64 v[24:25], v[24:25], v[26:27], s[2:3]
	s_mov_b32 s2, 0x5711927a
	s_mov_b32 s3, 0x3fa2c15b
	v_ldexp_f64 v[26:27], v[20:21], 1
	v_fma_f64 v[22:23], v[18:19], v[22:23], s[2:3]
	s_mov_b32 s2, 0xe82d3ff0
	s_mov_b32 s3, 0xbfa59976
	s_delay_alu instid0(VALU_DEP_3) | instskip(SKIP_1) | instid1(VALU_DEP_3)
	v_mul_f64 v[24:25], v[28:29], v[24:25]
	v_cvt_f64_i32_e32 v[28:29], v0
	v_fma_f64 v[22:23], v[18:19], v[22:23], s[2:3]
	s_mov_b32 s2, 0x6ef28734
	s_mov_b32 s3, 0x3fa82d5d
	s_delay_alu instid0(VALU_DEP_3) | instskip(NEXT) | instid1(VALU_DEP_3)
	v_add_f64 v[20:21], v[26:27], v[24:25]
	v_mul_f64 v[30:31], v[28:29], s[8:9]
	s_delay_alu instid0(VALU_DEP_3) | instskip(SKIP_2) | instid1(VALU_DEP_3)
	v_fma_f64 v[22:23], v[18:19], v[22:23], s[2:3]
	s_mov_b32 s2, 0x6a214619
	s_mov_b32 s3, 0xbfaae5ce
	v_add_f64 v[12:13], v[20:21], -v[26:27]
	s_delay_alu instid0(VALU_DEP_3) | instskip(SKIP_2) | instid1(VALU_DEP_3)
	v_fma_f64 v[26:27], v[28:29], s[8:9], -v[30:31]
	s_mov_b32 s8, 0x3b39803f
	s_mov_b32 s9, 0x3c7abc9e
	v_fma_f64 v[22:23], v[18:19], v[22:23], s[2:3]
	s_mov_b32 s2, 0x8427b883
	s_mov_b32 s3, 0x3fae1bb4
	s_delay_alu instid0(VALU_DEP_3) | instskip(NEXT) | instid1(VALU_DEP_3)
	v_add_f64 v[12:13], v[24:25], -v[12:13]
	v_fma_f64 v[24:25], v[28:29], s[8:9], v[26:27]
	s_delay_alu instid0(VALU_DEP_3) | instskip(SKIP_2) | instid1(VALU_DEP_3)
	v_fma_f64 v[22:23], v[18:19], v[22:23], s[2:3]
	s_mov_b32 s2, 0x8b207f05
	s_mov_b32 s3, 0xbfb110e4
	v_add_f64 v[10:11], v[10:11], v[12:13]
	s_delay_alu instid0(VALU_DEP_2) | instskip(NEXT) | instid1(VALU_DEP_4)
	v_fma_f64 v[12:13], v[18:19], v[22:23], s[2:3]
	v_add_f64 v[22:23], v[30:31], v[24:25]
	s_mov_b32 s2, 0x57b87036
	s_mov_b32 s3, 0x3fb3b136
	s_delay_alu instid0(VALU_DEP_3) | instskip(NEXT) | instid1(VALU_DEP_3)
	v_add_f64 v[26:27], v[20:21], v[10:11]
	v_fma_f64 v[12:13], v[18:19], v[12:13], s[2:3]
	s_mov_b32 s2, 0x19378e4f
	s_mov_b32 s3, 0xbfb745d1
	s_delay_alu instid0(VALU_DEP_3) | instskip(NEXT) | instid1(VALU_DEP_3)
	v_add_f64 v[30:31], v[22:23], -v[30:31]
	v_add_f64 v[28:29], v[22:23], v[26:27]
	v_add_f64 v[20:21], v[26:27], -v[20:21]
	s_delay_alu instid0(VALU_DEP_4) | instskip(SKIP_2) | instid1(VALU_DEP_4)
	v_fma_f64 v[12:13], v[18:19], v[12:13], s[2:3]
	s_mov_b32 s2, 0x17e1913c
	s_mov_b32 s3, 0x3fbc71c7
	v_add_f64 v[24:25], v[24:25], -v[30:31]
	s_delay_alu instid0(VALU_DEP_4) | instskip(NEXT) | instid1(VALU_DEP_4)
	v_add_f64 v[32:33], v[28:29], -v[22:23]
	v_add_f64 v[10:11], v[10:11], -v[20:21]
	s_delay_alu instid0(VALU_DEP_4) | instskip(SKIP_2) | instid1(VALU_DEP_3)
	v_fma_f64 v[12:13], v[18:19], v[12:13], s[2:3]
	s_mov_b32 s2, 0x92376b7d
	s_mov_b32 s3, 0xbfc24924
	v_add_f64 v[34:35], v[28:29], -v[32:33]
	v_add_f64 v[20:21], v[26:27], -v[32:33]
	s_delay_alu instid0(VALU_DEP_4) | instskip(NEXT) | instid1(VALU_DEP_4)
	v_add_f64 v[26:27], v[24:25], v[10:11]
	v_fma_f64 v[12:13], v[18:19], v[12:13], s[2:3]
	s_mov_b32 s2, 0x999952cc
	s_mov_b32 s3, 0x3fc99999
	s_delay_alu instid0(VALU_DEP_4) | instskip(NEXT) | instid1(VALU_DEP_2)
	v_add_f64 v[22:23], v[22:23], -v[34:35]
	v_fma_f64 v[12:13], v[18:19], v[12:13], s[2:3]
	s_mov_b32 s2, 0x55555523
	s_mov_b32 s3, 0xbfd55555
	s_delay_alu instid0(VALU_DEP_2) | instskip(SKIP_1) | instid1(VALU_DEP_3)
	v_add_f64 v[20:21], v[20:21], v[22:23]
	v_add_f64 v[22:23], v[26:27], -v[24:25]
	v_fma_f64 v[12:13], v[18:19], v[12:13], s[2:3]
	s_mov_b32 s2, 0x54442d18
	s_mov_b32 s3, 0x3ff921fb
	s_delay_alu instid0(VALU_DEP_3) | instskip(NEXT) | instid1(VALU_DEP_3)
	v_add_f64 v[20:21], v[26:27], v[20:21]
	v_add_f64 v[10:11], v[10:11], -v[22:23]
	s_delay_alu instid0(VALU_DEP_3) | instskip(SKIP_1) | instid1(VALU_DEP_4)
	v_mul_f64 v[12:13], v[18:19], v[12:13]
	v_add_f64 v[18:19], v[26:27], -v[22:23]
	v_add_f64 v[26:27], v[28:29], v[20:21]
	s_delay_alu instid0(VALU_DEP_3) | instskip(NEXT) | instid1(VALU_DEP_3)
	v_fma_f64 v[8:9], v[8:9], v[12:13], v[8:9]
	v_add_f64 v[12:13], v[24:25], -v[18:19]
	s_delay_alu instid0(VALU_DEP_3) | instskip(NEXT) | instid1(VALU_DEP_3)
	v_add_f64 v[18:19], v[26:27], -v[28:29]
	v_add_f64 v[22:23], -v[8:9], s[2:3]
	s_delay_alu instid0(VALU_DEP_3) | instskip(SKIP_1) | instid1(VALU_DEP_3)
	v_add_f64 v[10:11], v[10:11], v[12:13]
	s_mov_b32 s3, 0x400921fb
	v_add_f64 v[12:13], v[20:21], -v[18:19]
	v_ashrrev_i32_e32 v18, 31, v1
	s_delay_alu instid0(VALU_DEP_4) | instskip(SKIP_1) | instid1(VALU_DEP_3)
	v_cndmask_b32_e64 v9, v9, v23, s0
	v_cndmask_b32_e64 v8, v8, v22, s0
	v_and_b32_e32 v1, 0x54442d18, v18
	v_add_f64 v[10:11], v[10:11], v[12:13]
	s_delay_alu instid0(VALU_DEP_3) | instskip(SKIP_2) | instid1(VALU_DEP_4)
	v_add_f64 v[12:13], -v[8:9], s[2:3]
	v_mov_b32_e32 v0, 0x7f3321d2
	v_cmp_eq_f64_e64 s2, 0, v[2:3]
	v_add_f64 v[10:11], v[26:27], v[10:11]
	s_delay_alu instid0(VALU_DEP_4) | instskip(SKIP_2) | instid1(VALU_DEP_2)
	v_dual_cndmask_b32 v9, v9, v13 :: v_dual_cndmask_b32 v8, v8, v12
	v_mov_b32_e32 v12, 0x4002d97c
	v_cndmask_b32_e32 v0, 0x54442d18, v0, vcc_lo
	v_cndmask_b32_e32 v12, 0x3fe921fb, v12, vcc_lo
	v_cmp_ngt_f64_e32 vcc_lo, 0, v[16:17]
	s_delay_alu instid0(VALU_DEP_2)
	v_bfi_b32 v12, 0x7fffffff, v12, v3
	v_cndmask_b32_e64 v11, v11, v15, s1
	v_and_b32_e32 v15, 0x400921fb, v18
	v_cndmask_b32_e64 v10, v10, v14, s1
	v_cmp_nge_f64_e64 s1, 0, v[16:17]
	v_cndmask_b32_e64 v1, v8, v1, s2
	v_cndmask_b32_e64 v11, v11, 0x7ff00000, s7
	v_cndmask_b32_e64 v8, v9, v15, s2
	v_cndmask_b32_e64 v9, v10, 0, s7
	s_delay_alu instid0(VALU_DEP_3) | instskip(SKIP_1) | instid1(VALU_DEP_3)
	v_cndmask_b32_e32 v10, 0x7ff80000, v11, vcc_lo
	s_and_b32 vcc_lo, s5, s6
	v_cndmask_b32_e32 v15, v8, v12, vcc_lo
	v_cndmask_b32_e32 v14, v1, v0, vcc_lo
	v_cndmask_b32_e64 v12, 0, v9, s1
	v_cmp_neq_f64_e64 s1, 0, v[16:17]
	s_delay_alu instid0(VALU_DEP_1)
	v_cndmask_b32_e64 v13, 0xfff00000, v10, s1
.LBB139_17:
	s_or_b32 exec_lo, exec_lo, s4
                                        ; implicit-def: $vgpr10_vgpr11
                                        ; implicit-def: $vgpr0_vgpr1
.LBB139_18:
	s_and_not1_saveexec_b32 s4, s13
	s_cbranch_execz .LBB139_24
; %bb.19:
	s_mov_b32 s2, 0x6a3f9475
	s_mov_b32 s3, 0x20ca2fe7
                                        ; implicit-def: $vgpr12_vgpr13
                                        ; implicit-def: $vgpr14_vgpr15
	s_mov_b32 s1, exec_lo
	v_cmpx_ngt_f64_e32 s[2:3], v[10:11]
	s_xor_b32 s5, exec_lo, s1
	s_cbranch_execz .LBB139_21
; %bb.20:
	v_mul_f64 v[8:9], v[10:11], v[10:11]
	s_mov_b32 s3, 0x3fe55555
	s_mov_b32 s2, 0x55555555
	;; [unrolled: 1-line block ×6, first 2 shown]
	v_cmp_gt_i32_e64 s1, 0, v1
	s_delay_alu instid0(VALU_DEP_2) | instskip(NEXT) | instid1(VALU_DEP_1)
	v_add_f64 v[10:11], v[8:9], 1.0
	v_frexp_mant_f64_e32 v[12:13], v[10:11]
	v_frexp_exp_i32_f64_e32 v16, v[10:11]
	v_add_f64 v[14:15], v[10:11], -1.0
	s_delay_alu instid0(VALU_DEP_3) | instskip(SKIP_1) | instid1(VALU_DEP_2)
	v_cmp_gt_f64_e32 vcc_lo, s[2:3], v[12:13]
	s_mov_b32 s2, 0x55555780
	v_add_f64 v[12:13], v[14:15], -v[10:11]
	v_add_f64 v[14:15], v[8:9], -v[14:15]
	v_subrev_co_ci_u32_e32 v48, vcc_lo, 0, v16, vcc_lo
	s_delay_alu instid0(VALU_DEP_3) | instskip(NEXT) | instid1(VALU_DEP_2)
	v_add_f64 v[12:13], v[12:13], 1.0
	v_sub_nc_u32_e32 v18, 0, v48
	s_delay_alu instid0(VALU_DEP_1) | instskip(NEXT) | instid1(VALU_DEP_3)
	v_ldexp_f64 v[10:11], v[10:11], v18
	v_add_f64 v[12:13], v[14:15], v[12:13]
	s_delay_alu instid0(VALU_DEP_2) | instskip(SKIP_1) | instid1(VALU_DEP_3)
	v_add_f64 v[16:17], v[10:11], 1.0
	v_add_f64 v[22:23], v[10:11], -1.0
	v_ldexp_f64 v[12:13], v[12:13], v18
	s_delay_alu instid0(VALU_DEP_3) | instskip(NEXT) | instid1(VALU_DEP_3)
	v_add_f64 v[14:15], v[16:17], -1.0
	v_add_f64 v[24:25], v[22:23], 1.0
	s_delay_alu instid0(VALU_DEP_2) | instskip(NEXT) | instid1(VALU_DEP_2)
	v_add_f64 v[14:15], v[10:11], -v[14:15]
	v_add_f64 v[10:11], v[10:11], -v[24:25]
	s_delay_alu instid0(VALU_DEP_2) | instskip(NEXT) | instid1(VALU_DEP_2)
	v_add_f64 v[14:15], v[12:13], v[14:15]
	v_add_f64 v[10:11], v[12:13], v[10:11]
	s_delay_alu instid0(VALU_DEP_2) | instskip(NEXT) | instid1(VALU_DEP_2)
	v_add_f64 v[18:19], v[16:17], v[14:15]
	v_add_f64 v[24:25], v[22:23], v[10:11]
	s_delay_alu instid0(VALU_DEP_2) | instskip(SKIP_1) | instid1(VALU_DEP_2)
	v_rcp_f64_e32 v[20:21], v[18:19]
	v_add_f64 v[16:17], v[16:17], -v[18:19]
	v_add_f64 v[22:23], v[22:23], -v[24:25]
	s_delay_alu instid0(VALU_DEP_2) | instskip(SKIP_3) | instid1(VALU_DEP_2)
	v_add_f64 v[14:15], v[14:15], v[16:17]
	s_waitcnt_depctr 0xfff
	v_fma_f64 v[26:27], -v[18:19], v[20:21], 1.0
	v_add_f64 v[10:11], v[10:11], v[22:23]
	v_fma_f64 v[20:21], v[26:27], v[20:21], v[20:21]
	s_delay_alu instid0(VALU_DEP_1) | instskip(NEXT) | instid1(VALU_DEP_1)
	v_fma_f64 v[12:13], -v[18:19], v[20:21], 1.0
	v_fma_f64 v[12:13], v[12:13], v[20:21], v[20:21]
	s_delay_alu instid0(VALU_DEP_1) | instskip(NEXT) | instid1(VALU_DEP_1)
	v_mul_f64 v[20:21], v[24:25], v[12:13]
	v_mul_f64 v[26:27], v[18:19], v[20:21]
	s_delay_alu instid0(VALU_DEP_1) | instskip(NEXT) | instid1(VALU_DEP_1)
	v_fma_f64 v[16:17], v[20:21], v[18:19], -v[26:27]
	v_fma_f64 v[16:17], v[20:21], v[14:15], v[16:17]
	s_delay_alu instid0(VALU_DEP_1) | instskip(NEXT) | instid1(VALU_DEP_1)
	v_add_f64 v[28:29], v[26:27], v[16:17]
	v_add_f64 v[30:31], v[24:25], -v[28:29]
	v_add_f64 v[22:23], v[28:29], -v[26:27]
	v_max_f64 v[26:27], |v[2:3]|, |v[2:3]|
	s_delay_alu instid0(VALU_DEP_3) | instskip(NEXT) | instid1(VALU_DEP_3)
	v_add_f64 v[24:25], v[24:25], -v[30:31]
	v_add_f64 v[16:17], v[22:23], -v[16:17]
	s_delay_alu instid0(VALU_DEP_2) | instskip(SKIP_1) | instid1(VALU_DEP_2)
	v_add_f64 v[24:25], v[24:25], -v[28:29]
	v_max_f64 v[28:29], |v[0:1]|, |v[0:1]|
	v_add_f64 v[10:11], v[10:11], v[24:25]
	s_delay_alu instid0(VALU_DEP_2) | instskip(SKIP_1) | instid1(VALU_DEP_3)
	v_max_f64 v[32:33], v[28:29], v[26:27]
	v_min_f64 v[26:27], v[28:29], v[26:27]
	v_add_f64 v[10:11], v[16:17], v[10:11]
	s_delay_alu instid0(VALU_DEP_1) | instskip(NEXT) | instid1(VALU_DEP_1)
	v_add_f64 v[16:17], v[30:31], v[10:11]
	v_mul_f64 v[22:23], v[12:13], v[16:17]
	v_add_f64 v[30:31], v[30:31], -v[16:17]
	s_delay_alu instid0(VALU_DEP_2) | instskip(NEXT) | instid1(VALU_DEP_2)
	v_mul_f64 v[24:25], v[18:19], v[22:23]
	v_add_f64 v[10:11], v[10:11], v[30:31]
	s_delay_alu instid0(VALU_DEP_2) | instskip(NEXT) | instid1(VALU_DEP_1)
	v_fma_f64 v[18:19], v[22:23], v[18:19], -v[24:25]
	v_fma_f64 v[14:15], v[22:23], v[14:15], v[18:19]
	v_div_scale_f64 v[18:19], null, v[32:33], v[32:33], v[26:27]
	s_delay_alu instid0(VALU_DEP_2) | instskip(NEXT) | instid1(VALU_DEP_2)
	v_add_f64 v[28:29], v[24:25], v[14:15]
	v_rcp_f64_e32 v[34:35], v[18:19]
	s_delay_alu instid0(VALU_DEP_1)
	v_add_f64 v[36:37], v[16:17], -v[28:29]
	v_add_f64 v[24:25], v[28:29], -v[24:25]
	s_waitcnt_depctr 0xfff
	v_fma_f64 v[38:39], -v[18:19], v[34:35], 1.0
	v_add_f64 v[16:17], v[16:17], -v[36:37]
	v_add_f64 v[14:15], v[24:25], -v[14:15]
	s_delay_alu instid0(VALU_DEP_3) | instskip(NEXT) | instid1(VALU_DEP_3)
	v_fma_f64 v[34:35], v[34:35], v[38:39], v[34:35]
	v_add_f64 v[16:17], v[16:17], -v[28:29]
	s_delay_alu instid0(VALU_DEP_2) | instskip(NEXT) | instid1(VALU_DEP_2)
	v_fma_f64 v[28:29], -v[18:19], v[34:35], 1.0
	v_add_f64 v[10:11], v[10:11], v[16:17]
	v_div_scale_f64 v[16:17], vcc_lo, v[26:27], v[32:33], v[26:27]
	s_delay_alu instid0(VALU_DEP_3) | instskip(SKIP_1) | instid1(VALU_DEP_4)
	v_fma_f64 v[24:25], v[34:35], v[28:29], v[34:35]
	v_add_f64 v[28:29], v[20:21], v[22:23]
	v_add_f64 v[10:11], v[14:15], v[10:11]
	s_delay_alu instid0(VALU_DEP_3) | instskip(NEXT) | instid1(VALU_DEP_3)
	v_mul_f64 v[14:15], v[16:17], v[24:25]
	v_add_f64 v[20:21], v[28:29], -v[20:21]
	s_delay_alu instid0(VALU_DEP_3) | instskip(NEXT) | instid1(VALU_DEP_3)
	v_add_f64 v[10:11], v[36:37], v[10:11]
	v_fma_f64 v[16:17], -v[18:19], v[14:15], v[16:17]
	s_delay_alu instid0(VALU_DEP_3) | instskip(NEXT) | instid1(VALU_DEP_3)
	v_add_f64 v[18:19], v[22:23], -v[20:21]
	v_mul_f64 v[10:11], v[12:13], v[10:11]
	s_delay_alu instid0(VALU_DEP_3) | instskip(SKIP_1) | instid1(VALU_DEP_3)
	v_div_fmas_f64 v[12:13], v[16:17], v[24:25], v[14:15]
	v_cmp_eq_f64_e32 vcc_lo, 0x7ff00000, v[8:9]
	v_add_f64 v[10:11], v[18:19], v[10:11]
	s_delay_alu instid0(VALU_DEP_3) | instskip(NEXT) | instid1(VALU_DEP_2)
	v_div_fixup_f64 v[12:13], v[12:13], v[32:33], v[26:27]
	v_add_f64 v[14:15], v[28:29], v[10:11]
	s_delay_alu instid0(VALU_DEP_2) | instskip(NEXT) | instid1(VALU_DEP_2)
	v_mul_f64 v[16:17], v[12:13], v[12:13]
	v_mul_f64 v[18:19], v[14:15], v[14:15]
	s_delay_alu instid0(VALU_DEP_2)
	v_fma_f64 v[20:21], v[16:17], s[8:9], s[6:7]
	s_mov_b32 s6, 0x6b47b09a
	s_mov_b32 s8, 0xbf559e2b
	;; [unrolled: 1-line block ×4, first 2 shown]
	s_delay_alu instid0(VALU_DEP_2) | instid1(SALU_CYCLE_1)
	v_fma_f64 v[22:23], v[18:19], s[8:9], s[6:7]
	s_mov_b32 s6, 0x69efb384
	s_mov_b32 s7, 0x3f4b2bb0
	v_mul_f64 v[24:25], v[14:15], v[18:19]
	s_delay_alu instid0(VALU_DEP_3)
	v_fma_f64 v[20:21], v[16:17], v[20:21], s[6:7]
	s_mov_b32 s6, 0xd7f4df2e
	s_mov_b32 s7, 0x3fc7474d
	s_delay_alu instid0(VALU_DEP_3) | instid1(SALU_CYCLE_1)
	v_fma_f64 v[22:23], v[18:19], v[22:23], s[6:7]
	s_mov_b32 s6, 0xaf56de9b
	s_mov_b32 s7, 0xbf67952d
	s_delay_alu instid0(VALU_DEP_2) | instid1(SALU_CYCLE_1)
	v_fma_f64 v[20:21], v[16:17], v[20:21], s[6:7]
	s_mov_b32 s6, 0x16291751
	s_mov_b32 s7, 0x3fcc71c0
	s_delay_alu instid0(VALU_DEP_2) | instid1(SALU_CYCLE_1)
	;; [unrolled: 4-line block ×7, first 2 shown]
	v_fma_f64 v[20:21], v[16:17], v[20:21], s[6:7]
	s_mov_b32 s6, 0x6ef28734
	s_mov_b32 s7, 0x3fa82d5d
	s_delay_alu instid0(VALU_DEP_2) | instskip(SKIP_3) | instid1(VALU_DEP_3)
	v_fma_f64 v[18:19], v[18:19], v[22:23], s[2:3]
	s_mov_b32 s2, 0xfc27006a
	s_mov_b32 s3, 0xbf9e9ae6
	v_ldexp_f64 v[22:23], v[14:15], 1
	v_fma_f64 v[20:21], v[16:17], v[20:21], s[2:3]
	s_mov_b32 s2, 0x5711927a
	s_mov_b32 s3, 0x3fa2c15b
	v_add_f64 v[14:15], v[14:15], -v[28:29]
	s_delay_alu instid0(VALU_DEP_4) | instskip(SKIP_1) | instid1(VALU_DEP_4)
	v_mul_f64 v[18:19], v[24:25], v[18:19]
	v_cvt_f64_i32_e32 v[24:25], v48
	v_fma_f64 v[20:21], v[16:17], v[20:21], s[2:3]
	s_mov_b32 s2, 0xe82d3ff0
	s_mov_b32 s3, 0xbfa59976
	s_delay_alu instid0(VALU_DEP_4) | instskip(NEXT) | instid1(VALU_DEP_4)
	v_add_f64 v[10:11], v[10:11], -v[14:15]
	v_add_f64 v[26:27], v[22:23], v[18:19]
	s_delay_alu instid0(VALU_DEP_3) | instskip(SKIP_2) | instid1(VALU_DEP_3)
	v_fma_f64 v[20:21], v[16:17], v[20:21], s[2:3]
	s_mov_b32 s2, 0xfefa39ef
	s_mov_b32 s3, 0x3fe62e42
	v_ldexp_f64 v[10:11], v[10:11], 1
	v_mul_f64 v[28:29], v[24:25], s[2:3]
	s_delay_alu instid0(VALU_DEP_4) | instskip(NEXT) | instid1(VALU_DEP_4)
	v_add_f64 v[14:15], v[26:27], -v[22:23]
	v_fma_f64 v[20:21], v[16:17], v[20:21], s[6:7]
	v_cmp_class_f64_e64 s6, v[0:1], 0x204
	s_delay_alu instid0(VALU_DEP_4) | instskip(SKIP_2) | instid1(VALU_DEP_4)
	v_fma_f64 v[22:23], v[24:25], s[2:3], -v[28:29]
	s_mov_b32 s2, 0x6a214619
	s_mov_b32 s3, 0xbfaae5ce
	v_add_f64 v[14:15], v[18:19], -v[14:15]
	s_delay_alu instid0(VALU_DEP_4)
	v_fma_f64 v[18:19], v[16:17], v[20:21], s[2:3]
	s_mov_b32 s2, 0x3b39803f
	s_mov_b32 s3, 0x3c7abc9e
	s_delay_alu instid0(VALU_DEP_3) | instid1(SALU_CYCLE_1)
	v_fma_f64 v[20:21], v[24:25], s[2:3], v[22:23]
	s_mov_b32 s2, 0x8427b883
	s_mov_b32 s3, 0x3fae1bb4
	s_delay_alu instid0(VALU_DEP_3) | instskip(NEXT) | instid1(VALU_DEP_3)
	v_add_f64 v[10:11], v[10:11], v[14:15]
	v_fma_f64 v[14:15], v[16:17], v[18:19], s[2:3]
	s_mov_b32 s2, 0x8b207f05
	s_mov_b32 s3, 0xbfb110e4
	s_delay_alu instid0(VALU_DEP_3) | instskip(NEXT) | instid1(VALU_DEP_3)
	v_add_f64 v[18:19], v[28:29], v[20:21]
	v_add_f64 v[22:23], v[26:27], v[10:11]
	s_delay_alu instid0(VALU_DEP_3) | instskip(SKIP_2) | instid1(VALU_DEP_3)
	v_fma_f64 v[14:15], v[16:17], v[14:15], s[2:3]
	s_mov_b32 s2, 0x57b87036
	s_mov_b32 s3, 0x3fb3b136
	v_add_f64 v[28:29], v[18:19], -v[28:29]
	s_delay_alu instid0(VALU_DEP_3) | instskip(SKIP_1) | instid1(VALU_DEP_4)
	v_add_f64 v[24:25], v[18:19], v[22:23]
	v_add_f64 v[26:27], v[22:23], -v[26:27]
	v_fma_f64 v[14:15], v[16:17], v[14:15], s[2:3]
	s_mov_b32 s2, 0x19378e4f
	s_mov_b32 s3, 0xbfb745d1
	s_delay_alu instid0(VALU_DEP_4) | instskip(NEXT) | instid1(VALU_DEP_4)
	v_add_f64 v[20:21], v[20:21], -v[28:29]
	v_add_f64 v[30:31], v[24:25], -v[18:19]
	s_delay_alu instid0(VALU_DEP_4) | instskip(NEXT) | instid1(VALU_DEP_4)
	v_add_f64 v[10:11], v[10:11], -v[26:27]
	v_fma_f64 v[14:15], v[16:17], v[14:15], s[2:3]
	s_mov_b32 s2, 0x17e1913c
	s_mov_b32 s3, 0x3fbc71c7
	s_delay_alu instid0(VALU_DEP_3) | instskip(SKIP_1) | instid1(VALU_DEP_4)
	v_add_f64 v[32:33], v[24:25], -v[30:31]
	v_add_f64 v[22:23], v[22:23], -v[30:31]
	v_add_f64 v[26:27], v[20:21], v[10:11]
	s_delay_alu instid0(VALU_DEP_4) | instskip(SKIP_2) | instid1(VALU_DEP_4)
	v_fma_f64 v[14:15], v[16:17], v[14:15], s[2:3]
	s_mov_b32 s2, 0x92376b7d
	s_mov_b32 s3, 0xbfc24924
	v_add_f64 v[18:19], v[18:19], -v[32:33]
	s_delay_alu instid0(VALU_DEP_2) | instskip(SKIP_2) | instid1(VALU_DEP_2)
	v_fma_f64 v[14:15], v[16:17], v[14:15], s[2:3]
	s_mov_b32 s2, 0x999952cc
	s_mov_b32 s3, 0x3fc99999
	v_add_f64 v[18:19], v[22:23], v[18:19]
	v_add_f64 v[22:23], v[26:27], -v[20:21]
	s_delay_alu instid0(VALU_DEP_3) | instskip(SKIP_2) | instid1(VALU_DEP_3)
	v_fma_f64 v[14:15], v[16:17], v[14:15], s[2:3]
	s_mov_b32 s2, 0x55555523
	s_mov_b32 s3, 0xbfd55555
	v_add_f64 v[18:19], v[26:27], v[18:19]
	s_delay_alu instid0(VALU_DEP_3) | instskip(SKIP_1) | instid1(VALU_DEP_4)
	v_add_f64 v[26:27], v[26:27], -v[22:23]
	v_add_f64 v[10:11], v[10:11], -v[22:23]
	v_fma_f64 v[14:15], v[16:17], v[14:15], s[2:3]
	s_mov_b32 s2, 0x54442d18
	s_mov_b32 s3, 0x3ff921fb
	s_delay_alu instid0(VALU_DEP_4) | instskip(NEXT) | instid1(VALU_DEP_2)
	v_add_f64 v[28:29], v[24:25], v[18:19]
	v_mul_f64 v[14:15], v[16:17], v[14:15]
	v_add_f64 v[16:17], v[20:21], -v[26:27]
	s_delay_alu instid0(VALU_DEP_3) | instskip(NEXT) | instid1(VALU_DEP_3)
	v_add_f64 v[20:21], v[28:29], -v[24:25]
	v_fma_f64 v[12:13], v[12:13], v[14:15], v[12:13]
	s_delay_alu instid0(VALU_DEP_3) | instskip(NEXT) | instid1(VALU_DEP_3)
	v_add_f64 v[10:11], v[10:11], v[16:17]
	v_add_f64 v[14:15], v[18:19], -v[20:21]
	s_delay_alu instid0(VALU_DEP_3) | instskip(SKIP_1) | instid1(VALU_DEP_2)
	v_add_f64 v[16:17], -v[12:13], s[2:3]
	s_mov_b32 s3, 0x400921fb
	v_add_f64 v[10:11], v[10:11], v[14:15]
	s_delay_alu instid0(VALU_DEP_2) | instskip(NEXT) | instid1(VALU_DEP_3)
	v_cndmask_b32_e64 v14, v13, v17, s0
	v_cndmask_b32_e64 v13, v12, v16, s0
	v_ashrrev_i32_e32 v17, 31, v1
	s_delay_alu instid0(VALU_DEP_2)
	v_add_f64 v[15:16], -v[13:14], s[2:3]
	v_cmp_eq_f64_e64 s2, 0, v[2:3]
	v_cmp_class_f64_e64 s3, v[2:3], 0x204
	v_add_f64 v[10:11], v[28:29], v[10:11]
	v_mov_b32_e32 v12, 0x7f3321d2
	v_and_b32_e32 v19, 0x54442d18, v17
	v_cndmask_b32_e64 v15, v13, v15, s1
	s_delay_alu instid0(VALU_DEP_4) | instskip(NEXT) | instid1(VALU_DEP_4)
	v_dual_cndmask_b32 v0, v10, v8 :: v_dual_cndmask_b32 v1, v11, v9
	v_cndmask_b32_e64 v18, 0x54442d18, v12, s1
	v_cndmask_b32_e64 v8, v14, v16, s1
	s_delay_alu instid0(VALU_DEP_4) | instskip(SKIP_3) | instid1(VALU_DEP_3)
	v_cndmask_b32_e64 v9, v15, v19, s2
	s_and_b32 vcc_lo, s6, s3
	v_mul_f64 v[12:13], v[0:1], 0.5
	v_mov_b32_e32 v0, 0x4002d97c
	v_dual_cndmask_b32 v14, v9, v18 :: v_dual_and_b32 v1, 0x400921fb, v17
                                        ; implicit-def: $vgpr10_vgpr11
	s_delay_alu instid0(VALU_DEP_2) | instskip(NEXT) | instid1(VALU_DEP_2)
	v_cndmask_b32_e64 v0, 0x3fe921fb, v0, s1
	v_cndmask_b32_e64 v1, v8, v1, s2
	s_delay_alu instid0(VALU_DEP_2) | instskip(NEXT) | instid1(VALU_DEP_1)
	v_bfi_b32 v0, 0x7fffffff, v0, v3
	v_cndmask_b32_e32 v15, v1, v0, vcc_lo
                                        ; implicit-def: $vgpr0_vgpr1
.LBB139_21:
	s_and_not1_saveexec_b32 s2, s5
	s_cbranch_execz .LBB139_23
; %bb.22:
	v_max_f64 v[8:9], |v[2:3]|, |v[2:3]|
	v_max_f64 v[12:13], |v[0:1]|, |v[0:1]|
	s_mov_b32 s6, 0xbd3237f4
	s_mov_b32 s8, 0xb5e68a13
	;; [unrolled: 1-line block ×4, first 2 shown]
	v_cmp_eq_f64_e64 s1, 0, v[2:3]
	v_cmp_class_f64_e64 s3, v[2:3], 0x204
	v_cmp_class_f64_e64 s5, v[0:1], 0x204
	v_mov_b32_e32 v0, 0x4002d97c
	v_max_f64 v[14:15], v[12:13], v[8:9]
	v_min_f64 v[8:9], v[12:13], v[8:9]
	s_delay_alu instid0(VALU_DEP_1) | instskip(SKIP_1) | instid1(VALU_DEP_2)
	v_div_scale_f64 v[12:13], null, v[14:15], v[14:15], v[8:9]
	v_div_scale_f64 v[20:21], vcc_lo, v[8:9], v[14:15], v[8:9]
	v_rcp_f64_e32 v[16:17], v[12:13]
	s_waitcnt_depctr 0xfff
	v_fma_f64 v[18:19], -v[12:13], v[16:17], 1.0
	s_delay_alu instid0(VALU_DEP_1) | instskip(NEXT) | instid1(VALU_DEP_1)
	v_fma_f64 v[16:17], v[16:17], v[18:19], v[16:17]
	v_fma_f64 v[18:19], -v[12:13], v[16:17], 1.0
	s_delay_alu instid0(VALU_DEP_1) | instskip(NEXT) | instid1(VALU_DEP_1)
	v_fma_f64 v[16:17], v[16:17], v[18:19], v[16:17]
	v_mul_f64 v[18:19], v[20:21], v[16:17]
	s_delay_alu instid0(VALU_DEP_1) | instskip(NEXT) | instid1(VALU_DEP_1)
	v_fma_f64 v[12:13], -v[12:13], v[18:19], v[20:21]
	v_div_fmas_f64 v[12:13], v[12:13], v[16:17], v[18:19]
	v_ashrrev_i32_e32 v17, 31, v1
	v_cmp_gt_i32_e32 vcc_lo, 0, v1
	s_delay_alu instid0(VALU_DEP_2) | instskip(SKIP_1) | instid1(VALU_DEP_1)
	v_and_b32_e32 v19, 0x54442d18, v17
	v_cndmask_b32_e32 v0, 0x3fe921fb, v0, vcc_lo
	v_bfi_b32 v0, 0x7fffffff, v0, v3
	v_div_fixup_f64 v[8:9], v[12:13], v[14:15], v[8:9]
	s_delay_alu instid0(VALU_DEP_1) | instskip(NEXT) | instid1(VALU_DEP_1)
	v_mul_f64 v[12:13], v[8:9], v[8:9]
	v_fma_f64 v[14:15], v[12:13], s[8:9], s[6:7]
	s_mov_b32 s6, 0x69efb384
	s_mov_b32 s7, 0x3f4b2bb0
	s_delay_alu instid0(VALU_DEP_1) | instid1(SALU_CYCLE_1)
	v_fma_f64 v[14:15], v[12:13], v[14:15], s[6:7]
	s_mov_b32 s6, 0xaf56de9b
	s_mov_b32 s7, 0xbf67952d
	s_delay_alu instid0(VALU_DEP_1) | instid1(SALU_CYCLE_1)
	;; [unrolled: 4-line block ×18, first 2 shown]
	v_fma_f64 v[14:15], v[12:13], v[14:15], s[6:7]
	s_mov_b32 s6, 0x54442d18
	s_mov_b32 s7, 0x3ff921fb
	s_delay_alu instid0(VALU_DEP_1) | instskip(SKIP_1) | instid1(VALU_DEP_2)
	v_mul_f64 v[12:13], v[12:13], v[14:15]
	v_mul_f64 v[15:16], v[10:11], 0.5
	v_fma_f64 v[8:9], v[8:9], v[12:13], v[8:9]
	s_delay_alu instid0(VALU_DEP_1) | instskip(SKIP_1) | instid1(VALU_DEP_1)
	v_add_f64 v[12:13], -v[8:9], s[6:7]
	s_mov_b32 s7, 0x400921fb
	v_cndmask_b32_e64 v9, v9, v13, s0
	s_delay_alu instid0(VALU_DEP_2) | instskip(NEXT) | instid1(VALU_DEP_1)
	v_cndmask_b32_e64 v8, v8, v12, s0
	v_add_f64 v[13:14], -v[8:9], s[6:7]
	s_delay_alu instid0(VALU_DEP_1) | instskip(NEXT) | instid1(VALU_DEP_1)
	v_dual_mov_b32 v12, 0x7f3321d2 :: v_dual_cndmask_b32 v9, v9, v14
	v_cndmask_b32_e32 v18, 0x54442d18, v12, vcc_lo
	v_and_b32_e32 v1, 0x400921fb, v17
	s_delay_alu instid0(VALU_DEP_1) | instskip(SKIP_3) | instid1(VALU_DEP_3)
	v_cndmask_b32_e64 v1, v9, v1, s1
	v_cndmask_b32_e32 v8, v8, v13, vcc_lo
	v_mul_f64 v[12:13], v[10:11], v[15:16]
	s_and_b32 vcc_lo, s5, s3
	v_cndmask_b32_e32 v15, v1, v0, vcc_lo
	s_delay_alu instid0(VALU_DEP_3) | instskip(NEXT) | instid1(VALU_DEP_1)
	v_cndmask_b32_e64 v8, v8, v19, s1
	v_cndmask_b32_e32 v14, v8, v18, vcc_lo
.LBB139_23:
	s_or_b32 exec_lo, exec_lo, s2
.LBB139_24:
	s_delay_alu instid0(SALU_CYCLE_1)
	s_or_b32 exec_lo, exec_lo, s4
                                        ; implicit-def: $vgpr0_vgpr1
.LBB139_25:
	s_and_not1_saveexec_b32 s3, s12
	s_cbranch_execz .LBB139_27
; %bb.26:
	s_mov_b32 s4, 0x8b145769
	s_mov_b32 s5, 0x4005bf0a
	v_max_f64 v[24:25], |v[0:1]|, |v[0:1]|
	v_div_scale_f64 v[8:9], null, s[4:5], s[4:5], v[0:1]
	v_div_scale_f64 v[10:11], null, s[4:5], s[4:5], v[2:3]
	v_div_scale_f64 v[20:21], vcc_lo, v[0:1], s[4:5], v[0:1]
	s_mov_b32 s8, 0x6b47b09a
	s_mov_b32 s12, 0xbf559e2b
	;; [unrolled: 1-line block ×8, first 2 shown]
	s_delay_alu instid0(VALU_DEP_3) | instskip(NEXT) | instid1(VALU_DEP_2)
	v_rcp_f64_e32 v[12:13], v[8:9]
	v_rcp_f64_e32 v[14:15], v[10:11]
	s_waitcnt_depctr 0xfff
	v_fma_f64 v[16:17], -v[8:9], v[12:13], 1.0
	v_fma_f64 v[18:19], -v[10:11], v[14:15], 1.0
	s_delay_alu instid0(VALU_DEP_2) | instskip(NEXT) | instid1(VALU_DEP_2)
	v_fma_f64 v[12:13], v[12:13], v[16:17], v[12:13]
	v_fma_f64 v[14:15], v[14:15], v[18:19], v[14:15]
	s_delay_alu instid0(VALU_DEP_2) | instskip(NEXT) | instid1(VALU_DEP_2)
	v_fma_f64 v[16:17], -v[8:9], v[12:13], 1.0
	v_fma_f64 v[18:19], -v[10:11], v[14:15], 1.0
	s_delay_alu instid0(VALU_DEP_2) | instskip(SKIP_1) | instid1(VALU_DEP_3)
	v_fma_f64 v[12:13], v[12:13], v[16:17], v[12:13]
	v_div_scale_f64 v[16:17], s1, v[2:3], s[4:5], v[2:3]
	v_fma_f64 v[14:15], v[14:15], v[18:19], v[14:15]
	s_delay_alu instid0(VALU_DEP_3) | instskip(NEXT) | instid1(VALU_DEP_2)
	v_mul_f64 v[18:19], v[20:21], v[12:13]
	v_mul_f64 v[22:23], v[16:17], v[14:15]
	s_delay_alu instid0(VALU_DEP_2) | instskip(NEXT) | instid1(VALU_DEP_2)
	v_fma_f64 v[8:9], -v[8:9], v[18:19], v[20:21]
	v_fma_f64 v[10:11], -v[10:11], v[22:23], v[16:17]
	s_delay_alu instid0(VALU_DEP_2) | instskip(SKIP_1) | instid1(VALU_DEP_2)
	v_div_fmas_f64 v[8:9], v[8:9], v[12:13], v[18:19]
	s_mov_b32 vcc_lo, s1
	v_div_fmas_f64 v[10:11], v[10:11], v[14:15], v[22:23]
	s_delay_alu instid0(VALU_DEP_2) | instskip(NEXT) | instid1(VALU_DEP_2)
	v_div_fixup_f64 v[8:9], v[8:9], s[4:5], v[0:1]
	v_div_fixup_f64 v[10:11], v[10:11], s[4:5], v[2:3]
	s_mov_b32 s5, 0x3fe55555
	s_delay_alu instid0(VALU_DEP_2) | instskip(NEXT) | instid1(VALU_DEP_2)
	v_cmp_class_f64_e64 s2, v[8:9], 0x204
	v_max_f64 v[12:13], |v[8:9]|, |v[10:11]|
	v_cmp_o_f64_e64 s1, v[8:9], v[10:11]
	v_cmp_class_f64_e64 s4, v[10:11], 0x204
	s_delay_alu instid0(VALU_DEP_3) | instskip(NEXT) | instid1(VALU_DEP_2)
	v_frexp_exp_i32_f64_e32 v20, v[12:13]
	s_or_b32 s6, s2, s4
	s_mov_b32 s4, 0x55555555
	s_delay_alu instid0(VALU_DEP_1) | instskip(NEXT) | instid1(VALU_DEP_1)
	v_sub_nc_u32_e32 v14, 0, v20
	v_ldexp_f64 v[12:13], |v[10:11]|, v14
	v_ldexp_f64 v[14:15], |v[8:9]|, v14
	s_delay_alu instid0(VALU_DEP_2) | instskip(NEXT) | instid1(VALU_DEP_1)
	v_mul_f64 v[12:13], v[12:13], v[12:13]
	v_fma_f64 v[12:13], v[14:15], v[14:15], v[12:13]
	s_delay_alu instid0(VALU_DEP_1) | instskip(SKIP_4) | instid1(VALU_DEP_1)
	v_rsq_f64_e32 v[14:15], v[12:13]
	v_cmp_eq_f64_e32 vcc_lo, 0, v[12:13]
	s_waitcnt_depctr 0xfff
	v_mul_f64 v[16:17], v[12:13], v[14:15]
	v_mul_f64 v[14:15], v[14:15], 0.5
	v_fma_f64 v[18:19], -v[14:15], v[16:17], 0.5
	s_delay_alu instid0(VALU_DEP_1) | instskip(SKIP_1) | instid1(VALU_DEP_2)
	v_fma_f64 v[16:17], v[16:17], v[18:19], v[16:17]
	v_fma_f64 v[14:15], v[14:15], v[18:19], v[14:15]
	v_fma_f64 v[18:19], -v[16:17], v[16:17], v[12:13]
	s_delay_alu instid0(VALU_DEP_1) | instskip(NEXT) | instid1(VALU_DEP_1)
	v_fma_f64 v[14:15], v[18:19], v[14:15], v[16:17]
	v_dual_cndmask_b32 v13, v15, v13 :: v_dual_cndmask_b32 v12, v14, v12
	s_delay_alu instid0(VALU_DEP_1) | instskip(SKIP_1) | instid1(VALU_DEP_2)
	v_ldexp_f64 v[12:13], v[12:13], v20
	v_mov_b32_e32 v14, 0
	v_cndmask_b32_e64 v36, 0, v12, s1
	s_delay_alu instid0(VALU_DEP_3) | instskip(SKIP_1) | instid1(VALU_DEP_3)
	v_cndmask_b32_e64 v37, 0x7ff80000, v13, s1
	v_and_b32_e32 v13, 0x7fffffff, v13
	v_cndmask_b32_e64 v8, v36, 0, s6
	s_delay_alu instid0(VALU_DEP_3) | instskip(NEXT) | instid1(VALU_DEP_1)
	v_cndmask_b32_e64 v9, v37, 0x7ff00000, s6
	v_frexp_mant_f64_e32 v[10:11], v[8:9]
	s_delay_alu instid0(VALU_DEP_1) | instskip(SKIP_1) | instid1(VALU_DEP_1)
	v_cmp_gt_f64_e64 s2, s[4:5], v[10:11]
	s_mov_b32 s4, 0x55555780
	v_cndmask_b32_e64 v15, 0x3ff00000, 2.0, s2
	s_delay_alu instid0(VALU_DEP_1) | instskip(NEXT) | instid1(VALU_DEP_1)
	v_mul_f64 v[10:11], v[10:11], v[14:15]
	v_add_f64 v[14:15], v[10:11], 1.0
	v_add_f64 v[20:21], v[10:11], -1.0
	s_delay_alu instid0(VALU_DEP_2) | instskip(SKIP_1) | instid1(VALU_DEP_1)
	v_rcp_f64_e32 v[16:17], v[14:15]
	v_add_f64 v[26:27], v[14:15], -1.0
	v_add_f64 v[10:11], v[10:11], -v[26:27]
	s_waitcnt_depctr 0xfff
	v_fma_f64 v[18:19], -v[14:15], v[16:17], 1.0
	s_delay_alu instid0(VALU_DEP_1) | instskip(NEXT) | instid1(VALU_DEP_1)
	v_fma_f64 v[16:17], v[18:19], v[16:17], v[16:17]
	v_fma_f64 v[18:19], -v[14:15], v[16:17], 1.0
	s_delay_alu instid0(VALU_DEP_1) | instskip(SKIP_1) | instid1(VALU_DEP_2)
	v_fma_f64 v[16:17], v[18:19], v[16:17], v[16:17]
	v_max_f64 v[18:19], |v[2:3]|, |v[2:3]|
	v_mul_f64 v[22:23], v[20:21], v[16:17]
	s_delay_alu instid0(VALU_DEP_2) | instskip(SKIP_1) | instid1(VALU_DEP_3)
	v_max_f64 v[30:31], v[24:25], v[18:19]
	v_min_f64 v[18:19], v[24:25], v[18:19]
	v_mul_f64 v[28:29], v[14:15], v[22:23]
	s_delay_alu instid0(VALU_DEP_2) | instskip(NEXT) | instid1(VALU_DEP_2)
	v_div_scale_f64 v[24:25], null, v[30:31], v[30:31], v[18:19]
	v_fma_f64 v[14:15], v[22:23], v[14:15], -v[28:29]
	s_delay_alu instid0(VALU_DEP_1) | instskip(NEXT) | instid1(VALU_DEP_3)
	v_fma_f64 v[10:11], v[22:23], v[10:11], v[14:15]
	v_rcp_f64_e32 v[14:15], v[24:25]
	s_delay_alu instid0(VALU_DEP_1) | instskip(SKIP_4) | instid1(VALU_DEP_3)
	v_add_f64 v[26:27], v[28:29], v[10:11]
	s_waitcnt_depctr 0xfff
	v_fma_f64 v[32:33], -v[24:25], v[14:15], 1.0
	v_add_f64 v[34:35], v[20:21], -v[26:27]
	v_add_f64 v[28:29], v[26:27], -v[28:29]
	v_fma_f64 v[14:15], v[14:15], v[32:33], v[14:15]
	s_delay_alu instid0(VALU_DEP_3) | instskip(NEXT) | instid1(VALU_DEP_3)
	v_add_f64 v[20:21], v[20:21], -v[34:35]
	v_add_f64 v[10:11], v[28:29], -v[10:11]
	s_delay_alu instid0(VALU_DEP_3) | instskip(NEXT) | instid1(VALU_DEP_3)
	v_fma_f64 v[32:33], -v[24:25], v[14:15], 1.0
	v_add_f64 v[20:21], v[20:21], -v[26:27]
	v_div_scale_f64 v[26:27], vcc_lo, v[18:19], v[30:31], v[18:19]
	s_delay_alu instid0(VALU_DEP_3) | instskip(NEXT) | instid1(VALU_DEP_3)
	v_fma_f64 v[14:15], v[14:15], v[32:33], v[14:15]
	v_add_f64 v[10:11], v[10:11], v[20:21]
	s_delay_alu instid0(VALU_DEP_2) | instskip(NEXT) | instid1(VALU_DEP_2)
	v_mul_f64 v[20:21], v[26:27], v[14:15]
	v_add_f64 v[10:11], v[34:35], v[10:11]
	s_delay_alu instid0(VALU_DEP_2) | instskip(NEXT) | instid1(VALU_DEP_2)
	v_fma_f64 v[24:25], -v[24:25], v[20:21], v[26:27]
	v_mul_f64 v[10:11], v[16:17], v[10:11]
	s_delay_alu instid0(VALU_DEP_2) | instskip(NEXT) | instid1(VALU_DEP_2)
	v_div_fmas_f64 v[14:15], v[24:25], v[14:15], v[20:21]
	v_add_f64 v[16:17], v[22:23], v[10:11]
	s_delay_alu instid0(VALU_DEP_2) | instskip(SKIP_1) | instid1(VALU_DEP_3)
	v_div_fixup_f64 v[14:15], v[14:15], v[30:31], v[18:19]
	v_frexp_exp_i32_f64_e32 v30, v[8:9]
	v_mul_f64 v[18:19], v[16:17], v[16:17]
	s_delay_alu instid0(VALU_DEP_3) | instskip(NEXT) | instid1(VALU_DEP_2)
	v_mul_f64 v[20:21], v[14:15], v[14:15]
	v_fma_f64 v[24:25], v[18:19], s[12:13], s[8:9]
	s_mov_b32 s8, 0xd7f4df2e
	s_mov_b32 s12, 0x69efb384
	s_delay_alu instid0(VALU_DEP_2) | instskip(SKIP_3) | instid1(VALU_DEP_3)
	v_fma_f64 v[26:27], v[20:21], s[16:17], s[14:15]
	s_mov_b32 s9, 0x3fc7474d
	s_mov_b32 s13, 0x3f4b2bb0
	v_mul_f64 v[28:29], v[16:17], v[18:19]
	v_fma_f64 v[24:25], v[18:19], v[24:25], s[8:9]
	s_mov_b32 s8, 0x16291751
	s_mov_b32 s9, 0x3fcc71c0
	s_delay_alu instid0(VALU_DEP_3) | instskip(SKIP_2) | instid1(VALU_DEP_2)
	v_fma_f64 v[26:27], v[20:21], v[26:27], s[12:13]
	s_mov_b32 s12, 0xaf56de9b
	s_mov_b32 s13, 0xbf67952d
	v_fma_f64 v[24:25], v[18:19], v[24:25], s[8:9]
	s_mov_b32 s8, 0x9b27acf1
	s_mov_b32 s9, 0x3fd24924
	s_delay_alu instid0(VALU_DEP_2) | instskip(SKIP_2) | instid1(VALU_DEP_2)
	v_fma_f64 v[26:27], v[20:21], v[26:27], s[12:13]
	s_mov_b32 s12, 0xa595c56f
	s_mov_b32 s13, 0x3f7d6d43
	v_fma_f64 v[24:25], v[18:19], v[24:25], s[8:9]
	s_mov_b32 s8, 0x998ef7b6
	s_mov_b32 s9, 0x3fd99999
	s_delay_alu instid0(VALU_DEP_2) | instskip(SKIP_2) | instid1(VALU_DEP_2)
	v_fma_f64 v[26:27], v[20:21], v[26:27], s[12:13]
	s_mov_b32 s12, 0xa57d9582
	s_mov_b32 s13, 0xbf8c6ea4
	v_fma_f64 v[24:25], v[18:19], v[24:25], s[8:9]
	s_mov_b32 s8, 0x5f08b19f
	s_mov_b32 s9, 0x3f967e29
	s_delay_alu instid0(VALU_DEP_2) | instskip(NEXT) | instid1(VALU_DEP_2)
	v_fma_f64 v[26:27], v[20:21], v[26:27], s[12:13]
	v_fma_f64 v[18:19], v[18:19], v[24:25], s[4:5]
	s_mov_b32 s4, 0xfc27006a
	s_mov_b32 s5, 0xbf9e9ae6
	s_delay_alu instid0(VALU_DEP_2) | instskip(SKIP_4) | instid1(VALU_DEP_4)
	v_fma_f64 v[24:25], v[20:21], v[26:27], s[8:9]
	v_ldexp_f64 v[26:27], v[16:17], 1
	v_add_f64 v[16:17], v[16:17], -v[22:23]
	s_mov_b32 s8, 0xe82d3ff0
	s_mov_b32 s9, 0xbfa59976
	v_mul_f64 v[18:19], v[28:29], v[18:19]
	v_subrev_co_ci_u32_e64 v28, vcc_lo, 0, v30, s2
	v_fma_f64 v[24:25], v[20:21], v[24:25], s[4:5]
	s_mov_b32 s4, 0x5711927a
	s_mov_b32 s5, 0x3fa2c15b
	s_delay_alu instid0(VALU_DEP_2)
	v_cvt_f64_i32_e32 v[28:29], v28
	v_add_f64 v[10:11], v[10:11], -v[16:17]
	v_cmp_eq_f64_e32 vcc_lo, 0x7ff00000, v[12:13]
	v_cmp_class_f64_e64 s2, v[0:1], 0x204
	v_mov_b32_e32 v0, 0x4002d97c
	v_add_f64 v[22:23], v[26:27], v[18:19]
	v_fma_f64 v[24:25], v[20:21], v[24:25], s[4:5]
	s_mov_b32 s4, 0xfefa39ef
	s_mov_b32 s5, 0x3fe62e42
	s_delay_alu instid0(SALU_CYCLE_1)
	v_mul_f64 v[30:31], v[28:29], s[4:5]
	v_ldexp_f64 v[10:11], v[10:11], 1
	s_and_b32 vcc_lo, s1, vcc_lo
	v_cmp_class_f64_e64 s1, v[2:3], 0x204
	v_add_f64 v[16:17], v[22:23], -v[26:27]
	v_fma_f64 v[24:25], v[20:21], v[24:25], s[8:9]
	s_mov_b32 s8, 0x6ef28734
	s_mov_b32 s9, 0x3fa82d5d
	v_fma_f64 v[26:27], v[28:29], s[4:5], -v[30:31]
	s_mov_b32 s4, 0x3b39803f
	s_mov_b32 s5, 0x3c7abc9e
	s_delay_alu instid0(VALU_DEP_3) | instskip(NEXT) | instid1(VALU_DEP_3)
	v_add_f64 v[16:17], v[18:19], -v[16:17]
	v_fma_f64 v[18:19], v[20:21], v[24:25], s[8:9]
	s_mov_b32 s8, 0x6a214619
	s_mov_b32 s9, 0xbfaae5ce
	s_delay_alu instid0(VALU_DEP_3) | instskip(SKIP_2) | instid1(VALU_DEP_3)
	v_fma_f64 v[24:25], v[28:29], s[4:5], v[26:27]
	s_mov_b32 s4, 0x8427b883
	s_mov_b32 s5, 0x3fae1bb4
	v_add_f64 v[10:11], v[10:11], v[16:17]
	s_delay_alu instid0(VALU_DEP_3) | instskip(NEXT) | instid1(VALU_DEP_3)
	v_fma_f64 v[16:17], v[20:21], v[18:19], s[8:9]
	v_add_f64 v[18:19], v[30:31], v[24:25]
	s_delay_alu instid0(VALU_DEP_3) | instskip(NEXT) | instid1(VALU_DEP_3)
	v_add_f64 v[26:27], v[22:23], v[10:11]
	v_fma_f64 v[16:17], v[20:21], v[16:17], s[4:5]
	s_mov_b32 s4, 0x8b207f05
	s_mov_b32 s5, 0xbfb110e4
	s_delay_alu instid0(VALU_DEP_3) | instskip(NEXT) | instid1(VALU_DEP_3)
	v_add_f64 v[30:31], v[18:19], -v[30:31]
	v_add_f64 v[28:29], v[18:19], v[26:27]
	v_add_f64 v[22:23], v[26:27], -v[22:23]
	s_delay_alu instid0(VALU_DEP_4) | instskip(SKIP_2) | instid1(VALU_DEP_4)
	v_fma_f64 v[16:17], v[20:21], v[16:17], s[4:5]
	s_mov_b32 s4, 0x57b87036
	s_mov_b32 s5, 0x3fb3b136
	v_add_f64 v[24:25], v[24:25], -v[30:31]
	s_delay_alu instid0(VALU_DEP_4) | instskip(NEXT) | instid1(VALU_DEP_4)
	v_add_f64 v[32:33], v[28:29], -v[18:19]
	v_add_f64 v[10:11], v[10:11], -v[22:23]
	s_delay_alu instid0(VALU_DEP_4) | instskip(SKIP_2) | instid1(VALU_DEP_3)
	v_fma_f64 v[16:17], v[20:21], v[16:17], s[4:5]
	s_mov_b32 s4, 0x19378e4f
	s_mov_b32 s5, 0xbfb745d1
	v_add_f64 v[34:35], v[28:29], -v[32:33]
	v_add_f64 v[22:23], v[26:27], -v[32:33]
	s_delay_alu instid0(VALU_DEP_4) | instskip(NEXT) | instid1(VALU_DEP_4)
	v_add_f64 v[26:27], v[24:25], v[10:11]
	v_fma_f64 v[16:17], v[20:21], v[16:17], s[4:5]
	s_mov_b32 s4, 0x17e1913c
	s_mov_b32 s5, 0x3fbc71c7
	s_delay_alu instid0(VALU_DEP_4) | instskip(NEXT) | instid1(VALU_DEP_2)
	v_add_f64 v[18:19], v[18:19], -v[34:35]
	v_fma_f64 v[16:17], v[20:21], v[16:17], s[4:5]
	s_mov_b32 s4, 0x92376b7d
	s_mov_b32 s5, 0xbfc24924
	s_delay_alu instid0(VALU_DEP_2) | instskip(SKIP_1) | instid1(VALU_DEP_3)
	v_add_f64 v[18:19], v[22:23], v[18:19]
	v_add_f64 v[22:23], v[26:27], -v[24:25]
	v_fma_f64 v[16:17], v[20:21], v[16:17], s[4:5]
	s_mov_b32 s4, 0x999952cc
	s_mov_b32 s5, 0x3fc99999
	s_delay_alu instid0(VALU_DEP_3) | instskip(NEXT) | instid1(VALU_DEP_3)
	v_add_f64 v[18:19], v[26:27], v[18:19]
	v_add_f64 v[26:27], v[26:27], -v[22:23]
	v_add_f64 v[10:11], v[10:11], -v[22:23]
	s_delay_alu instid0(VALU_DEP_4) | instskip(SKIP_2) | instid1(VALU_DEP_4)
	v_fma_f64 v[16:17], v[20:21], v[16:17], s[4:5]
	s_mov_b32 s4, 0x55555523
	s_mov_b32 s5, 0xbfd55555
	v_add_f64 v[30:31], v[28:29], v[18:19]
	s_delay_alu instid0(VALU_DEP_4) | instskip(NEXT) | instid1(VALU_DEP_3)
	v_add_f64 v[22:23], v[24:25], -v[26:27]
	v_fma_f64 v[16:17], v[20:21], v[16:17], s[4:5]
	s_mov_b32 s4, 0x54442d18
	s_mov_b32 s5, 0x3ff921fb
	s_delay_alu instid0(VALU_DEP_3) | instskip(NEXT) | instid1(VALU_DEP_3)
	v_add_f64 v[24:25], v[30:31], -v[28:29]
	v_add_f64 v[10:11], v[10:11], v[22:23]
	s_delay_alu instid0(VALU_DEP_3) | instskip(NEXT) | instid1(VALU_DEP_3)
	v_mul_f64 v[16:17], v[20:21], v[16:17]
	v_add_f64 v[18:19], v[18:19], -v[24:25]
	s_delay_alu instid0(VALU_DEP_2) | instskip(NEXT) | instid1(VALU_DEP_2)
	v_fma_f64 v[14:15], v[14:15], v[16:17], v[14:15]
	v_add_f64 v[10:11], v[10:11], v[18:19]
	s_delay_alu instid0(VALU_DEP_2) | instskip(SKIP_1) | instid1(VALU_DEP_2)
	v_add_f64 v[16:17], -v[14:15], s[4:5]
	s_mov_b32 s5, 0x400921fb
	v_add_f64 v[10:11], v[30:31], v[10:11]
	s_delay_alu instid0(VALU_DEP_2) | instskip(NEXT) | instid1(VALU_DEP_3)
	v_cndmask_b32_e64 v13, v15, v17, s0
	v_cndmask_b32_e64 v12, v14, v16, s0
	v_cmp_eq_f64_e64 s0, 0, v[2:3]
	v_mov_b32_e32 v16, 0x7f3321d2
	v_ashrrev_i32_e32 v17, 31, v1
	s_delay_alu instid0(VALU_DEP_4) | instskip(SKIP_2) | instid1(VALU_DEP_4)
	v_add_f64 v[14:15], -v[12:13], s[4:5]
	v_dual_cndmask_b32 v11, v11, v37 :: v_dual_cndmask_b32 v10, v10, v36
	v_cmp_gt_i32_e32 vcc_lo, 0, v1
	v_and_b32_e32 v1, 0x400921fb, v17
	v_and_b32_e32 v18, 0x54442d18, v17
	s_delay_alu instid0(VALU_DEP_4) | instskip(SKIP_3) | instid1(VALU_DEP_3)
	v_add_f64 v[10:11], v[10:11], 1.0
	v_cndmask_b32_e32 v0, 0x3fe921fb, v0, vcc_lo
	v_cndmask_b32_e32 v16, 0x54442d18, v16, vcc_lo
	;; [unrolled: 1-line block ×3, first 2 shown]
	v_bfi_b32 v0, 0x7fffffff, v0, v3
	s_delay_alu instid0(VALU_DEP_2) | instskip(SKIP_4) | instid1(VALU_DEP_2)
	v_cndmask_b32_e64 v1, v13, v1, s0
	v_cndmask_b32_e32 v12, v12, v14, vcc_lo
	v_cmp_ngt_f64_e32 vcc_lo, 0, v[8:9]
	v_cndmask_b32_e64 v11, v11, 0x7ff00000, s6
	v_cndmask_b32_e64 v10, v10, 0, s6
	v_cndmask_b32_e32 v11, 0x7ff80000, v11, vcc_lo
	s_and_b32 vcc_lo, s2, s1
	v_cndmask_b32_e32 v15, v1, v0, vcc_lo
	v_cndmask_b32_e64 v14, v12, v18, s0
	v_cmp_nge_f64_e64 s0, 0, v[8:9]
	s_delay_alu instid0(VALU_DEP_2) | instskip(NEXT) | instid1(VALU_DEP_2)
	v_cndmask_b32_e32 v14, v14, v16, vcc_lo
	v_cndmask_b32_e64 v12, 0, v10, s0
	v_cmp_neq_f64_e64 s0, 0, v[8:9]
	s_delay_alu instid0(VALU_DEP_1)
	v_cndmask_b32_e64 v13, 0xfff00000, v11, s0
.LBB139_27:
	s_or_b32 exec_lo, exec_lo, s3
                                        ; implicit-def: $vgpr0_vgpr1
.LBB139_28:
	s_and_not1_saveexec_b32 s0, s11
	s_cbranch_execz .LBB139_34
; %bb.29:
	v_cmp_ngt_f64_e64 s1, 0x20000000, |v[0:1]|
	v_cmp_ngt_f64_e64 s2, 0x20000000, |v[2:3]|
                                        ; implicit-def: $vgpr8_vgpr9
	s_delay_alu instid0(VALU_DEP_1) | instskip(NEXT) | instid1(SALU_CYCLE_1)
	s_or_b32 s1, s1, s2
	s_and_saveexec_b32 s2, s1
	s_delay_alu instid0(SALU_CYCLE_1)
	s_xor_b32 s1, exec_lo, s2
; %bb.30:
	v_mul_f64 v[8:9], v[2:3], v[2:3]
	s_delay_alu instid0(VALU_DEP_1)
	v_fma_f64 v[8:9], v[0:1], v[0:1], v[8:9]
                                        ; implicit-def: $vgpr0_vgpr1
; %bb.31:
	s_and_not1_saveexec_b32 s1, s1
; %bb.32:
	v_mul_f64 v[8:9], v[2:3], 4.0
	v_mul_f64 v[0:1], v[0:1], 4.0
	s_delay_alu instid0(VALU_DEP_2) | instskip(NEXT) | instid1(VALU_DEP_1)
	v_mul_f64 v[8:9], v[8:9], v[8:9]
	v_fma_f64 v[0:1], v[0:1], v[0:1], v[8:9]
	s_delay_alu instid0(VALU_DEP_1)
	v_ldexp_f64 v[8:9], v[0:1], -4
; %bb.33:
	s_or_b32 exec_lo, exec_lo, s1
	s_delay_alu instid0(VALU_DEP_1)
	v_frexp_mant_f64_e32 v[0:1], v[8:9]
	s_mov_b32 s3, 0x3fe55555
	s_mov_b32 s2, 0x55555555
	v_frexp_exp_i32_f64_e32 v2, v[8:9]
	s_mov_b32 s4, 0x6b47b09a
	s_mov_b32 s6, 0xbf559e2b
	;; [unrolled: 1-line block ×4, first 2 shown]
	s_delay_alu instid0(VALU_DEP_2) | instskip(SKIP_2) | instid1(VALU_DEP_3)
	v_cmp_gt_f64_e32 vcc_lo, s[2:3], v[0:1]
	s_mov_b32 s2, 0x55555780
	v_cndmask_b32_e64 v11, 0x3ff00000, 2.0, vcc_lo
	v_subrev_co_ci_u32_e32 v2, vcc_lo, 0, v2, vcc_lo
	v_cmp_class_f64_e64 vcc_lo, v[8:9], 0x204
	v_mov_b32_e32 v10, 0
	s_delay_alu instid0(VALU_DEP_1) | instskip(NEXT) | instid1(VALU_DEP_1)
	v_mul_f64 v[0:1], v[0:1], v[10:11]
	v_add_f64 v[10:11], v[0:1], 1.0
	v_add_f64 v[16:17], v[0:1], -1.0
	s_delay_alu instid0(VALU_DEP_2) | instskip(SKIP_1) | instid1(VALU_DEP_1)
	v_rcp_f64_e32 v[12:13], v[10:11]
	v_add_f64 v[18:19], v[10:11], -1.0
	v_add_f64 v[0:1], v[0:1], -v[18:19]
	s_waitcnt_depctr 0xfff
	v_fma_f64 v[14:15], -v[10:11], v[12:13], 1.0
	s_delay_alu instid0(VALU_DEP_1) | instskip(NEXT) | instid1(VALU_DEP_1)
	v_fma_f64 v[12:13], v[14:15], v[12:13], v[12:13]
	v_fma_f64 v[14:15], -v[10:11], v[12:13], 1.0
	s_delay_alu instid0(VALU_DEP_1) | instskip(NEXT) | instid1(VALU_DEP_1)
	v_fma_f64 v[12:13], v[14:15], v[12:13], v[12:13]
	v_mul_f64 v[14:15], v[16:17], v[12:13]
	s_delay_alu instid0(VALU_DEP_1) | instskip(NEXT) | instid1(VALU_DEP_1)
	v_mul_f64 v[20:21], v[10:11], v[14:15]
	v_fma_f64 v[10:11], v[14:15], v[10:11], -v[20:21]
	s_delay_alu instid0(VALU_DEP_1) | instskip(NEXT) | instid1(VALU_DEP_1)
	v_fma_f64 v[0:1], v[14:15], v[0:1], v[10:11]
	v_add_f64 v[10:11], v[20:21], v[0:1]
	s_delay_alu instid0(VALU_DEP_1) | instskip(SKIP_1) | instid1(VALU_DEP_2)
	v_add_f64 v[18:19], v[16:17], -v[10:11]
	v_add_f64 v[20:21], v[10:11], -v[20:21]
	;; [unrolled: 1-line block ×3, first 2 shown]
	s_delay_alu instid0(VALU_DEP_2) | instskip(NEXT) | instid1(VALU_DEP_2)
	v_add_f64 v[0:1], v[20:21], -v[0:1]
	v_add_f64 v[10:11], v[16:17], -v[10:11]
	s_delay_alu instid0(VALU_DEP_1) | instskip(NEXT) | instid1(VALU_DEP_1)
	v_add_f64 v[0:1], v[0:1], v[10:11]
	v_add_f64 v[0:1], v[18:19], v[0:1]
	s_delay_alu instid0(VALU_DEP_1) | instskip(NEXT) | instid1(VALU_DEP_1)
	v_mul_f64 v[0:1], v[12:13], v[0:1]
	v_add_f64 v[10:11], v[14:15], v[0:1]
	s_delay_alu instid0(VALU_DEP_1) | instskip(NEXT) | instid1(VALU_DEP_1)
	v_mul_f64 v[12:13], v[10:11], v[10:11]
	v_fma_f64 v[16:17], v[12:13], s[6:7], s[4:5]
	s_mov_b32 s4, 0xd7f4df2e
	s_mov_b32 s5, 0x3fc7474d
	v_mul_f64 v[18:19], v[10:11], v[12:13]
	s_delay_alu instid0(VALU_DEP_2)
	v_fma_f64 v[16:17], v[12:13], v[16:17], s[4:5]
	s_mov_b32 s4, 0x16291751
	s_mov_b32 s5, 0x3fcc71c0
	s_delay_alu instid0(VALU_DEP_1) | instid1(SALU_CYCLE_1)
	v_fma_f64 v[16:17], v[12:13], v[16:17], s[4:5]
	s_mov_b32 s4, 0x9b27acf1
	s_mov_b32 s5, 0x3fd24924
	s_delay_alu instid0(VALU_DEP_1) | instid1(SALU_CYCLE_1)
	v_fma_f64 v[16:17], v[12:13], v[16:17], s[4:5]
	s_mov_b32 s4, 0x998ef7b6
	s_mov_b32 s5, 0x3fd99999
	s_delay_alu instid0(VALU_DEP_1) | instid1(SALU_CYCLE_1)
	v_fma_f64 v[16:17], v[12:13], v[16:17], s[4:5]
	s_delay_alu instid0(VALU_DEP_1) | instskip(SKIP_4) | instid1(VALU_DEP_3)
	v_fma_f64 v[12:13], v[12:13], v[16:17], s[2:3]
	v_ldexp_f64 v[16:17], v[10:11], 1
	v_add_f64 v[10:11], v[10:11], -v[14:15]
	s_mov_b32 s2, 0xfefa39ef
	s_mov_b32 s3, 0x3fe62e42
	v_mul_f64 v[12:13], v[18:19], v[12:13]
	v_cvt_f64_i32_e32 v[18:19], v2
	s_delay_alu instid0(VALU_DEP_3) | instskip(NEXT) | instid1(VALU_DEP_3)
	v_add_f64 v[0:1], v[0:1], -v[10:11]
	v_add_f64 v[14:15], v[16:17], v[12:13]
	s_delay_alu instid0(VALU_DEP_3) | instskip(NEXT) | instid1(VALU_DEP_3)
	v_mul_f64 v[20:21], v[18:19], s[2:3]
	v_ldexp_f64 v[0:1], v[0:1], 1
	s_delay_alu instid0(VALU_DEP_3) | instskip(NEXT) | instid1(VALU_DEP_3)
	v_add_f64 v[10:11], v[14:15], -v[16:17]
	v_fma_f64 v[16:17], v[18:19], s[2:3], -v[20:21]
	s_mov_b32 s2, 0x3b39803f
	s_mov_b32 s3, 0x3c7abc9e
	s_delay_alu instid0(VALU_DEP_2) | instskip(NEXT) | instid1(VALU_DEP_2)
	v_add_f64 v[10:11], v[12:13], -v[10:11]
	v_fma_f64 v[12:13], v[18:19], s[2:3], v[16:17]
	s_delay_alu instid0(VALU_DEP_2) | instskip(NEXT) | instid1(VALU_DEP_2)
	v_add_f64 v[0:1], v[0:1], v[10:11]
	v_add_f64 v[10:11], v[20:21], v[12:13]
	s_delay_alu instid0(VALU_DEP_2) | instskip(NEXT) | instid1(VALU_DEP_2)
	v_add_f64 v[16:17], v[14:15], v[0:1]
	v_add_f64 v[20:21], v[10:11], -v[20:21]
	s_delay_alu instid0(VALU_DEP_2) | instskip(SKIP_1) | instid1(VALU_DEP_3)
	v_add_f64 v[18:19], v[10:11], v[16:17]
	v_add_f64 v[14:15], v[16:17], -v[14:15]
	v_add_f64 v[12:13], v[12:13], -v[20:21]
	s_delay_alu instid0(VALU_DEP_3) | instskip(NEXT) | instid1(VALU_DEP_3)
	v_add_f64 v[22:23], v[18:19], -v[10:11]
	v_add_f64 v[0:1], v[0:1], -v[14:15]
	s_delay_alu instid0(VALU_DEP_2) | instskip(SKIP_1) | instid1(VALU_DEP_3)
	v_add_f64 v[24:25], v[18:19], -v[22:23]
	v_add_f64 v[14:15], v[16:17], -v[22:23]
	v_add_f64 v[16:17], v[12:13], v[0:1]
	s_delay_alu instid0(VALU_DEP_3) | instskip(NEXT) | instid1(VALU_DEP_1)
	v_add_f64 v[10:11], v[10:11], -v[24:25]
	v_add_f64 v[10:11], v[14:15], v[10:11]
	s_delay_alu instid0(VALU_DEP_3) | instskip(NEXT) | instid1(VALU_DEP_2)
	v_add_f64 v[14:15], v[16:17], -v[12:13]
	v_add_f64 v[10:11], v[16:17], v[10:11]
	s_delay_alu instid0(VALU_DEP_2) | instskip(SKIP_1) | instid1(VALU_DEP_3)
	v_add_f64 v[16:17], v[16:17], -v[14:15]
	v_add_f64 v[0:1], v[0:1], -v[14:15]
	v_add_f64 v[20:21], v[18:19], v[10:11]
	s_delay_alu instid0(VALU_DEP_3) | instskip(NEXT) | instid1(VALU_DEP_2)
	v_add_f64 v[12:13], v[12:13], -v[16:17]
	v_add_f64 v[14:15], v[20:21], -v[18:19]
	s_delay_alu instid0(VALU_DEP_2) | instskip(NEXT) | instid1(VALU_DEP_2)
	v_add_f64 v[0:1], v[0:1], v[12:13]
	v_add_f64 v[10:11], v[10:11], -v[14:15]
	v_mov_b32_e32 v14, 0
	v_mov_b32_e32 v15, 0x7ff80000
	s_delay_alu instid0(VALU_DEP_3) | instskip(NEXT) | instid1(VALU_DEP_1)
	v_add_f64 v[0:1], v[0:1], v[10:11]
	v_add_f64 v[0:1], v[20:21], v[0:1]
	s_delay_alu instid0(VALU_DEP_1) | instskip(SKIP_1) | instid1(VALU_DEP_2)
	v_dual_cndmask_b32 v1, v1, v9 :: v_dual_cndmask_b32 v0, v0, v8
	v_cmp_ngt_f64_e32 vcc_lo, 0, v[8:9]
	v_cndmask_b32_e32 v1, 0x7ff80000, v1, vcc_lo
	v_cmp_nge_f64_e32 vcc_lo, 0, v[8:9]
	s_delay_alu instid0(VALU_DEP_4) | instskip(SKIP_1) | instid1(VALU_DEP_4)
	v_cndmask_b32_e32 v12, 0, v0, vcc_lo
	v_cmp_neq_f64_e32 vcc_lo, 0, v[8:9]
	v_cndmask_b32_e32 v13, 0xfff00000, v1, vcc_lo
.LBB139_34:
	s_or_b32 exec_lo, exec_lo, s0
	s_delay_alu instid0(VALU_DEP_1) | instskip(SKIP_1) | instid1(VALU_DEP_1)
	v_mul_f64 v[0:1], v[12:13], v[6:7]
	v_bfi_b32 v15, 0x7fffffff, v15, v3
	v_mul_f64 v[6:7], v[14:15], v[6:7]
	s_delay_alu instid0(VALU_DEP_3) | instskip(NEXT) | instid1(VALU_DEP_2)
	v_fma_f64 v[2:3], v[14:15], v[4:5], v[0:1]
	v_fma_f64 v[4:5], v[12:13], v[4:5], -v[6:7]
	s_delay_alu instid0(VALU_DEP_2) | instskip(NEXT) | instid1(VALU_DEP_1)
	v_and_b32_e32 v18, 0x7fffffff, v3
	v_or_b32_e32 v0, v18, v2
	s_delay_alu instid0(VALU_DEP_1) | instskip(SKIP_1) | instid1(SALU_CYCLE_1)
	v_cmp_ne_u32_e32 vcc_lo, 0, v0
                                        ; implicit-def: $vgpr0_vgpr1
	s_and_saveexec_b32 s0, vcc_lo
	s_xor_b32 s4, exec_lo, s0
	s_cbranch_execz .LBB139_40
; %bb.35:
	s_delay_alu instid0(VALU_DEP_4) | instskip(NEXT) | instid1(VALU_DEP_1)
	v_and_b32_e32 v6, 0x7fffffff, v5
	v_or_b32_e32 v0, v6, v4
	s_delay_alu instid0(VALU_DEP_1) | instskip(SKIP_1) | instid1(SALU_CYCLE_1)
	v_cmp_ne_u32_e32 vcc_lo, 0, v0
                                        ; implicit-def: $vgpr0_vgpr1
	s_and_saveexec_b32 s0, vcc_lo
	s_xor_b32 s5, exec_lo, s0
	s_cbranch_execz .LBB139_67
; %bb.36:
                                        ; implicit-def: $vgpr0_vgpr1
	s_mov_b32 s0, exec_lo
	v_cmpx_gt_u32_e32 0x7ff00000, v18
	s_xor_b32 s6, exec_lo, s0
	s_cbranch_execz .LBB139_60
; %bb.37:
	v_add_nc_u32_e32 v0, 0xbf79d1be, v5
	s_delay_alu instid0(VALU_DEP_1) | instskip(SKIP_1) | instid1(SALU_CYCLE_1)
	v_cmp_lt_u32_e32 vcc_lo, 0x108aa2, v0
                                        ; implicit-def: $vgpr0_vgpr1
	s_and_saveexec_b32 s0, vcc_lo
	s_xor_b32 s7, exec_lo, s0
	s_cbranch_execz .LBB139_49
; %bb.38:
	v_cmp_ngt_f64_e64 s1, 0x41d00000, |v[2:3]|
                                        ; implicit-def: $vgpr12
                                        ; implicit-def: $vgpr0_vgpr1
                                        ; implicit-def: $vgpr6_vgpr7
	s_delay_alu instid0(VALU_DEP_1) | instskip(NEXT) | instid1(SALU_CYCLE_1)
	s_and_saveexec_b32 s0, s1
	s_xor_b32 s2, exec_lo, s0
	s_cbranch_execz .LBB139_42
; %bb.39:
	v_ldexp_f64 v[0:1], |v[2:3]|, 0xffffff80
	v_cmp_le_f64_e64 vcc_lo, 0x7b000000, |v[2:3]|
	v_trig_preop_f64 v[6:7], |v[2:3]|, 0
	v_trig_preop_f64 v[8:9], |v[2:3]|, 1
	;; [unrolled: 1-line block ×3, first 2 shown]
	v_mov_b32_e32 v27, 0
	s_mov_b32 s8, 0x54442d18
	s_mov_b32 s9, 0x3ff921fb
	;; [unrolled: 1-line block ×4, first 2 shown]
	v_cndmask_b32_e32 v1, v18, v1, vcc_lo
	v_cndmask_b32_e32 v0, v2, v0, vcc_lo
	s_delay_alu instid0(VALU_DEP_1) | instskip(SKIP_1) | instid1(VALU_DEP_2)
	v_mul_f64 v[10:11], v[6:7], v[0:1]
	v_mul_f64 v[12:13], v[8:9], v[0:1]
	v_fma_f64 v[6:7], v[6:7], v[0:1], -v[10:11]
	s_delay_alu instid0(VALU_DEP_2) | instskip(NEXT) | instid1(VALU_DEP_2)
	v_fma_f64 v[8:9], v[8:9], v[0:1], -v[12:13]
	v_add_f64 v[14:15], v[12:13], v[6:7]
	s_delay_alu instid0(VALU_DEP_1) | instskip(SKIP_1) | instid1(VALU_DEP_2)
	v_add_f64 v[16:17], v[14:15], -v[12:13]
	v_add_f64 v[23:24], v[10:11], v[14:15]
	v_add_f64 v[21:22], v[14:15], -v[16:17]
	v_add_f64 v[6:7], v[6:7], -v[16:17]
	s_delay_alu instid0(VALU_DEP_3) | instskip(SKIP_1) | instid1(VALU_DEP_4)
	v_ldexp_f64 v[16:17], v[23:24], -2
	v_add_f64 v[10:11], v[23:24], -v[10:11]
	v_add_f64 v[12:13], v[12:13], -v[21:22]
	s_delay_alu instid0(VALU_DEP_3) | instskip(NEXT) | instid1(VALU_DEP_3)
	v_cmp_neq_f64_e64 vcc_lo, 0x7ff00000, |v[16:17]|
	v_add_f64 v[10:11], v[14:15], -v[10:11]
	s_delay_alu instid0(VALU_DEP_3) | instskip(SKIP_1) | instid1(VALU_DEP_1)
	v_add_f64 v[6:7], v[6:7], v[12:13]
	v_fract_f64_e32 v[12:13], v[16:17]
	v_dual_cndmask_b32 v13, 0, v13 :: v_dual_cndmask_b32 v12, 0, v12
	v_mul_f64 v[25:26], v[19:20], v[0:1]
	s_delay_alu instid0(VALU_DEP_2) | instskip(NEXT) | instid1(VALU_DEP_2)
	v_ldexp_f64 v[12:13], v[12:13], 2
	v_add_f64 v[21:22], v[25:26], v[8:9]
	v_fma_f64 v[0:1], v[19:20], v[0:1], -v[25:26]
	s_delay_alu instid0(VALU_DEP_2) | instskip(NEXT) | instid1(VALU_DEP_1)
	v_add_f64 v[14:15], v[21:22], v[6:7]
	v_add_f64 v[16:17], v[10:11], v[14:15]
	s_delay_alu instid0(VALU_DEP_1) | instskip(SKIP_1) | instid1(VALU_DEP_2)
	v_add_f64 v[23:24], v[16:17], v[12:13]
	v_add_f64 v[10:11], v[16:17], -v[10:11]
	v_cmp_gt_f64_e32 vcc_lo, 0, v[23:24]
	v_add_f64 v[23:24], v[21:22], -v[25:26]
	s_delay_alu instid0(VALU_DEP_3) | instskip(SKIP_1) | instid1(VALU_DEP_3)
	v_add_f64 v[10:11], v[14:15], -v[10:11]
	v_cndmask_b32_e64 v28, 0, 0x40100000, vcc_lo
	v_add_f64 v[32:33], v[21:22], -v[23:24]
	v_add_f64 v[8:9], v[8:9], -v[23:24]
	s_delay_alu instid0(VALU_DEP_3) | instskip(SKIP_1) | instid1(VALU_DEP_4)
	v_add_f64 v[12:13], v[12:13], v[27:28]
	v_add_f64 v[28:29], v[14:15], -v[21:22]
	v_add_f64 v[23:24], v[25:26], -v[32:33]
	s_delay_alu instid0(VALU_DEP_3) | instskip(NEXT) | instid1(VALU_DEP_3)
	v_add_f64 v[30:31], v[16:17], v[12:13]
	v_add_f64 v[34:35], v[14:15], -v[28:29]
	v_add_f64 v[6:7], v[6:7], -v[28:29]
	s_delay_alu instid0(VALU_DEP_4) | instskip(NEXT) | instid1(VALU_DEP_4)
	v_add_f64 v[8:9], v[8:9], v[23:24]
	v_cvt_i32_f64_e32 v30, v[30:31]
	s_delay_alu instid0(VALU_DEP_4) | instskip(NEXT) | instid1(VALU_DEP_2)
	v_add_f64 v[21:22], v[21:22], -v[34:35]
	v_cvt_f64_i32_e32 v[28:29], v30
	s_delay_alu instid0(VALU_DEP_2) | instskip(NEXT) | instid1(VALU_DEP_2)
	v_add_f64 v[6:7], v[6:7], v[21:22]
	v_add_f64 v[12:13], v[12:13], -v[28:29]
	s_delay_alu instid0(VALU_DEP_2) | instskip(NEXT) | instid1(VALU_DEP_2)
	v_add_f64 v[6:7], v[8:9], v[6:7]
	v_add_f64 v[8:9], v[16:17], v[12:13]
	s_delay_alu instid0(VALU_DEP_2) | instskip(NEXT) | instid1(VALU_DEP_2)
	v_add_f64 v[0:1], v[0:1], v[6:7]
	v_add_f64 v[6:7], v[8:9], -v[12:13]
	v_cmp_le_f64_e32 vcc_lo, 0.5, v[8:9]
	s_delay_alu instid0(VALU_DEP_3) | instskip(NEXT) | instid1(VALU_DEP_3)
	v_add_f64 v[0:1], v[10:11], v[0:1]
	v_add_f64 v[6:7], v[16:17], -v[6:7]
	v_cndmask_b32_e64 v28, 0, 0x3ff00000, vcc_lo
	v_add_co_ci_u32_e64 v12, s0, 0, v30, vcc_lo
	s_delay_alu instid0(VALU_DEP_3) | instskip(NEXT) | instid1(VALU_DEP_3)
	v_add_f64 v[0:1], v[0:1], v[6:7]
	v_add_f64 v[6:7], v[8:9], -v[27:28]
	s_delay_alu instid0(VALU_DEP_1) | instskip(NEXT) | instid1(VALU_DEP_1)
	v_add_f64 v[8:9], v[6:7], v[0:1]
	v_mul_f64 v[10:11], v[8:9], s[8:9]
	v_add_f64 v[6:7], v[8:9], -v[6:7]
	s_delay_alu instid0(VALU_DEP_2) | instskip(NEXT) | instid1(VALU_DEP_2)
	v_fma_f64 v[13:14], v[8:9], s[8:9], -v[10:11]
	v_add_f64 v[0:1], v[0:1], -v[6:7]
	s_delay_alu instid0(VALU_DEP_2) | instskip(NEXT) | instid1(VALU_DEP_1)
	v_fma_f64 v[6:7], v[8:9], s[10:11], v[13:14]
	v_fma_f64 v[6:7], v[0:1], s[8:9], v[6:7]
	s_delay_alu instid0(VALU_DEP_1) | instskip(NEXT) | instid1(VALU_DEP_1)
	v_add_f64 v[0:1], v[10:11], v[6:7]
	v_add_f64 v[8:9], v[0:1], -v[10:11]
	s_delay_alu instid0(VALU_DEP_1)
	v_add_f64 v[6:7], v[6:7], -v[8:9]
	s_and_not1_saveexec_b32 s0, s2
	s_cbranch_execz .LBB139_44
	s_branch .LBB139_43
.LBB139_40:
	s_and_not1_saveexec_b32 s1, s4
	s_cbranch_execz .LBB139_78
.LBB139_41:
	s_mov_b32 s2, 0x652b82fe
	s_mov_b32 s3, 0x3ff71547
	;; [unrolled: 1-line block ×3, first 2 shown]
	s_delay_alu instid0(VALU_DEP_4)
	v_mul_f64 v[0:1], v[4:5], s[2:3]
	s_mov_b32 s2, 0xfefa39ef
	s_mov_b32 s3, 0xbfe62e42
	;; [unrolled: 1-line block ×3, first 2 shown]
	v_cmp_nlt_f64_e32 vcc_lo, 0x40900000, v[4:5]
	v_cmp_ngt_f64_e64 s0, 0xc090cc00, v[4:5]
	s_delay_alu instid0(VALU_DEP_3) | instskip(NEXT) | instid1(VALU_DEP_1)
	v_rndne_f64_e32 v[0:1], v[0:1]
	v_fma_f64 v[6:7], v[0:1], s[2:3], v[4:5]
	s_mov_b32 s2, 0x3b39803f
	s_mov_b32 s3, 0xbc7abc9e
	v_cvt_i32_f64_e32 v10, v[0:1]
	s_delay_alu instid0(VALU_DEP_2)
	v_fma_f64 v[6:7], v[0:1], s[2:3], v[6:7]
	s_mov_b32 s2, 0xfca7ab0c
	s_mov_b32 s3, 0x3e928af3
	s_delay_alu instid0(VALU_DEP_1) | instid1(SALU_CYCLE_1)
	v_fma_f64 v[8:9], v[6:7], s[4:5], s[2:3]
	s_mov_b32 s2, 0x623fde64
	s_mov_b32 s3, 0x3ec71dee
	s_delay_alu instid0(VALU_DEP_1) | instid1(SALU_CYCLE_1)
	;; [unrolled: 4-line block ×9, first 2 shown]
	v_fma_f64 v[8:9], v[6:7], v[8:9], s[2:3]
	s_delay_alu instid0(VALU_DEP_1) | instskip(NEXT) | instid1(VALU_DEP_1)
	v_fma_f64 v[8:9], v[6:7], v[8:9], 1.0
	v_fma_f64 v[0:1], v[6:7], v[8:9], 1.0
	s_delay_alu instid0(VALU_DEP_1) | instskip(NEXT) | instid1(VALU_DEP_1)
	v_ldexp_f64 v[0:1], v[0:1], v10
	v_cndmask_b32_e32 v1, 0x7ff00000, v1, vcc_lo
	s_and_b32 vcc_lo, s0, vcc_lo
	s_delay_alu instid0(VALU_DEP_2) | instskip(NEXT) | instid1(VALU_DEP_2)
	v_cndmask_b32_e32 v0, 0, v0, vcc_lo
	v_cndmask_b32_e64 v1, 0, v1, s0
	s_or_b32 exec_lo, exec_lo, s1
	s_setpc_b64 s[30:31]
.LBB139_42:
	s_and_not1_saveexec_b32 s0, s2
	s_cbranch_execz .LBB139_44
.LBB139_43:
	s_mov_b32 s2, 0x6dc9c883
	s_mov_b32 s3, 0x3fe45f30
	s_mov_b32 s9, 0xbc91a626
	v_mul_f64 v[0:1], |v[2:3]|, s[2:3]
	s_mov_b32 s2, 0x54442d18
	s_mov_b32 s3, 0xbff921fb
	;; [unrolled: 1-line block ×3, first 2 shown]
	s_delay_alu instid0(VALU_DEP_1) | instskip(NEXT) | instid1(VALU_DEP_1)
	v_rndne_f64_e32 v[8:9], v[0:1]
	v_fma_f64 v[0:1], v[8:9], s[2:3], |v[2:3]|
	v_mul_f64 v[6:7], v[8:9], s[8:9]
	s_mov_b32 s2, 0x252049c0
	s_mov_b32 s3, 0xb97b839a
	s_delay_alu instid0(VALU_DEP_2) | instskip(NEXT) | instid1(VALU_DEP_2)
	v_fma_f64 v[12:13], v[8:9], s[8:9], v[0:1]
	v_add_f64 v[10:11], v[0:1], v[6:7]
	s_mov_b32 s9, 0x3c91a626
	s_delay_alu instid0(VALU_DEP_1) | instskip(NEXT) | instid1(VALU_DEP_3)
	v_add_f64 v[0:1], v[0:1], -v[10:11]
	v_add_f64 v[10:11], v[10:11], -v[12:13]
	s_delay_alu instid0(VALU_DEP_2) | instskip(SKIP_1) | instid1(VALU_DEP_2)
	v_add_f64 v[0:1], v[0:1], v[6:7]
	v_fma_f64 v[6:7], v[8:9], s[8:9], v[6:7]
	v_add_f64 v[0:1], v[10:11], v[0:1]
	s_delay_alu instid0(VALU_DEP_1) | instskip(NEXT) | instid1(VALU_DEP_1)
	v_add_f64 v[0:1], v[0:1], -v[6:7]
	v_fma_f64 v[6:7], v[8:9], s[2:3], v[0:1]
	s_delay_alu instid0(VALU_DEP_1) | instskip(NEXT) | instid1(VALU_DEP_1)
	v_add_f64 v[0:1], v[12:13], v[6:7]
	v_add_f64 v[10:11], v[0:1], -v[12:13]
	v_cvt_i32_f64_e32 v12, v[8:9]
	s_delay_alu instid0(VALU_DEP_2)
	v_add_f64 v[6:7], v[6:7], -v[10:11]
.LBB139_44:
	s_or_b32 exec_lo, exec_lo, s0
                                        ; implicit-def: $vgpr13
                                        ; implicit-def: $vgpr8_vgpr9
                                        ; implicit-def: $vgpr10_vgpr11
	s_and_saveexec_b32 s0, s1
	s_delay_alu instid0(SALU_CYCLE_1)
	s_xor_b32 s1, exec_lo, s0
	s_cbranch_execz .LBB139_46
; %bb.45:
	v_ldexp_f64 v[8:9], |v[2:3]|, 0xffffff80
	v_cmp_le_f64_e64 vcc_lo, 0x7b000000, |v[2:3]|
	v_trig_preop_f64 v[10:11], |v[2:3]|, 0
	v_trig_preop_f64 v[13:14], |v[2:3]|, 1
	;; [unrolled: 1-line block ×3, first 2 shown]
	v_mov_b32_e32 v31, 0
	s_mov_b32 s2, 0x54442d18
	s_mov_b32 s3, 0x3ff921fb
	;; [unrolled: 1-line block ×4, first 2 shown]
	v_cndmask_b32_e32 v9, v18, v9, vcc_lo
	v_cndmask_b32_e32 v8, v2, v8, vcc_lo
	s_delay_alu instid0(VALU_DEP_1) | instskip(SKIP_1) | instid1(VALU_DEP_2)
	v_mul_f64 v[15:16], v[10:11], v[8:9]
	v_mul_f64 v[17:18], v[13:14], v[8:9]
	v_fma_f64 v[10:11], v[10:11], v[8:9], -v[15:16]
	s_delay_alu instid0(VALU_DEP_2) | instskip(NEXT) | instid1(VALU_DEP_2)
	v_fma_f64 v[13:14], v[13:14], v[8:9], -v[17:18]
	v_add_f64 v[19:20], v[17:18], v[10:11]
	s_delay_alu instid0(VALU_DEP_1) | instskip(SKIP_1) | instid1(VALU_DEP_2)
	v_add_f64 v[21:22], v[19:20], -v[17:18]
	v_add_f64 v[27:28], v[15:16], v[19:20]
	v_add_f64 v[25:26], v[19:20], -v[21:22]
	v_add_f64 v[10:11], v[10:11], -v[21:22]
	s_delay_alu instid0(VALU_DEP_3) | instskip(SKIP_1) | instid1(VALU_DEP_4)
	v_ldexp_f64 v[21:22], v[27:28], -2
	v_add_f64 v[15:16], v[27:28], -v[15:16]
	v_add_f64 v[17:18], v[17:18], -v[25:26]
	s_delay_alu instid0(VALU_DEP_3) | instskip(NEXT) | instid1(VALU_DEP_3)
	v_cmp_neq_f64_e64 vcc_lo, 0x7ff00000, |v[21:22]|
	v_add_f64 v[15:16], v[19:20], -v[15:16]
	s_delay_alu instid0(VALU_DEP_3) | instskip(SKIP_1) | instid1(VALU_DEP_1)
	v_add_f64 v[10:11], v[10:11], v[17:18]
	v_fract_f64_e32 v[17:18], v[21:22]
	v_dual_cndmask_b32 v17, 0, v17 :: v_dual_cndmask_b32 v18, 0, v18
	v_mul_f64 v[29:30], v[23:24], v[8:9]
	s_delay_alu instid0(VALU_DEP_2) | instskip(NEXT) | instid1(VALU_DEP_2)
	v_ldexp_f64 v[17:18], v[17:18], 2
	v_add_f64 v[25:26], v[29:30], v[13:14]
	v_fma_f64 v[8:9], v[23:24], v[8:9], -v[29:30]
	s_delay_alu instid0(VALU_DEP_2) | instskip(NEXT) | instid1(VALU_DEP_1)
	v_add_f64 v[19:20], v[25:26], v[10:11]
	v_add_f64 v[21:22], v[15:16], v[19:20]
	s_delay_alu instid0(VALU_DEP_1) | instskip(SKIP_1) | instid1(VALU_DEP_2)
	v_add_f64 v[27:28], v[21:22], v[17:18]
	v_add_f64 v[15:16], v[21:22], -v[15:16]
	v_cmp_gt_f64_e32 vcc_lo, 0, v[27:28]
	v_add_f64 v[27:28], v[25:26], -v[29:30]
	v_cndmask_b32_e64 v32, 0, 0x40100000, vcc_lo
	s_delay_alu instid0(VALU_DEP_2) | instskip(SKIP_1) | instid1(VALU_DEP_3)
	v_add_f64 v[36:37], v[25:26], -v[27:28]
	v_add_f64 v[13:14], v[13:14], -v[27:28]
	v_add_f64 v[17:18], v[17:18], v[31:32]
	v_add_f64 v[32:33], v[19:20], -v[25:26]
	s_delay_alu instid0(VALU_DEP_4) | instskip(NEXT) | instid1(VALU_DEP_3)
	v_add_f64 v[27:28], v[29:30], -v[36:37]
	v_add_f64 v[34:35], v[21:22], v[17:18]
	s_delay_alu instid0(VALU_DEP_3) | instskip(SKIP_1) | instid1(VALU_DEP_4)
	v_add_f64 v[38:39], v[19:20], -v[32:33]
	v_add_f64 v[10:11], v[10:11], -v[32:33]
	v_add_f64 v[13:14], v[13:14], v[27:28]
	s_delay_alu instid0(VALU_DEP_4) | instskip(NEXT) | instid1(VALU_DEP_4)
	v_cvt_i32_f64_e32 v34, v[34:35]
	v_add_f64 v[25:26], v[25:26], -v[38:39]
	s_delay_alu instid0(VALU_DEP_2) | instskip(NEXT) | instid1(VALU_DEP_2)
	v_cvt_f64_i32_e32 v[32:33], v34
	v_add_f64 v[10:11], v[10:11], v[25:26]
	s_delay_alu instid0(VALU_DEP_2) | instskip(NEXT) | instid1(VALU_DEP_2)
	v_add_f64 v[17:18], v[17:18], -v[32:33]
	v_add_f64 v[10:11], v[13:14], v[10:11]
	v_add_f64 v[13:14], v[19:20], -v[15:16]
	s_delay_alu instid0(VALU_DEP_3) | instskip(NEXT) | instid1(VALU_DEP_3)
	v_add_f64 v[23:24], v[21:22], v[17:18]
	v_add_f64 v[8:9], v[8:9], v[10:11]
	s_delay_alu instid0(VALU_DEP_2) | instskip(SKIP_1) | instid1(VALU_DEP_3)
	v_add_f64 v[10:11], v[23:24], -v[17:18]
	v_cmp_le_f64_e32 vcc_lo, 0.5, v[23:24]
	v_add_f64 v[8:9], v[13:14], v[8:9]
	s_delay_alu instid0(VALU_DEP_3) | instskip(SKIP_2) | instid1(VALU_DEP_3)
	v_add_f64 v[10:11], v[21:22], -v[10:11]
	v_cndmask_b32_e64 v32, 0, 0x3ff00000, vcc_lo
	v_add_co_ci_u32_e64 v13, s0, 0, v34, vcc_lo
	v_add_f64 v[8:9], v[8:9], v[10:11]
	s_delay_alu instid0(VALU_DEP_3) | instskip(NEXT) | instid1(VALU_DEP_1)
	v_add_f64 v[10:11], v[23:24], -v[31:32]
	v_add_f64 v[14:15], v[10:11], v[8:9]
	s_delay_alu instid0(VALU_DEP_1) | instskip(SKIP_1) | instid1(VALU_DEP_2)
	v_mul_f64 v[16:17], v[14:15], s[2:3]
	v_add_f64 v[10:11], v[14:15], -v[10:11]
	v_fma_f64 v[18:19], v[14:15], s[2:3], -v[16:17]
	s_delay_alu instid0(VALU_DEP_2) | instskip(NEXT) | instid1(VALU_DEP_2)
	v_add_f64 v[8:9], v[8:9], -v[10:11]
	v_fma_f64 v[10:11], v[14:15], s[8:9], v[18:19]
	s_delay_alu instid0(VALU_DEP_1) | instskip(NEXT) | instid1(VALU_DEP_1)
	v_fma_f64 v[10:11], v[8:9], s[2:3], v[10:11]
	v_add_f64 v[8:9], v[16:17], v[10:11]
	s_delay_alu instid0(VALU_DEP_1) | instskip(NEXT) | instid1(VALU_DEP_1)
	v_add_f64 v[14:15], v[8:9], -v[16:17]
	v_add_f64 v[10:11], v[10:11], -v[14:15]
	s_and_not1_saveexec_b32 s0, s1
	s_cbranch_execnz .LBB139_47
	s_branch .LBB139_48
.LBB139_46:
	s_and_not1_saveexec_b32 s0, s1
	s_cbranch_execz .LBB139_48
.LBB139_47:
	s_mov_b32 s2, 0x6dc9c883
	s_mov_b32 s3, 0x3fe45f30
	;; [unrolled: 1-line block ×3, first 2 shown]
	v_mul_f64 v[8:9], |v[2:3]|, s[2:3]
	s_mov_b32 s2, 0x54442d18
	s_mov_b32 s3, 0xbff921fb
	;; [unrolled: 1-line block ×3, first 2 shown]
	s_delay_alu instid0(VALU_DEP_1) | instskip(NEXT) | instid1(VALU_DEP_1)
	v_rndne_f64_e32 v[13:14], v[8:9]
	v_fma_f64 v[8:9], v[13:14], s[2:3], |v[2:3]|
	v_mul_f64 v[10:11], v[13:14], s[8:9]
	s_mov_b32 s2, 0x252049c0
	s_mov_b32 s3, 0xb97b839a
	s_delay_alu instid0(VALU_DEP_2) | instskip(NEXT) | instid1(VALU_DEP_2)
	v_fma_f64 v[17:18], v[13:14], s[8:9], v[8:9]
	v_add_f64 v[15:16], v[8:9], v[10:11]
	s_mov_b32 s9, 0x3c91a626
	s_delay_alu instid0(VALU_DEP_1) | instskip(NEXT) | instid1(VALU_DEP_3)
	v_add_f64 v[8:9], v[8:9], -v[15:16]
	v_add_f64 v[15:16], v[15:16], -v[17:18]
	s_delay_alu instid0(VALU_DEP_2) | instskip(SKIP_1) | instid1(VALU_DEP_2)
	v_add_f64 v[8:9], v[8:9], v[10:11]
	v_fma_f64 v[10:11], v[13:14], s[8:9], v[10:11]
	v_add_f64 v[8:9], v[15:16], v[8:9]
	s_delay_alu instid0(VALU_DEP_1) | instskip(NEXT) | instid1(VALU_DEP_1)
	v_add_f64 v[8:9], v[8:9], -v[10:11]
	v_fma_f64 v[10:11], v[13:14], s[2:3], v[8:9]
	v_cvt_i32_f64_e32 v13, v[13:14]
	s_delay_alu instid0(VALU_DEP_2) | instskip(NEXT) | instid1(VALU_DEP_1)
	v_add_f64 v[8:9], v[17:18], v[10:11]
	v_add_f64 v[15:16], v[8:9], -v[17:18]
	s_delay_alu instid0(VALU_DEP_1)
	v_add_f64 v[10:11], v[10:11], -v[15:16]
.LBB139_48:
	s_or_b32 exec_lo, exec_lo, s0
	s_mov_b32 s0, 0x652b82fe
	s_mov_b32 s1, 0x3ff71547
	;; [unrolled: 1-line block ×3, first 2 shown]
	v_mul_f64 v[14:15], v[4:5], s[0:1]
	s_mov_b32 s0, 0xfefa39ef
	s_mov_b32 s1, 0xbfe62e42
	;; [unrolled: 1-line block ×3, first 2 shown]
	v_mul_f64 v[20:21], v[0:1], v[0:1]
	v_mul_f64 v[22:23], v[8:9], v[8:9]
	s_mov_b32 s8, 0x1852b7b0
	s_mov_b32 s9, 0x3f56c16c
	;; [unrolled: 1-line block ×4, first 2 shown]
	s_delay_alu instid0(VALU_DEP_4)
	v_mul_f64 v[48:49], v[6:7], 0.5
	s_mov_b32 s12, 0x19f4ec90
	s_mov_b32 s13, 0x3efa01a0
	v_mul_f64 v[54:55], v[10:11], 0.5
	v_rndne_f64_e32 v[14:15], v[14:15]
	v_mul_f64 v[28:29], v[20:21], 0.5
	v_mul_f64 v[32:33], v[22:23], 0.5
	v_mul_f64 v[50:51], v[0:1], -v[20:21]
	v_mul_f64 v[64:65], v[8:9], -v[22:23]
	v_fma_f64 v[16:17], v[14:15], s[0:1], v[4:5]
	s_mov_b32 s0, 0x3b39803f
	s_mov_b32 s1, 0xbc7abc9e
	v_add_f64 v[36:37], -v[28:29], 1.0
	v_add_f64 v[38:39], -v[32:33], 1.0
	s_delay_alu instid0(VALU_DEP_3) | instskip(SKIP_2) | instid1(VALU_DEP_3)
	v_fma_f64 v[16:17], v[14:15], s[0:1], v[16:17]
	s_mov_b32 s0, 0xfca7ab0c
	s_mov_b32 s1, 0x3e928af3
	v_add_f64 v[52:53], -v[36:37], 1.0
	s_delay_alu instid0(VALU_DEP_3) | instskip(NEXT) | instid1(VALU_DEP_3)
	v_add_f64 v[66:67], -v[38:39], 1.0
	v_fma_f64 v[18:19], v[16:17], s[2:3], s[0:1]
	s_mov_b32 s0, 0x623fde64
	s_mov_b32 s1, 0x3ec71dee
	;; [unrolled: 1-line block ×4, first 2 shown]
	s_delay_alu instid0(VALU_DEP_3) | instskip(NEXT) | instid1(VALU_DEP_3)
	v_add_f64 v[28:29], v[52:53], -v[28:29]
	v_add_f64 v[32:33], v[66:67], -v[32:33]
	s_delay_alu instid0(VALU_DEP_3) | instskip(SKIP_2) | instid1(VALU_DEP_3)
	v_fma_f64 v[18:19], v[16:17], v[18:19], s[0:1]
	s_mov_b32 s0, 0x7c89e6b0
	s_mov_b32 s1, 0x3efa0199
	v_fma_f64 v[28:29], v[0:1], -v[6:7], v[28:29]
	s_delay_alu instid0(VALU_DEP_2)
	v_fma_f64 v[18:19], v[16:17], v[18:19], s[0:1]
	s_mov_b32 s0, 0x14761f6e
	s_mov_b32 s1, 0x3f2a01a0
	s_delay_alu instid0(VALU_DEP_1) | instid1(SALU_CYCLE_1)
	v_fma_f64 v[18:19], v[16:17], v[18:19], s[0:1]
	s_mov_b32 s0, 0xb42fdfa7
	s_mov_b32 s1, 0xbe5ae600
	s_delay_alu instid0(SALU_CYCLE_1)
	v_fma_f64 v[24:25], v[20:21], s[2:3], s[0:1]
	v_fma_f64 v[26:27], v[22:23], s[2:3], s[0:1]
	s_mov_b32 s2, 0x796cde01
	s_mov_b32 s3, 0x3ec71de3
	;; [unrolled: 1-line block ×4, first 2 shown]
	s_delay_alu instid0(VALU_DEP_3) | instskip(SKIP_2) | instid1(VALU_DEP_3)
	v_fma_f64 v[18:19], v[16:17], v[18:19], s[8:9]
	s_mov_b32 s8, 0x9037ab78
	s_mov_b32 s9, 0x3e21eeb6
	v_fma_f64 v[24:25], v[20:21], v[24:25], s[2:3]
	v_fma_f64 v[30:31], v[20:21], s[0:1], s[8:9]
	;; [unrolled: 1-line block ×4, first 2 shown]
	s_mov_b32 s2, 0x19e83e5c
	s_mov_b32 s3, 0xbf2a01a0
	;; [unrolled: 1-line block ×6, first 2 shown]
	v_fma_f64 v[18:19], v[16:17], v[18:19], s[10:11]
	s_mov_b32 s10, 0x11110bb3
	v_fma_f64 v[24:25], v[20:21], v[24:25], s[2:3]
	v_fma_f64 v[30:31], v[20:21], v[30:31], s[0:1]
	;; [unrolled: 1-line block ×4, first 2 shown]
	s_mov_b32 s0, 0x55555511
	s_mov_b32 s1, 0x3fc55555
	;; [unrolled: 1-line block ×4, first 2 shown]
	v_fma_f64 v[18:19], v[16:17], v[18:19], s[8:9]
	s_mov_b32 s8, 0x55555555
	v_fma_f64 v[24:25], v[20:21], v[24:25], s[10:11]
	v_fma_f64 v[30:31], v[20:21], v[30:31], s[12:13]
	;; [unrolled: 1-line block ×5, first 2 shown]
	s_mov_b32 s0, 0x16c16967
	s_mov_b32 s1, 0xbf56c16c
	v_fma_f64 v[24:25], v[50:51], v[24:25], v[48:49]
	v_fma_f64 v[30:31], v[20:21], v[30:31], s[0:1]
	;; [unrolled: 1-line block ×4, first 2 shown]
	v_mul_f64 v[48:49], v[20:21], v[20:21]
	v_cmp_nlt_f64_e64 s1, 0x40900000, v[4:5]
	v_cmp_class_f64_e64 s0, v[2:3], 0x1f8
	v_lshlrev_b32_e32 v2, 30, v13
	s_delay_alu instid0(VALU_DEP_1) | instskip(NEXT) | instid1(VALU_DEP_1)
	v_xor_b32_e32 v2, v2, v3
	v_and_b32_e32 v2, 0x80000000, v2
	v_fma_f64 v[18:19], v[16:17], v[18:19], s[2:3]
	v_cmp_ngt_f64_e64 s2, 0xc090cc00, v[4:5]
	v_lshlrev_b32_e32 v4, 30, v12
	v_and_b32_e32 v5, 1, v13
	v_fma_f64 v[6:7], v[20:21], v[24:25], -v[6:7]
	v_fma_f64 v[30:31], v[20:21], v[30:31], s[8:9]
	v_mul_f64 v[20:21], v[22:23], v[22:23]
	v_fma_f64 v[24:25], v[8:9], -v[10:11], v[32:33]
	v_fma_f64 v[32:33], v[22:23], v[34:35], s[8:9]
	v_fma_f64 v[10:11], v[22:23], v[26:27], -v[10:11]
	s_mov_b32 s9, 0xbfc55555
	v_cvt_i32_f64_e32 v26, v[14:15]
	v_cmp_eq_u32_e64 s3, 0, v5
	v_fma_f64 v[18:19], v[16:17], v[18:19], 1.0
	v_fma_f64 v[6:7], v[50:51], s[8:9], v[6:7]
	v_fma_f64 v[22:23], v[48:49], v[30:31], v[28:29]
	;; [unrolled: 1-line block ×3, first 2 shown]
	s_delay_alu instid0(VALU_DEP_4)
	v_fma_f64 v[14:15], v[16:17], v[18:19], 1.0
	v_fma_f64 v[16:17], v[20:21], v[32:33], v[24:25]
	v_add_f64 v[0:1], v[0:1], -v[6:7]
	v_add_f64 v[18:19], v[36:37], v[22:23]
	v_add_f64 v[8:9], v[8:9], -v[10:11]
	v_ldexp_f64 v[6:7], v[14:15], v26
	v_add_f64 v[14:15], v[38:39], v[16:17]
	v_xor_b32_e32 v1, 0x80000000, v1
	v_and_b32_e32 v10, 1, v12
	s_delay_alu instid0(VALU_DEP_1) | instskip(NEXT) | instid1(VALU_DEP_3)
	v_cmp_eq_u32_e32 vcc_lo, 0, v10
	v_dual_cndmask_b32 v1, v1, v19 :: v_dual_cndmask_b32 v0, v0, v18
	s_and_b32 vcc_lo, s2, s1
	v_and_b32_e32 v3, 0x80000000, v4
                                        ; implicit-def: $vgpr18
	s_delay_alu instid0(VALU_DEP_2) | instskip(NEXT) | instid1(VALU_DEP_2)
	v_cndmask_b32_e64 v0, 0, v0, s0
	v_xor_b32_e32 v1, v1, v3
	s_delay_alu instid0(VALU_DEP_1) | instskip(SKIP_3) | instid1(VALU_DEP_2)
	v_cndmask_b32_e64 v1, 0x7ff80000, v1, s0
	v_cndmask_b32_e64 v7, 0x7ff00000, v7, s1
	;; [unrolled: 1-line block ×4, first 2 shown]
	v_xor_b32_e32 v3, v5, v2
	s_delay_alu instid0(VALU_DEP_2) | instskip(SKIP_2) | instid1(VALU_DEP_4)
	v_cndmask_b32_e64 v2, 0, v4, s0
	v_cndmask_b32_e32 v4, 0, v6, vcc_lo
	v_cndmask_b32_e64 v5, 0, v7, s2
	v_cndmask_b32_e64 v3, 0x7ff80000, v3, s0
	s_delay_alu instid0(VALU_DEP_2) | instskip(NEXT) | instid1(VALU_DEP_2)
	v_mul_f64 v[0:1], v[4:5], v[0:1]
	v_mul_f64 v[2:3], v[4:5], v[2:3]
                                        ; implicit-def: $vgpr4_vgpr5
.LBB139_49:
	s_and_not1_saveexec_b32 s7, s7
	s_cbranch_execz .LBB139_52
; %bb.50:
	s_delay_alu instid0(VALU_DEP_1) | instskip(NEXT) | instid1(VALU_DEP_1)
	v_cmp_ngt_f64_e64 s1, 0x41d00000, |v[2:3]|
                                        ; implicit-def: $vgpr12
                                        ; implicit-def: $vgpr0_vgpr1
                                        ; implicit-def: $vgpr6_vgpr7
	s_and_saveexec_b32 s0, s1
	s_delay_alu instid0(SALU_CYCLE_1)
	s_xor_b32 s2, exec_lo, s0
	s_cbranch_execz .LBB139_53
; %bb.51:
	v_ldexp_f64 v[0:1], |v[2:3]|, 0xffffff80
	v_cmp_le_f64_e64 vcc_lo, 0x7b000000, |v[2:3]|
	v_trig_preop_f64 v[6:7], |v[2:3]|, 0
	v_trig_preop_f64 v[8:9], |v[2:3]|, 1
	;; [unrolled: 1-line block ×3, first 2 shown]
	v_mov_b32_e32 v27, 0
	s_mov_b32 s8, 0x54442d18
	s_mov_b32 s9, 0x3ff921fb
	;; [unrolled: 1-line block ×4, first 2 shown]
	v_cndmask_b32_e32 v1, v18, v1, vcc_lo
	v_cndmask_b32_e32 v0, v2, v0, vcc_lo
	s_delay_alu instid0(VALU_DEP_1) | instskip(SKIP_1) | instid1(VALU_DEP_2)
	v_mul_f64 v[10:11], v[6:7], v[0:1]
	v_mul_f64 v[12:13], v[8:9], v[0:1]
	v_fma_f64 v[6:7], v[6:7], v[0:1], -v[10:11]
	s_delay_alu instid0(VALU_DEP_2) | instskip(NEXT) | instid1(VALU_DEP_2)
	v_fma_f64 v[8:9], v[8:9], v[0:1], -v[12:13]
	v_add_f64 v[14:15], v[12:13], v[6:7]
	s_delay_alu instid0(VALU_DEP_1) | instskip(SKIP_1) | instid1(VALU_DEP_2)
	v_add_f64 v[16:17], v[14:15], -v[12:13]
	v_add_f64 v[23:24], v[10:11], v[14:15]
	v_add_f64 v[21:22], v[14:15], -v[16:17]
	v_add_f64 v[6:7], v[6:7], -v[16:17]
	s_delay_alu instid0(VALU_DEP_3) | instskip(SKIP_1) | instid1(VALU_DEP_4)
	v_ldexp_f64 v[16:17], v[23:24], -2
	v_add_f64 v[10:11], v[23:24], -v[10:11]
	v_add_f64 v[12:13], v[12:13], -v[21:22]
	s_delay_alu instid0(VALU_DEP_3) | instskip(NEXT) | instid1(VALU_DEP_3)
	v_cmp_neq_f64_e64 vcc_lo, 0x7ff00000, |v[16:17]|
	v_add_f64 v[10:11], v[14:15], -v[10:11]
	s_delay_alu instid0(VALU_DEP_3) | instskip(SKIP_1) | instid1(VALU_DEP_1)
	v_add_f64 v[6:7], v[6:7], v[12:13]
	v_fract_f64_e32 v[12:13], v[16:17]
	v_dual_cndmask_b32 v13, 0, v13 :: v_dual_cndmask_b32 v12, 0, v12
	v_mul_f64 v[25:26], v[19:20], v[0:1]
	s_delay_alu instid0(VALU_DEP_2) | instskip(NEXT) | instid1(VALU_DEP_2)
	v_ldexp_f64 v[12:13], v[12:13], 2
	v_add_f64 v[21:22], v[25:26], v[8:9]
	v_fma_f64 v[0:1], v[19:20], v[0:1], -v[25:26]
	s_delay_alu instid0(VALU_DEP_2) | instskip(NEXT) | instid1(VALU_DEP_1)
	v_add_f64 v[14:15], v[21:22], v[6:7]
	v_add_f64 v[16:17], v[10:11], v[14:15]
	s_delay_alu instid0(VALU_DEP_1) | instskip(SKIP_1) | instid1(VALU_DEP_2)
	v_add_f64 v[23:24], v[16:17], v[12:13]
	v_add_f64 v[10:11], v[16:17], -v[10:11]
	v_cmp_gt_f64_e32 vcc_lo, 0, v[23:24]
	v_add_f64 v[23:24], v[21:22], -v[25:26]
	s_delay_alu instid0(VALU_DEP_3) | instskip(SKIP_1) | instid1(VALU_DEP_3)
	v_add_f64 v[10:11], v[14:15], -v[10:11]
	v_cndmask_b32_e64 v28, 0, 0x40100000, vcc_lo
	v_add_f64 v[32:33], v[21:22], -v[23:24]
	v_add_f64 v[8:9], v[8:9], -v[23:24]
	s_delay_alu instid0(VALU_DEP_3) | instskip(SKIP_1) | instid1(VALU_DEP_4)
	v_add_f64 v[12:13], v[12:13], v[27:28]
	v_add_f64 v[28:29], v[14:15], -v[21:22]
	v_add_f64 v[23:24], v[25:26], -v[32:33]
	s_delay_alu instid0(VALU_DEP_3) | instskip(NEXT) | instid1(VALU_DEP_3)
	v_add_f64 v[30:31], v[16:17], v[12:13]
	v_add_f64 v[34:35], v[14:15], -v[28:29]
	v_add_f64 v[6:7], v[6:7], -v[28:29]
	s_delay_alu instid0(VALU_DEP_4) | instskip(NEXT) | instid1(VALU_DEP_4)
	v_add_f64 v[8:9], v[8:9], v[23:24]
	v_cvt_i32_f64_e32 v30, v[30:31]
	s_delay_alu instid0(VALU_DEP_4) | instskip(NEXT) | instid1(VALU_DEP_2)
	v_add_f64 v[21:22], v[21:22], -v[34:35]
	v_cvt_f64_i32_e32 v[28:29], v30
	s_delay_alu instid0(VALU_DEP_2) | instskip(NEXT) | instid1(VALU_DEP_2)
	v_add_f64 v[6:7], v[6:7], v[21:22]
	v_add_f64 v[12:13], v[12:13], -v[28:29]
	s_delay_alu instid0(VALU_DEP_2) | instskip(NEXT) | instid1(VALU_DEP_2)
	v_add_f64 v[6:7], v[8:9], v[6:7]
	v_add_f64 v[8:9], v[16:17], v[12:13]
	s_delay_alu instid0(VALU_DEP_2) | instskip(NEXT) | instid1(VALU_DEP_2)
	v_add_f64 v[0:1], v[0:1], v[6:7]
	v_add_f64 v[6:7], v[8:9], -v[12:13]
	v_cmp_le_f64_e32 vcc_lo, 0.5, v[8:9]
	s_delay_alu instid0(VALU_DEP_3) | instskip(NEXT) | instid1(VALU_DEP_3)
	v_add_f64 v[0:1], v[10:11], v[0:1]
	v_add_f64 v[6:7], v[16:17], -v[6:7]
	v_cndmask_b32_e64 v28, 0, 0x3ff00000, vcc_lo
	v_add_co_ci_u32_e64 v12, s0, 0, v30, vcc_lo
	s_delay_alu instid0(VALU_DEP_3) | instskip(NEXT) | instid1(VALU_DEP_3)
	v_add_f64 v[0:1], v[0:1], v[6:7]
	v_add_f64 v[6:7], v[8:9], -v[27:28]
	s_delay_alu instid0(VALU_DEP_1) | instskip(NEXT) | instid1(VALU_DEP_1)
	v_add_f64 v[8:9], v[6:7], v[0:1]
	v_mul_f64 v[10:11], v[8:9], s[8:9]
	v_add_f64 v[6:7], v[8:9], -v[6:7]
	s_delay_alu instid0(VALU_DEP_2) | instskip(NEXT) | instid1(VALU_DEP_2)
	v_fma_f64 v[13:14], v[8:9], s[8:9], -v[10:11]
	v_add_f64 v[0:1], v[0:1], -v[6:7]
	s_delay_alu instid0(VALU_DEP_2) | instskip(NEXT) | instid1(VALU_DEP_1)
	v_fma_f64 v[6:7], v[8:9], s[10:11], v[13:14]
	v_fma_f64 v[6:7], v[0:1], s[8:9], v[6:7]
	s_delay_alu instid0(VALU_DEP_1) | instskip(NEXT) | instid1(VALU_DEP_1)
	v_add_f64 v[0:1], v[10:11], v[6:7]
	v_add_f64 v[8:9], v[0:1], -v[10:11]
	s_delay_alu instid0(VALU_DEP_1)
	v_add_f64 v[6:7], v[6:7], -v[8:9]
	s_and_not1_saveexec_b32 s0, s2
	s_cbranch_execz .LBB139_55
	s_branch .LBB139_54
.LBB139_52:
	s_or_b32 exec_lo, exec_lo, s7
                                        ; implicit-def: $vgpr4_vgpr5
                                        ; implicit-def: $vgpr6
	s_and_not1_saveexec_b32 s1, s6
	s_cbranch_execnz .LBB139_61
	s_branch .LBB139_66
.LBB139_53:
	s_and_not1_saveexec_b32 s0, s2
	s_cbranch_execz .LBB139_55
.LBB139_54:
	s_mov_b32 s2, 0x6dc9c883
	s_mov_b32 s3, 0x3fe45f30
	;; [unrolled: 1-line block ×3, first 2 shown]
	v_mul_f64 v[0:1], |v[2:3]|, s[2:3]
	s_mov_b32 s2, 0x54442d18
	s_mov_b32 s3, 0xbff921fb
	;; [unrolled: 1-line block ×3, first 2 shown]
	s_delay_alu instid0(VALU_DEP_1) | instskip(NEXT) | instid1(VALU_DEP_1)
	v_rndne_f64_e32 v[8:9], v[0:1]
	v_fma_f64 v[0:1], v[8:9], s[2:3], |v[2:3]|
	v_mul_f64 v[6:7], v[8:9], s[8:9]
	s_mov_b32 s2, 0x252049c0
	s_mov_b32 s3, 0xb97b839a
	s_delay_alu instid0(VALU_DEP_2) | instskip(NEXT) | instid1(VALU_DEP_2)
	v_fma_f64 v[12:13], v[8:9], s[8:9], v[0:1]
	v_add_f64 v[10:11], v[0:1], v[6:7]
	s_mov_b32 s9, 0x3c91a626
	s_delay_alu instid0(VALU_DEP_1) | instskip(NEXT) | instid1(VALU_DEP_3)
	v_add_f64 v[0:1], v[0:1], -v[10:11]
	v_add_f64 v[10:11], v[10:11], -v[12:13]
	s_delay_alu instid0(VALU_DEP_2) | instskip(SKIP_1) | instid1(VALU_DEP_2)
	v_add_f64 v[0:1], v[0:1], v[6:7]
	v_fma_f64 v[6:7], v[8:9], s[8:9], v[6:7]
	v_add_f64 v[0:1], v[10:11], v[0:1]
	s_delay_alu instid0(VALU_DEP_1) | instskip(NEXT) | instid1(VALU_DEP_1)
	v_add_f64 v[0:1], v[0:1], -v[6:7]
	v_fma_f64 v[6:7], v[8:9], s[2:3], v[0:1]
	s_delay_alu instid0(VALU_DEP_1) | instskip(NEXT) | instid1(VALU_DEP_1)
	v_add_f64 v[0:1], v[12:13], v[6:7]
	v_add_f64 v[10:11], v[0:1], -v[12:13]
	v_cvt_i32_f64_e32 v12, v[8:9]
	s_delay_alu instid0(VALU_DEP_2)
	v_add_f64 v[6:7], v[6:7], -v[10:11]
.LBB139_55:
	s_or_b32 exec_lo, exec_lo, s0
                                        ; implicit-def: $vgpr13
                                        ; implicit-def: $vgpr8_vgpr9
                                        ; implicit-def: $vgpr10_vgpr11
	s_and_saveexec_b32 s0, s1
	s_delay_alu instid0(SALU_CYCLE_1)
	s_xor_b32 s1, exec_lo, s0
	s_cbranch_execz .LBB139_57
; %bb.56:
	v_ldexp_f64 v[8:9], |v[2:3]|, 0xffffff80
	v_cmp_le_f64_e64 vcc_lo, 0x7b000000, |v[2:3]|
	v_trig_preop_f64 v[10:11], |v[2:3]|, 0
	v_trig_preop_f64 v[13:14], |v[2:3]|, 1
	;; [unrolled: 1-line block ×3, first 2 shown]
	v_mov_b32_e32 v31, 0
	s_mov_b32 s2, 0x54442d18
	s_mov_b32 s3, 0x3ff921fb
	;; [unrolled: 1-line block ×4, first 2 shown]
	v_cndmask_b32_e32 v9, v18, v9, vcc_lo
	v_cndmask_b32_e32 v8, v2, v8, vcc_lo
	s_delay_alu instid0(VALU_DEP_1) | instskip(SKIP_1) | instid1(VALU_DEP_2)
	v_mul_f64 v[15:16], v[10:11], v[8:9]
	v_mul_f64 v[17:18], v[13:14], v[8:9]
	v_fma_f64 v[10:11], v[10:11], v[8:9], -v[15:16]
	s_delay_alu instid0(VALU_DEP_2) | instskip(NEXT) | instid1(VALU_DEP_2)
	v_fma_f64 v[13:14], v[13:14], v[8:9], -v[17:18]
	v_add_f64 v[19:20], v[17:18], v[10:11]
	s_delay_alu instid0(VALU_DEP_1) | instskip(SKIP_1) | instid1(VALU_DEP_2)
	v_add_f64 v[21:22], v[19:20], -v[17:18]
	v_add_f64 v[27:28], v[15:16], v[19:20]
	v_add_f64 v[25:26], v[19:20], -v[21:22]
	v_add_f64 v[10:11], v[10:11], -v[21:22]
	s_delay_alu instid0(VALU_DEP_3) | instskip(SKIP_1) | instid1(VALU_DEP_4)
	v_ldexp_f64 v[21:22], v[27:28], -2
	v_add_f64 v[15:16], v[27:28], -v[15:16]
	v_add_f64 v[17:18], v[17:18], -v[25:26]
	s_delay_alu instid0(VALU_DEP_3) | instskip(NEXT) | instid1(VALU_DEP_3)
	v_cmp_neq_f64_e64 vcc_lo, 0x7ff00000, |v[21:22]|
	v_add_f64 v[15:16], v[19:20], -v[15:16]
	s_delay_alu instid0(VALU_DEP_3) | instskip(SKIP_1) | instid1(VALU_DEP_1)
	v_add_f64 v[10:11], v[10:11], v[17:18]
	v_fract_f64_e32 v[17:18], v[21:22]
	v_dual_cndmask_b32 v17, 0, v17 :: v_dual_cndmask_b32 v18, 0, v18
	v_mul_f64 v[29:30], v[23:24], v[8:9]
	s_delay_alu instid0(VALU_DEP_2) | instskip(NEXT) | instid1(VALU_DEP_2)
	v_ldexp_f64 v[17:18], v[17:18], 2
	v_add_f64 v[25:26], v[29:30], v[13:14]
	v_fma_f64 v[8:9], v[23:24], v[8:9], -v[29:30]
	s_delay_alu instid0(VALU_DEP_2) | instskip(NEXT) | instid1(VALU_DEP_1)
	v_add_f64 v[19:20], v[25:26], v[10:11]
	v_add_f64 v[21:22], v[15:16], v[19:20]
	s_delay_alu instid0(VALU_DEP_1) | instskip(SKIP_1) | instid1(VALU_DEP_2)
	v_add_f64 v[27:28], v[21:22], v[17:18]
	v_add_f64 v[15:16], v[21:22], -v[15:16]
	v_cmp_gt_f64_e32 vcc_lo, 0, v[27:28]
	v_add_f64 v[27:28], v[25:26], -v[29:30]
	v_cndmask_b32_e64 v32, 0, 0x40100000, vcc_lo
	s_delay_alu instid0(VALU_DEP_2) | instskip(SKIP_1) | instid1(VALU_DEP_3)
	v_add_f64 v[36:37], v[25:26], -v[27:28]
	v_add_f64 v[13:14], v[13:14], -v[27:28]
	v_add_f64 v[17:18], v[17:18], v[31:32]
	v_add_f64 v[32:33], v[19:20], -v[25:26]
	s_delay_alu instid0(VALU_DEP_4) | instskip(NEXT) | instid1(VALU_DEP_3)
	v_add_f64 v[27:28], v[29:30], -v[36:37]
	v_add_f64 v[34:35], v[21:22], v[17:18]
	s_delay_alu instid0(VALU_DEP_3) | instskip(SKIP_1) | instid1(VALU_DEP_4)
	v_add_f64 v[38:39], v[19:20], -v[32:33]
	v_add_f64 v[10:11], v[10:11], -v[32:33]
	v_add_f64 v[13:14], v[13:14], v[27:28]
	s_delay_alu instid0(VALU_DEP_4) | instskip(NEXT) | instid1(VALU_DEP_4)
	v_cvt_i32_f64_e32 v34, v[34:35]
	v_add_f64 v[25:26], v[25:26], -v[38:39]
	s_delay_alu instid0(VALU_DEP_2) | instskip(NEXT) | instid1(VALU_DEP_2)
	v_cvt_f64_i32_e32 v[32:33], v34
	v_add_f64 v[10:11], v[10:11], v[25:26]
	s_delay_alu instid0(VALU_DEP_2) | instskip(NEXT) | instid1(VALU_DEP_2)
	v_add_f64 v[17:18], v[17:18], -v[32:33]
	v_add_f64 v[10:11], v[13:14], v[10:11]
	v_add_f64 v[13:14], v[19:20], -v[15:16]
	s_delay_alu instid0(VALU_DEP_3) | instskip(NEXT) | instid1(VALU_DEP_3)
	v_add_f64 v[23:24], v[21:22], v[17:18]
	v_add_f64 v[8:9], v[8:9], v[10:11]
	s_delay_alu instid0(VALU_DEP_2) | instskip(SKIP_1) | instid1(VALU_DEP_3)
	v_add_f64 v[10:11], v[23:24], -v[17:18]
	v_cmp_le_f64_e32 vcc_lo, 0.5, v[23:24]
	v_add_f64 v[8:9], v[13:14], v[8:9]
	s_delay_alu instid0(VALU_DEP_3) | instskip(SKIP_2) | instid1(VALU_DEP_3)
	v_add_f64 v[10:11], v[21:22], -v[10:11]
	v_cndmask_b32_e64 v32, 0, 0x3ff00000, vcc_lo
	v_add_co_ci_u32_e64 v13, s0, 0, v34, vcc_lo
	v_add_f64 v[8:9], v[8:9], v[10:11]
	s_delay_alu instid0(VALU_DEP_3) | instskip(NEXT) | instid1(VALU_DEP_1)
	v_add_f64 v[10:11], v[23:24], -v[31:32]
	v_add_f64 v[14:15], v[10:11], v[8:9]
	s_delay_alu instid0(VALU_DEP_1) | instskip(SKIP_1) | instid1(VALU_DEP_2)
	v_mul_f64 v[16:17], v[14:15], s[2:3]
	v_add_f64 v[10:11], v[14:15], -v[10:11]
	v_fma_f64 v[18:19], v[14:15], s[2:3], -v[16:17]
	s_delay_alu instid0(VALU_DEP_2) | instskip(NEXT) | instid1(VALU_DEP_2)
	v_add_f64 v[8:9], v[8:9], -v[10:11]
	v_fma_f64 v[10:11], v[14:15], s[8:9], v[18:19]
	s_delay_alu instid0(VALU_DEP_1) | instskip(NEXT) | instid1(VALU_DEP_1)
	v_fma_f64 v[10:11], v[8:9], s[2:3], v[10:11]
	v_add_f64 v[8:9], v[16:17], v[10:11]
	s_delay_alu instid0(VALU_DEP_1) | instskip(NEXT) | instid1(VALU_DEP_1)
	v_add_f64 v[14:15], v[8:9], -v[16:17]
	v_add_f64 v[10:11], v[10:11], -v[14:15]
	s_and_not1_saveexec_b32 s0, s1
	s_cbranch_execnz .LBB139_58
	s_branch .LBB139_59
.LBB139_57:
	s_and_not1_saveexec_b32 s0, s1
	s_cbranch_execz .LBB139_59
.LBB139_58:
	s_mov_b32 s2, 0x6dc9c883
	s_mov_b32 s3, 0x3fe45f30
	;; [unrolled: 1-line block ×3, first 2 shown]
	v_mul_f64 v[8:9], |v[2:3]|, s[2:3]
	s_mov_b32 s2, 0x54442d18
	s_mov_b32 s3, 0xbff921fb
	;; [unrolled: 1-line block ×3, first 2 shown]
	s_delay_alu instid0(VALU_DEP_1) | instskip(NEXT) | instid1(VALU_DEP_1)
	v_rndne_f64_e32 v[13:14], v[8:9]
	v_fma_f64 v[8:9], v[13:14], s[2:3], |v[2:3]|
	v_mul_f64 v[10:11], v[13:14], s[8:9]
	s_mov_b32 s2, 0x252049c0
	s_mov_b32 s3, 0xb97b839a
	s_delay_alu instid0(VALU_DEP_2) | instskip(NEXT) | instid1(VALU_DEP_2)
	v_fma_f64 v[17:18], v[13:14], s[8:9], v[8:9]
	v_add_f64 v[15:16], v[8:9], v[10:11]
	s_mov_b32 s9, 0x3c91a626
	s_delay_alu instid0(VALU_DEP_1) | instskip(NEXT) | instid1(VALU_DEP_3)
	v_add_f64 v[8:9], v[8:9], -v[15:16]
	v_add_f64 v[15:16], v[15:16], -v[17:18]
	s_delay_alu instid0(VALU_DEP_2) | instskip(SKIP_1) | instid1(VALU_DEP_2)
	v_add_f64 v[8:9], v[8:9], v[10:11]
	v_fma_f64 v[10:11], v[13:14], s[8:9], v[10:11]
	v_add_f64 v[8:9], v[15:16], v[8:9]
	s_delay_alu instid0(VALU_DEP_1) | instskip(NEXT) | instid1(VALU_DEP_1)
	v_add_f64 v[8:9], v[8:9], -v[10:11]
	v_fma_f64 v[10:11], v[13:14], s[2:3], v[8:9]
	v_cvt_i32_f64_e32 v13, v[13:14]
	s_delay_alu instid0(VALU_DEP_2) | instskip(NEXT) | instid1(VALU_DEP_1)
	v_add_f64 v[8:9], v[17:18], v[10:11]
	v_add_f64 v[15:16], v[8:9], -v[17:18]
	s_delay_alu instid0(VALU_DEP_1)
	v_add_f64 v[10:11], v[10:11], -v[15:16]
.LBB139_59:
	s_or_b32 exec_lo, exec_lo, s0
	s_mov_b32 s0, 0x19ba0da4
	s_mov_b32 s1, 0xc0937be3
	;; [unrolled: 1-line block ×3, first 2 shown]
	v_add_f64 v[4:5], v[4:5], s[0:1]
	s_mov_b32 s0, 0x652b82fe
	s_mov_b32 s1, 0x3ff71547
	;; [unrolled: 1-line block ×3, first 2 shown]
	s_delay_alu instid0(VALU_DEP_4)
	v_mul_f64 v[20:21], v[0:1], v[0:1]
	v_mul_f64 v[22:23], v[8:9], v[8:9]
	s_mov_b32 s8, 0x1852b7b0
	s_mov_b32 s9, 0x3f56c16c
	;; [unrolled: 1-line block ×5, first 2 shown]
	s_delay_alu instid0(VALU_DEP_4)
	v_mul_f64 v[48:49], v[6:7], 0.5
	v_mul_f64 v[54:55], v[10:11], 0.5
	v_mul_f64 v[14:15], v[4:5], s[0:1]
	s_mov_b32 s0, 0xfefa39ef
	s_mov_b32 s1, 0xbfe62e42
	v_mul_f64 v[30:31], v[20:21], 0.5
	v_mul_f64 v[32:33], v[22:23], 0.5
	v_mul_f64 v[50:51], v[0:1], -v[20:21]
	v_mul_f64 v[64:65], v[8:9], -v[22:23]
	v_rndne_f64_e32 v[14:15], v[14:15]
	v_add_f64 v[36:37], -v[30:31], 1.0
	v_add_f64 v[38:39], -v[32:33], 1.0
	s_delay_alu instid0(VALU_DEP_3) | instskip(SKIP_2) | instid1(VALU_DEP_3)
	v_fma_f64 v[16:17], v[14:15], s[0:1], v[4:5]
	s_mov_b32 s0, 0x3b39803f
	s_mov_b32 s1, 0xbc7abc9e
	v_add_f64 v[52:53], -v[36:37], 1.0
	s_delay_alu instid0(VALU_DEP_3) | instskip(NEXT) | instid1(VALU_DEP_3)
	v_add_f64 v[66:67], -v[38:39], 1.0
	v_fma_f64 v[16:17], v[14:15], s[0:1], v[16:17]
	s_mov_b32 s0, 0xfca7ab0c
	s_mov_b32 s1, 0x3e928af3
	s_delay_alu instid0(VALU_DEP_3) | instskip(NEXT) | instid1(VALU_DEP_3)
	v_add_f64 v[30:31], v[52:53], -v[30:31]
	v_add_f64 v[32:33], v[66:67], -v[32:33]
	s_delay_alu instid0(VALU_DEP_3) | instskip(SKIP_4) | instid1(VALU_DEP_3)
	v_fma_f64 v[18:19], v[16:17], s[2:3], s[0:1]
	s_mov_b32 s0, 0x623fde64
	s_mov_b32 s1, 0x3ec71dee
	;; [unrolled: 1-line block ×4, first 2 shown]
	v_fma_f64 v[30:31], v[0:1], -v[6:7], v[30:31]
	s_delay_alu instid0(VALU_DEP_3) | instskip(NEXT) | instid1(VALU_DEP_3)
	v_fma_f64 v[32:33], v[8:9], -v[10:11], v[32:33]
	v_fma_f64 v[18:19], v[16:17], v[18:19], s[0:1]
	s_mov_b32 s0, 0x7c89e6b0
	s_mov_b32 s1, 0x3efa0199
	s_delay_alu instid0(VALU_DEP_1) | instid1(SALU_CYCLE_1)
	v_fma_f64 v[18:19], v[16:17], v[18:19], s[0:1]
	s_mov_b32 s0, 0x14761f6e
	s_mov_b32 s1, 0x3f2a01a0
	s_delay_alu instid0(VALU_DEP_1) | instid1(SALU_CYCLE_1)
	v_fma_f64 v[18:19], v[16:17], v[18:19], s[0:1]
	s_mov_b32 s0, 0xb42fdfa7
	s_mov_b32 s1, 0xbe5ae600
	s_delay_alu instid0(SALU_CYCLE_1)
	v_fma_f64 v[24:25], v[20:21], s[2:3], s[0:1]
	v_fma_f64 v[26:27], v[22:23], s[2:3], s[0:1]
	s_mov_b32 s0, 0x796cde01
	s_mov_b32 s1, 0x3ec71de3
	;; [unrolled: 1-line block ×4, first 2 shown]
	s_delay_alu instid0(SALU_CYCLE_1) | instskip(NEXT) | instid1(VALU_DEP_3)
	s_mov_b32 s13, s3
	v_fma_f64 v[18:19], v[16:17], v[18:19], s[8:9]
	s_mov_b32 s8, 0x9037ab78
	s_mov_b32 s9, 0x3e21eeb6
	s_delay_alu instid0(VALU_DEP_3)
	v_fma_f64 v[24:25], v[20:21], v[24:25], s[0:1]
	v_fma_f64 v[28:29], v[20:21], s[10:11], s[8:9]
	;; [unrolled: 1-line block ×4, first 2 shown]
	s_mov_b32 s8, 0x19e83e5c
	s_mov_b32 s9, 0xbf2a01a0
	;; [unrolled: 1-line block ×6, first 2 shown]
	v_fma_f64 v[18:19], v[16:17], v[18:19], s[12:13]
	s_mov_b32 s12, 0xa17f65f6
	s_mov_b32 s13, 0xbe927e4f
	v_fma_f64 v[24:25], v[20:21], v[24:25], s[8:9]
	v_fma_f64 v[28:29], v[20:21], v[28:29], s[12:13]
	;; [unrolled: 1-line block ×4, first 2 shown]
	s_mov_b32 s8, 0x19f4ec90
	s_mov_b32 s9, 0x3efa01a0
	v_fma_f64 v[18:19], v[16:17], v[18:19], s[10:11]
	s_mov_b32 s10, 0x55555511
	s_mov_b32 s11, 0x3fc55555
	v_fma_f64 v[24:25], v[20:21], v[24:25], s[2:3]
	v_fma_f64 v[28:29], v[20:21], v[28:29], s[8:9]
	;; [unrolled: 1-line block ×4, first 2 shown]
	s_mov_b32 s2, 0x16c16967
	s_mov_b32 s3, 0xbf56c16c
	;; [unrolled: 1-line block ×4, first 2 shown]
	v_fma_f64 v[18:19], v[16:17], v[18:19], s[10:11]
	v_fma_f64 v[24:25], v[50:51], v[24:25], v[48:49]
	;; [unrolled: 1-line block ×5, first 2 shown]
	v_mul_f64 v[48:49], v[20:21], v[20:21]
	v_cmp_ngt_f64_e64 s2, 0xc090cc00, v[4:5]
	v_fma_f64 v[18:19], v[16:17], v[18:19], s[8:9]
	v_fma_f64 v[6:7], v[20:21], v[24:25], -v[6:7]
	v_fma_f64 v[28:29], v[20:21], v[28:29], s[0:1]
	v_mul_f64 v[20:21], v[22:23], v[22:23]
	v_fma_f64 v[24:25], v[22:23], v[34:35], s[0:1]
	v_fma_f64 v[10:11], v[22:23], v[26:27], -v[10:11]
	s_mov_b32 s1, 0xbfc55555
	v_cvt_i32_f64_e32 v26, v[14:15]
	v_fma_f64 v[18:19], v[16:17], v[18:19], 1.0
	v_fma_f64 v[6:7], v[50:51], s[0:1], v[6:7]
	v_fma_f64 v[22:23], v[48:49], v[28:29], v[30:31]
	v_fma_f64 v[10:11], v[64:65], s[0:1], v[10:11]
	v_cmp_nlt_f64_e64 s1, 0x40900000, v[4:5]
	v_cmp_class_f64_e64 s0, v[2:3], 0x1f8
	v_lshlrev_b32_e32 v4, 30, v13
	v_lshlrev_b32_e32 v5, 30, v12
	s_delay_alu instid0(VALU_DEP_2) | instskip(NEXT) | instid1(VALU_DEP_2)
	v_xor_b32_e32 v3, v4, v3
	v_and_b32_e32 v4, 0x80000000, v5
	s_delay_alu instid0(VALU_DEP_2)
	v_and_b32_e32 v3, 0x80000000, v3
	v_fma_f64 v[14:15], v[16:17], v[18:19], 1.0
	v_fma_f64 v[16:17], v[20:21], v[24:25], v[32:33]
	v_add_f64 v[0:1], v[0:1], -v[6:7]
	v_add_f64 v[18:19], v[36:37], v[22:23]
	v_add_f64 v[8:9], v[8:9], -v[10:11]
	v_ldexp_f64 v[6:7], v[14:15], v26
	v_add_f64 v[14:15], v[38:39], v[16:17]
	v_xor_b32_e32 v1, 0x80000000, v1
	v_and_b32_e32 v10, 1, v12
	s_delay_alu instid0(VALU_DEP_1) | instskip(NEXT) | instid1(VALU_DEP_3)
	v_cmp_eq_u32_e32 vcc_lo, 0, v10
	v_dual_cndmask_b32 v1, v1, v19 :: v_dual_cndmask_b32 v0, v0, v18
	s_and_b32 vcc_lo, s2, s1
	s_delay_alu instid0(VALU_DEP_1) | instskip(NEXT) | instid1(VALU_DEP_2)
	v_xor_b32_e32 v1, v1, v4
	v_cndmask_b32_e64 v0, 0, v0, s0
	s_delay_alu instid0(VALU_DEP_2) | instskip(SKIP_2) | instid1(VALU_DEP_1)
	v_cndmask_b32_e64 v1, 0x7ff80000, v1, s0
	v_cndmask_b32_e64 v2, 0x7ff00000, v7, s1
	v_dual_cndmask_b32 v4, 0, v6 :: v_dual_and_b32 v7, 1, v13
	v_cmp_eq_u32_e64 s3, 0, v7
	s_delay_alu instid0(VALU_DEP_1) | instskip(SKIP_3) | instid1(VALU_DEP_3)
	v_cndmask_b32_e64 v7, v15, v9, s3
	v_cndmask_b32_e64 v5, v14, v8, s3
	;; [unrolled: 1-line block ×3, first 2 shown]
	s_mov_b32 s3, 0xfffff
	v_xor_b32_e32 v3, v7, v3
	s_delay_alu instid0(VALU_DEP_3) | instskip(NEXT) | instid1(VALU_DEP_3)
	v_cndmask_b32_e64 v2, 0, v5, s0
	v_and_or_b32 v5, v8, s3, 0x7fe00000
	s_delay_alu instid0(VALU_DEP_3) | instskip(NEXT) | instid1(VALU_DEP_2)
	v_cndmask_b32_e64 v3, 0x7ff80000, v3, s0
	v_mul_f64 v[0:1], v[4:5], v[0:1]
	s_delay_alu instid0(VALU_DEP_2) | instskip(SKIP_1) | instid1(VALU_DEP_1)
	v_mul_f64 v[2:3], v[4:5], v[2:3]
	v_lshrrev_b32_e32 v4, 20, v8
	v_add_nc_u32_e32 v6, 0xffffff09, v4
	s_delay_alu instid0(VALU_DEP_1) | instskip(NEXT) | instid1(VALU_DEP_1)
	v_lshrrev_b16 v4, 15, v6
	v_add_nc_u16 v4, v6, v4
	s_delay_alu instid0(VALU_DEP_1) | instskip(NEXT) | instid1(VALU_DEP_1)
	v_ashrrev_i16 v4, 1, v4
	v_bfe_i32 v7, v4, 0, 16
	v_mov_b32_e32 v4, 0
	s_delay_alu instid0(VALU_DEP_2) | instskip(NEXT) | instid1(VALU_DEP_1)
	v_lshl_add_u32 v5, v7, 20, 0x3ff00000
	v_mul_f64 v[0:1], v[0:1], v[4:5]
	v_mul_f64 v[2:3], v[2:3], v[4:5]
	v_sub_nc_u32_e32 v5, v6, v7
	s_delay_alu instid0(VALU_DEP_1) | instskip(NEXT) | instid1(VALU_DEP_1)
	v_lshl_add_u32 v5, v5, 20, 0x3ff00000
	v_mul_f64 v[0:1], v[0:1], v[4:5]
	s_delay_alu instid0(VALU_DEP_4)
	v_mul_f64 v[2:3], v[2:3], v[4:5]
	s_or_b32 exec_lo, exec_lo, s7
                                        ; implicit-def: $vgpr4_vgpr5
                                        ; implicit-def: $vgpr6
.LBB139_60:
	s_and_not1_saveexec_b32 s1, s6
	s_cbranch_execz .LBB139_66
.LBB139_61:
	s_delay_alu instid0(VALU_DEP_1) | instskip(SKIP_2) | instid1(VALU_DEP_1)
	v_add_f64 v[2:3], v[2:3], -v[2:3]
	v_cmp_ne_u32_e32 vcc_lo, 0, v4
	v_cmp_ne_u32_e64 s0, 0x7ff00000, v6
	s_or_b32 s0, vcc_lo, s0
	s_delay_alu instid0(SALU_CYCLE_1) | instskip(NEXT) | instid1(SALU_CYCLE_1)
	s_and_saveexec_b32 s2, s0
	s_xor_b32 s0, exec_lo, s2
; %bb.62:
                                        ; implicit-def: $vgpr4_vgpr5
; %bb.63:
	s_delay_alu instid0(SALU_CYCLE_1) | instskip(NEXT) | instid1(VALU_DEP_3)
	s_or_saveexec_b32 s0, s0
	v_dual_mov_b32 v0, v2 :: v_dual_mov_b32 v1, v3
	s_xor_b32 exec_lo, exec_lo, s0
; %bb.64:
	v_cmp_lt_i64_e32 vcc_lo, -1, v[4:5]
	v_dual_cndmask_b32 v1, 0, v5 :: v_dual_cndmask_b32 v0, 0, v4
	v_dual_cndmask_b32 v3, 0, v3 :: v_dual_cndmask_b32 v2, 0, v2
; %bb.65:
	s_or_b32 exec_lo, exec_lo, s0
.LBB139_66:
	s_delay_alu instid0(SALU_CYCLE_1)
	s_or_b32 exec_lo, exec_lo, s1
                                        ; implicit-def: $vgpr18
.LBB139_67:
	s_and_not1_saveexec_b32 s2, s5
	s_cbranch_execz .LBB139_77
; %bb.68:
	s_delay_alu instid0(VALU_DEP_1)
	v_cmp_ngt_f64_e64 s1, 0x41d00000, |v[2:3]|
	v_trig_preop_f64 v[10:11], |v[2:3]|, 0
	v_trig_preop_f64 v[8:9], |v[2:3]|, 1
	v_ldexp_f64 v[12:13], |v[2:3]|, 0xffffff80
	v_trig_preop_f64 v[6:7], |v[2:3]|, 2
                                        ; implicit-def: $vgpr19
                                        ; implicit-def: $vgpr0_vgpr1
                                        ; implicit-def: $vgpr4_vgpr5
	s_and_saveexec_b32 s0, s1
	s_delay_alu instid0(SALU_CYCLE_1)
	s_xor_b32 s3, exec_lo, s0
	s_cbranch_execz .LBB139_70
; %bb.69:
	v_cmp_le_f64_e64 vcc_lo, 0x7b000000, |v[2:3]|
	v_mov_b32_e32 v31, 0
	s_mov_b32 s6, 0x54442d18
	s_mov_b32 s7, 0x3ff921fb
	;; [unrolled: 1-line block ×4, first 2 shown]
	s_delay_alu instid0(VALU_DEP_4) | instskip(SKIP_1) | instid1(VALU_DEP_1)
	v_cndmask_b32_e32 v1, v18, v13, vcc_lo
	v_cndmask_b32_e32 v0, v2, v12, vcc_lo
	v_mul_f64 v[4:5], v[10:11], v[0:1]
	v_mul_f64 v[14:15], v[8:9], v[0:1]
	s_delay_alu instid0(VALU_DEP_2) | instskip(NEXT) | instid1(VALU_DEP_2)
	v_fma_f64 v[16:17], v[10:11], v[0:1], -v[4:5]
	v_fma_f64 v[29:30], v[8:9], v[0:1], -v[14:15]
	s_delay_alu instid0(VALU_DEP_2) | instskip(NEXT) | instid1(VALU_DEP_1)
	v_add_f64 v[19:20], v[14:15], v[16:17]
	v_add_f64 v[21:22], v[19:20], -v[14:15]
	v_add_f64 v[25:26], v[4:5], v[19:20]
	s_delay_alu instid0(VALU_DEP_2) | instskip(SKIP_1) | instid1(VALU_DEP_3)
	v_add_f64 v[23:24], v[19:20], -v[21:22]
	v_add_f64 v[16:17], v[16:17], -v[21:22]
	v_ldexp_f64 v[21:22], v[25:26], -2
	v_add_f64 v[4:5], v[25:26], -v[4:5]
	s_delay_alu instid0(VALU_DEP_4) | instskip(NEXT) | instid1(VALU_DEP_3)
	v_add_f64 v[14:15], v[14:15], -v[23:24]
	v_cmp_neq_f64_e64 vcc_lo, 0x7ff00000, |v[21:22]|
	s_delay_alu instid0(VALU_DEP_3) | instskip(NEXT) | instid1(VALU_DEP_3)
	v_add_f64 v[4:5], v[19:20], -v[4:5]
	v_add_f64 v[14:15], v[16:17], v[14:15]
	v_fract_f64_e32 v[16:17], v[21:22]
	s_delay_alu instid0(VALU_DEP_1) | instskip(SKIP_1) | instid1(VALU_DEP_2)
	v_dual_cndmask_b32 v17, 0, v17 :: v_dual_cndmask_b32 v16, 0, v16
	v_mul_f64 v[27:28], v[6:7], v[0:1]
	v_ldexp_f64 v[16:17], v[16:17], 2
	s_delay_alu instid0(VALU_DEP_2) | instskip(SKIP_1) | instid1(VALU_DEP_2)
	v_add_f64 v[23:24], v[27:28], v[29:30]
	v_fma_f64 v[0:1], v[6:7], v[0:1], -v[27:28]
	v_add_f64 v[19:20], v[23:24], v[14:15]
	s_delay_alu instid0(VALU_DEP_1) | instskip(NEXT) | instid1(VALU_DEP_1)
	v_add_f64 v[21:22], v[4:5], v[19:20]
	v_add_f64 v[25:26], v[21:22], v[16:17]
	v_add_f64 v[4:5], v[21:22], -v[4:5]
	s_delay_alu instid0(VALU_DEP_2) | instskip(SKIP_1) | instid1(VALU_DEP_3)
	v_cmp_gt_f64_e32 vcc_lo, 0, v[25:26]
	v_add_f64 v[25:26], v[23:24], -v[27:28]
	v_add_f64 v[4:5], v[19:20], -v[4:5]
	v_cndmask_b32_e64 v32, 0, 0x40100000, vcc_lo
	s_delay_alu instid0(VALU_DEP_3) | instskip(SKIP_1) | instid1(VALU_DEP_3)
	v_add_f64 v[36:37], v[23:24], -v[25:26]
	v_add_f64 v[25:26], v[29:30], -v[25:26]
	v_add_f64 v[16:17], v[16:17], v[31:32]
	v_add_f64 v[32:33], v[19:20], -v[23:24]
	s_delay_alu instid0(VALU_DEP_4) | instskip(NEXT) | instid1(VALU_DEP_3)
	v_add_f64 v[29:30], v[27:28], -v[36:37]
	v_add_f64 v[34:35], v[21:22], v[16:17]
	s_delay_alu instid0(VALU_DEP_3) | instskip(SKIP_1) | instid1(VALU_DEP_4)
	v_add_f64 v[38:39], v[19:20], -v[32:33]
	v_add_f64 v[14:15], v[14:15], -v[32:33]
	v_add_f64 v[25:26], v[25:26], v[29:30]
	s_delay_alu instid0(VALU_DEP_4) | instskip(NEXT) | instid1(VALU_DEP_4)
	v_cvt_i32_f64_e32 v34, v[34:35]
	v_add_f64 v[23:24], v[23:24], -v[38:39]
	s_delay_alu instid0(VALU_DEP_2) | instskip(NEXT) | instid1(VALU_DEP_2)
	v_cvt_f64_i32_e32 v[32:33], v34
	v_add_f64 v[14:15], v[14:15], v[23:24]
	s_delay_alu instid0(VALU_DEP_2) | instskip(NEXT) | instid1(VALU_DEP_2)
	v_add_f64 v[16:17], v[16:17], -v[32:33]
	v_add_f64 v[14:15], v[25:26], v[14:15]
	s_delay_alu instid0(VALU_DEP_2) | instskip(NEXT) | instid1(VALU_DEP_2)
	v_add_f64 v[23:24], v[21:22], v[16:17]
	v_add_f64 v[0:1], v[0:1], v[14:15]
	s_delay_alu instid0(VALU_DEP_2) | instskip(SKIP_1) | instid1(VALU_DEP_3)
	v_add_f64 v[14:15], v[23:24], -v[16:17]
	v_cmp_le_f64_e32 vcc_lo, 0.5, v[23:24]
	v_add_f64 v[0:1], v[4:5], v[0:1]
	s_delay_alu instid0(VALU_DEP_3) | instskip(SKIP_2) | instid1(VALU_DEP_3)
	v_add_f64 v[4:5], v[21:22], -v[14:15]
	v_cndmask_b32_e64 v32, 0, 0x3ff00000, vcc_lo
	v_add_co_ci_u32_e64 v19, s0, 0, v34, vcc_lo
	v_add_f64 v[0:1], v[0:1], v[4:5]
	s_delay_alu instid0(VALU_DEP_3) | instskip(NEXT) | instid1(VALU_DEP_1)
	v_add_f64 v[4:5], v[23:24], -v[31:32]
	v_add_f64 v[14:15], v[4:5], v[0:1]
	s_delay_alu instid0(VALU_DEP_1) | instskip(SKIP_1) | instid1(VALU_DEP_2)
	v_mul_f64 v[16:17], v[14:15], s[6:7]
	v_add_f64 v[4:5], v[14:15], -v[4:5]
	v_fma_f64 v[20:21], v[14:15], s[6:7], -v[16:17]
	s_delay_alu instid0(VALU_DEP_2) | instskip(NEXT) | instid1(VALU_DEP_2)
	v_add_f64 v[0:1], v[0:1], -v[4:5]
	v_fma_f64 v[4:5], v[14:15], s[8:9], v[20:21]
	s_delay_alu instid0(VALU_DEP_1) | instskip(NEXT) | instid1(VALU_DEP_1)
	v_fma_f64 v[4:5], v[0:1], s[6:7], v[4:5]
	v_add_f64 v[0:1], v[16:17], v[4:5]
	s_delay_alu instid0(VALU_DEP_1) | instskip(NEXT) | instid1(VALU_DEP_1)
	v_add_f64 v[14:15], v[0:1], -v[16:17]
	v_add_f64 v[4:5], v[4:5], -v[14:15]
	s_and_not1_saveexec_b32 s0, s3
	s_cbranch_execz .LBB139_72
	s_branch .LBB139_71
.LBB139_70:
	s_and_not1_saveexec_b32 s0, s3
	s_cbranch_execz .LBB139_72
.LBB139_71:
	s_mov_b32 s6, 0x6dc9c883
	s_mov_b32 s7, 0x3fe45f30
	;; [unrolled: 1-line block ×3, first 2 shown]
	v_mul_f64 v[0:1], |v[2:3]|, s[6:7]
	s_mov_b32 s6, 0x54442d18
	s_mov_b32 s7, 0xbff921fb
	;; [unrolled: 1-line block ×3, first 2 shown]
	s_delay_alu instid0(VALU_DEP_1) | instskip(NEXT) | instid1(VALU_DEP_1)
	v_rndne_f64_e32 v[14:15], v[0:1]
	v_fma_f64 v[0:1], v[14:15], s[6:7], |v[2:3]|
	v_mul_f64 v[4:5], v[14:15], s[8:9]
	s_mov_b32 s6, 0x252049c0
	s_mov_b32 s7, 0xb97b839a
	s_delay_alu instid0(VALU_DEP_2) | instskip(NEXT) | instid1(VALU_DEP_2)
	v_fma_f64 v[19:20], v[14:15], s[8:9], v[0:1]
	v_add_f64 v[16:17], v[0:1], v[4:5]
	s_mov_b32 s9, 0x3c91a626
	s_delay_alu instid0(VALU_DEP_1) | instskip(NEXT) | instid1(VALU_DEP_3)
	v_add_f64 v[0:1], v[0:1], -v[16:17]
	v_add_f64 v[16:17], v[16:17], -v[19:20]
	s_delay_alu instid0(VALU_DEP_2) | instskip(SKIP_1) | instid1(VALU_DEP_2)
	v_add_f64 v[0:1], v[0:1], v[4:5]
	v_fma_f64 v[4:5], v[14:15], s[8:9], v[4:5]
	v_add_f64 v[0:1], v[16:17], v[0:1]
	s_delay_alu instid0(VALU_DEP_1) | instskip(NEXT) | instid1(VALU_DEP_1)
	v_add_f64 v[0:1], v[0:1], -v[4:5]
	v_fma_f64 v[4:5], v[14:15], s[6:7], v[0:1]
	s_delay_alu instid0(VALU_DEP_1) | instskip(NEXT) | instid1(VALU_DEP_1)
	v_add_f64 v[0:1], v[19:20], v[4:5]
	v_add_f64 v[16:17], v[0:1], -v[19:20]
	v_cvt_i32_f64_e32 v19, v[14:15]
	s_delay_alu instid0(VALU_DEP_2)
	v_add_f64 v[4:5], v[4:5], -v[16:17]
.LBB139_72:
	s_or_b32 exec_lo, exec_lo, s0
                                        ; implicit-def: $vgpr20
                                        ; implicit-def: $vgpr14_vgpr15
                                        ; implicit-def: $vgpr16_vgpr17
	s_and_saveexec_b32 s0, s1
	s_delay_alu instid0(SALU_CYCLE_1)
	s_xor_b32 s1, exec_lo, s0
	s_cbranch_execz .LBB139_74
; %bb.73:
	v_cmp_le_f64_e64 vcc_lo, 0x7b000000, |v[2:3]|
	v_mov_b32_e32 v30, 0
	s_mov_b32 s6, 0x54442d18
	s_mov_b32 s7, 0x3ff921fb
	;; [unrolled: 1-line block ×4, first 2 shown]
	s_delay_alu instid0(VALU_DEP_4) | instskip(SKIP_1) | instid1(VALU_DEP_1)
	v_cndmask_b32_e32 v13, v18, v13, vcc_lo
	v_cndmask_b32_e32 v12, v2, v12, vcc_lo
	v_mul_f64 v[14:15], v[10:11], v[12:13]
	v_mul_f64 v[16:17], v[8:9], v[12:13]
	s_delay_alu instid0(VALU_DEP_2) | instskip(NEXT) | instid1(VALU_DEP_2)
	v_fma_f64 v[10:11], v[10:11], v[12:13], -v[14:15]
	v_fma_f64 v[8:9], v[8:9], v[12:13], -v[16:17]
	s_delay_alu instid0(VALU_DEP_2) | instskip(NEXT) | instid1(VALU_DEP_1)
	v_add_f64 v[20:21], v[16:17], v[10:11]
	v_add_f64 v[22:23], v[20:21], -v[16:17]
	v_add_f64 v[26:27], v[14:15], v[20:21]
	s_delay_alu instid0(VALU_DEP_2) | instskip(SKIP_1) | instid1(VALU_DEP_3)
	v_add_f64 v[24:25], v[20:21], -v[22:23]
	v_add_f64 v[10:11], v[10:11], -v[22:23]
	v_ldexp_f64 v[22:23], v[26:27], -2
	v_add_f64 v[14:15], v[26:27], -v[14:15]
	s_delay_alu instid0(VALU_DEP_4) | instskip(NEXT) | instid1(VALU_DEP_3)
	v_add_f64 v[16:17], v[16:17], -v[24:25]
	v_cmp_neq_f64_e64 vcc_lo, 0x7ff00000, |v[22:23]|
	s_delay_alu instid0(VALU_DEP_3) | instskip(NEXT) | instid1(VALU_DEP_3)
	v_add_f64 v[14:15], v[20:21], -v[14:15]
	v_add_f64 v[10:11], v[10:11], v[16:17]
	v_fract_f64_e32 v[16:17], v[22:23]
	s_delay_alu instid0(VALU_DEP_1) | instskip(SKIP_1) | instid1(VALU_DEP_2)
	v_dual_cndmask_b32 v17, 0, v17 :: v_dual_cndmask_b32 v16, 0, v16
	v_mul_f64 v[28:29], v[6:7], v[12:13]
	v_ldexp_f64 v[16:17], v[16:17], 2
	s_delay_alu instid0(VALU_DEP_2) | instskip(SKIP_1) | instid1(VALU_DEP_2)
	v_add_f64 v[24:25], v[28:29], v[8:9]
	v_fma_f64 v[6:7], v[6:7], v[12:13], -v[28:29]
	v_add_f64 v[20:21], v[24:25], v[10:11]
	s_delay_alu instid0(VALU_DEP_1) | instskip(NEXT) | instid1(VALU_DEP_1)
	v_add_f64 v[22:23], v[14:15], v[20:21]
	v_add_f64 v[26:27], v[22:23], v[16:17]
	v_add_f64 v[12:13], v[22:23], -v[14:15]
	s_delay_alu instid0(VALU_DEP_2) | instskip(SKIP_1) | instid1(VALU_DEP_3)
	v_cmp_gt_f64_e32 vcc_lo, 0, v[26:27]
	v_add_f64 v[26:27], v[24:25], -v[28:29]
	v_add_f64 v[12:13], v[20:21], -v[12:13]
	v_cndmask_b32_e64 v31, 0, 0x40100000, vcc_lo
	s_delay_alu instid0(VALU_DEP_3) | instskip(SKIP_1) | instid1(VALU_DEP_3)
	v_add_f64 v[35:36], v[24:25], -v[26:27]
	v_add_f64 v[8:9], v[8:9], -v[26:27]
	v_add_f64 v[16:17], v[16:17], v[30:31]
	v_add_f64 v[31:32], v[20:21], -v[24:25]
	s_delay_alu instid0(VALU_DEP_4) | instskip(NEXT) | instid1(VALU_DEP_3)
	v_add_f64 v[26:27], v[28:29], -v[35:36]
	v_add_f64 v[33:34], v[22:23], v[16:17]
	s_delay_alu instid0(VALU_DEP_3) | instskip(SKIP_1) | instid1(VALU_DEP_4)
	v_add_f64 v[37:38], v[20:21], -v[31:32]
	v_add_f64 v[10:11], v[10:11], -v[31:32]
	v_add_f64 v[8:9], v[8:9], v[26:27]
	s_delay_alu instid0(VALU_DEP_4) | instskip(NEXT) | instid1(VALU_DEP_4)
	v_cvt_i32_f64_e32 v18, v[33:34]
	v_add_f64 v[24:25], v[24:25], -v[37:38]
	s_delay_alu instid0(VALU_DEP_2) | instskip(NEXT) | instid1(VALU_DEP_2)
	v_cvt_f64_i32_e32 v[31:32], v18
	v_add_f64 v[10:11], v[10:11], v[24:25]
	s_delay_alu instid0(VALU_DEP_2) | instskip(NEXT) | instid1(VALU_DEP_2)
	v_add_f64 v[16:17], v[16:17], -v[31:32]
	v_add_f64 v[8:9], v[8:9], v[10:11]
	s_delay_alu instid0(VALU_DEP_2) | instskip(NEXT) | instid1(VALU_DEP_2)
	v_add_f64 v[10:11], v[22:23], v[16:17]
	v_add_f64 v[6:7], v[6:7], v[8:9]
	s_delay_alu instid0(VALU_DEP_2) | instskip(SKIP_1) | instid1(VALU_DEP_3)
	v_add_f64 v[8:9], v[10:11], -v[16:17]
	v_cmp_le_f64_e32 vcc_lo, 0.5, v[10:11]
	v_add_f64 v[6:7], v[12:13], v[6:7]
	s_delay_alu instid0(VALU_DEP_3) | instskip(SKIP_2) | instid1(VALU_DEP_3)
	v_add_f64 v[8:9], v[22:23], -v[8:9]
	v_cndmask_b32_e64 v31, 0, 0x3ff00000, vcc_lo
	v_add_co_ci_u32_e64 v20, s0, 0, v18, vcc_lo
	v_add_f64 v[6:7], v[6:7], v[8:9]
	s_delay_alu instid0(VALU_DEP_3) | instskip(NEXT) | instid1(VALU_DEP_1)
	v_add_f64 v[8:9], v[10:11], -v[30:31]
	v_add_f64 v[10:11], v[8:9], v[6:7]
	s_delay_alu instid0(VALU_DEP_1) | instskip(SKIP_1) | instid1(VALU_DEP_2)
	v_mul_f64 v[12:13], v[10:11], s[6:7]
	v_add_f64 v[8:9], v[10:11], -v[8:9]
	v_fma_f64 v[14:15], v[10:11], s[6:7], -v[12:13]
	s_delay_alu instid0(VALU_DEP_2) | instskip(NEXT) | instid1(VALU_DEP_2)
	v_add_f64 v[6:7], v[6:7], -v[8:9]
	v_fma_f64 v[8:9], v[10:11], s[8:9], v[14:15]
	s_delay_alu instid0(VALU_DEP_1) | instskip(NEXT) | instid1(VALU_DEP_1)
	v_fma_f64 v[6:7], v[6:7], s[6:7], v[8:9]
	v_add_f64 v[14:15], v[12:13], v[6:7]
	s_delay_alu instid0(VALU_DEP_1) | instskip(NEXT) | instid1(VALU_DEP_1)
	v_add_f64 v[8:9], v[14:15], -v[12:13]
	v_add_f64 v[16:17], v[6:7], -v[8:9]
	s_and_not1_saveexec_b32 s0, s1
	s_cbranch_execnz .LBB139_75
	s_branch .LBB139_76
.LBB139_74:
	s_and_not1_saveexec_b32 s0, s1
	s_cbranch_execz .LBB139_76
.LBB139_75:
	s_mov_b32 s6, 0x6dc9c883
	s_mov_b32 s7, 0x3fe45f30
	;; [unrolled: 1-line block ×3, first 2 shown]
	v_mul_f64 v[6:7], |v[2:3]|, s[6:7]
	s_mov_b32 s6, 0x54442d18
	s_mov_b32 s7, 0xbff921fb
	;; [unrolled: 1-line block ×3, first 2 shown]
	s_delay_alu instid0(VALU_DEP_1) | instskip(NEXT) | instid1(VALU_DEP_1)
	v_rndne_f64_e32 v[6:7], v[6:7]
	v_fma_f64 v[8:9], v[6:7], s[6:7], |v[2:3]|
	v_mul_f64 v[10:11], v[6:7], s[8:9]
	s_mov_b32 s6, 0x252049c0
	s_mov_b32 s7, 0xb97b839a
	v_cvt_i32_f64_e32 v20, v[6:7]
	s_delay_alu instid0(VALU_DEP_3) | instskip(NEXT) | instid1(VALU_DEP_3)
	v_fma_f64 v[16:17], v[6:7], s[8:9], v[8:9]
	v_add_f64 v[12:13], v[8:9], v[10:11]
	s_mov_b32 s9, 0x3c91a626
	s_delay_alu instid0(VALU_DEP_1) | instskip(NEXT) | instid1(VALU_DEP_3)
	v_add_f64 v[8:9], v[8:9], -v[12:13]
	v_add_f64 v[12:13], v[12:13], -v[16:17]
	s_delay_alu instid0(VALU_DEP_2) | instskip(SKIP_1) | instid1(VALU_DEP_2)
	v_add_f64 v[8:9], v[8:9], v[10:11]
	v_fma_f64 v[10:11], v[6:7], s[8:9], v[10:11]
	v_add_f64 v[8:9], v[12:13], v[8:9]
	s_delay_alu instid0(VALU_DEP_1) | instskip(NEXT) | instid1(VALU_DEP_1)
	v_add_f64 v[8:9], v[8:9], -v[10:11]
	v_fma_f64 v[8:9], v[6:7], s[6:7], v[8:9]
	s_delay_alu instid0(VALU_DEP_1) | instskip(NEXT) | instid1(VALU_DEP_1)
	v_add_f64 v[14:15], v[16:17], v[8:9]
	v_add_f64 v[10:11], v[14:15], -v[16:17]
	s_delay_alu instid0(VALU_DEP_1)
	v_add_f64 v[16:17], v[8:9], -v[10:11]
.LBB139_76:
	s_or_b32 exec_lo, exec_lo, s0
	v_mul_f64 v[6:7], v[0:1], v[0:1]
	v_mul_f64 v[8:9], v[14:15], v[14:15]
	s_mov_b32 s0, 0xb42fdfa7
	s_mov_b32 s6, 0xf9a43bb8
	;; [unrolled: 1-line block ×6, first 2 shown]
	s_delay_alu instid0(VALU_DEP_3) | instskip(NEXT) | instid1(VALU_DEP_4)
	v_mul_f64 v[33:34], v[4:5], 0.5
	v_mul_f64 v[48:49], v[16:17], 0.5
	s_delay_alu instid0(VALU_DEP_4) | instskip(NEXT) | instid1(VALU_DEP_4)
	v_fma_f64 v[10:11], v[6:7], s[6:7], s[0:1]
	v_fma_f64 v[12:13], v[8:9], s[6:7], s[0:1]
	v_mul_f64 v[23:24], v[6:7], 0.5
	s_mov_b32 s0, 0x9037ab78
	s_mov_b32 s6, 0x46cc5e42
	;; [unrolled: 1-line block ×4, first 2 shown]
	v_mul_f64 v[25:26], v[8:9], 0.5
	v_fma_f64 v[21:22], v[6:7], s[6:7], s[0:1]
	v_fma_f64 v[27:28], v[8:9], s[6:7], s[0:1]
	s_mov_b32 s6, 0x19e83e5c
	s_mov_b32 s7, 0xbf2a01a0
	;; [unrolled: 1-line block ×4, first 2 shown]
	v_mul_f64 v[35:36], v[0:1], -v[6:7]
	v_mul_f64 v[50:51], v[14:15], -v[8:9]
	v_fma_f64 v[10:11], v[6:7], v[10:11], s[8:9]
	v_fma_f64 v[12:13], v[8:9], v[12:13], s[8:9]
	v_add_f64 v[29:30], -v[23:24], 1.0
	v_add_f64 v[31:32], -v[25:26], 1.0
	v_fma_f64 v[21:22], v[6:7], v[21:22], s[0:1]
	v_fma_f64 v[27:28], v[8:9], v[27:28], s[0:1]
	s_mov_b32 s0, 0x19f4ec90
	s_mov_b32 s1, 0x3efa01a0
	v_fma_f64 v[10:11], v[6:7], v[10:11], s[6:7]
	v_fma_f64 v[12:13], v[8:9], v[12:13], s[6:7]
	s_mov_b32 s6, 0x11110bb3
	s_mov_b32 s7, 0x3f811111
	v_add_f64 v[37:38], -v[29:30], 1.0
	v_add_f64 v[52:53], -v[31:32], 1.0
	v_fma_f64 v[21:22], v[6:7], v[21:22], s[0:1]
	v_fma_f64 v[27:28], v[8:9], v[27:28], s[0:1]
	s_mov_b32 s0, 0x16c16967
	s_mov_b32 s1, 0xbf56c16c
	v_fma_f64 v[10:11], v[6:7], v[10:11], s[6:7]
	v_fma_f64 v[12:13], v[8:9], v[12:13], s[6:7]
	v_add_f64 v[23:24], v[37:38], -v[23:24]
	v_add_f64 v[25:26], v[52:53], -v[25:26]
	v_fma_f64 v[21:22], v[6:7], v[21:22], s[0:1]
	v_fma_f64 v[27:28], v[8:9], v[27:28], s[0:1]
	s_mov_b32 s0, 0x55555555
	s_mov_b32 s1, 0x3fa55555
	v_fma_f64 v[10:11], v[35:36], v[10:11], v[33:34]
	v_fma_f64 v[12:13], v[50:51], v[12:13], v[48:49]
	v_mul_f64 v[33:34], v[6:7], v[6:7]
	v_fma_f64 v[23:24], v[0:1], -v[4:5], v[23:24]
	v_fma_f64 v[25:26], v[14:15], -v[16:17], v[25:26]
	v_fma_f64 v[21:22], v[6:7], v[21:22], s[0:1]
	v_fma_f64 v[4:5], v[6:7], v[10:11], -v[4:5]
	v_mul_f64 v[6:7], v[8:9], v[8:9]
	v_fma_f64 v[10:11], v[8:9], v[27:28], s[0:1]
	v_fma_f64 v[8:9], v[8:9], v[12:13], -v[16:17]
	s_mov_b32 s1, 0xbfc55555
	v_fma_f64 v[12:13], v[33:34], v[21:22], v[23:24]
	v_fma_f64 v[4:5], v[35:36], s[0:1], v[4:5]
	s_delay_alu instid0(VALU_DEP_4) | instskip(NEXT) | instid1(VALU_DEP_4)
	v_fma_f64 v[6:7], v[6:7], v[10:11], v[25:26]
	v_fma_f64 v[8:9], v[50:51], s[0:1], v[8:9]
	v_cmp_class_f64_e64 s0, v[2:3], 0x1f8
	v_add_f64 v[10:11], v[29:30], v[12:13]
	v_add_f64 v[0:1], v[0:1], -v[4:5]
	v_add_f64 v[4:5], v[31:32], v[6:7]
	v_add_f64 v[6:7], v[14:15], -v[8:9]
	v_and_b32_e32 v8, 1, v19
	v_lshlrev_b32_e32 v9, 30, v19
	s_delay_alu instid0(VALU_DEP_2) | instskip(SKIP_1) | instid1(VALU_DEP_1)
	v_cmp_eq_u32_e32 vcc_lo, 0, v8
	v_and_b32_e32 v8, 1, v20
	v_cmp_eq_u32_e64 s1, 0, v8
	v_xor_b32_e32 v1, 0x80000000, v1
	v_lshlrev_b32_e32 v2, 30, v20
	v_cndmask_b32_e32 v0, v0, v10, vcc_lo
	s_delay_alu instid0(VALU_DEP_4)
	v_cndmask_b32_e64 v5, v5, v7, s1
	v_cndmask_b32_e64 v4, v4, v6, s1
	v_cndmask_b32_e32 v1, v1, v11, vcc_lo
	v_xor_b32_e32 v2, v2, v3
	v_and_b32_e32 v3, 0x80000000, v9
	v_cndmask_b32_e64 v0, 0, v0, s0
	s_delay_alu instid0(VALU_DEP_3) | instskip(NEXT) | instid1(VALU_DEP_3)
	v_and_b32_e32 v2, 0x80000000, v2
	v_xor_b32_e32 v1, v1, v3
	s_delay_alu instid0(VALU_DEP_2) | instskip(NEXT) | instid1(VALU_DEP_2)
	v_xor_b32_e32 v3, v5, v2
	v_cndmask_b32_e64 v1, 0x7ff80000, v1, s0
	v_cndmask_b32_e64 v2, 0, v4, s0
	s_delay_alu instid0(VALU_DEP_3)
	v_cndmask_b32_e64 v3, 0x7ff80000, v3, s0
.LBB139_77:
	s_or_b32 exec_lo, exec_lo, s2
                                        ; implicit-def: $vgpr4_vgpr5
	s_and_not1_saveexec_b32 s1, s4
	s_cbranch_execnz .LBB139_41
.LBB139_78:
	s_or_b32 exec_lo, exec_lo, s1
	s_setpc_b64 s[30:31]
.Lfunc_end139:
	.size	_ZNK2at6native12_GLOBAL__N_113power_functorIN3c107complexIdEEEclERKS5_S8_, .Lfunc_end139-_ZNK2at6native12_GLOBAL__N_113power_functorIN3c107complexIdEEEclERKS5_S8_
                                        ; -- End function
	.section	.AMDGPU.csdata,"",@progbits
; Function info:
; codeLenInByte = 25836
; NumSgprs: 34
; NumVgprs: 68
; ScratchSize: 0
; MemoryBound: 0
	.section	.text._ZN2at6native12_GLOBAL__N_125multi_tensor_apply_kernelINS1_18TensorListMetadataILi2EEENS1_24BinaryOpListAlphaFunctorIN3c107complexIdEELi2ELi2ELi0EEEJNS1_13power_functorIS8_EES8_EEEvT_T0_DpT1_,"axG",@progbits,_ZN2at6native12_GLOBAL__N_125multi_tensor_apply_kernelINS1_18TensorListMetadataILi2EEENS1_24BinaryOpListAlphaFunctorIN3c107complexIdEELi2ELi2ELi0EEEJNS1_13power_functorIS8_EES8_EEEvT_T0_DpT1_,comdat
	.globl	_ZN2at6native12_GLOBAL__N_125multi_tensor_apply_kernelINS1_18TensorListMetadataILi2EEENS1_24BinaryOpListAlphaFunctorIN3c107complexIdEELi2ELi2ELi0EEEJNS1_13power_functorIS8_EES8_EEEvT_T0_DpT1_ ; -- Begin function _ZN2at6native12_GLOBAL__N_125multi_tensor_apply_kernelINS1_18TensorListMetadataILi2EEENS1_24BinaryOpListAlphaFunctorIN3c107complexIdEELi2ELi2ELi0EEEJNS1_13power_functorIS8_EES8_EEEvT_T0_DpT1_
	.p2align	8
	.type	_ZN2at6native12_GLOBAL__N_125multi_tensor_apply_kernelINS1_18TensorListMetadataILi2EEENS1_24BinaryOpListAlphaFunctorIN3c107complexIdEELi2ELi2ELi0EEEJNS1_13power_functorIS8_EES8_EEEvT_T0_DpT1_,@function
_ZN2at6native12_GLOBAL__N_125multi_tensor_apply_kernelINS1_18TensorListMetadataILi2EEENS1_24BinaryOpListAlphaFunctorIN3c107complexIdEELi2ELi2ELi0EEEJNS1_13power_functorIS8_EES8_EEEvT_T0_DpT1_: ; @_ZN2at6native12_GLOBAL__N_125multi_tensor_apply_kernelINS1_18TensorListMetadataILi2EEENS1_24BinaryOpListAlphaFunctorIN3c107complexIdEELi2ELi2ELi0EEEJNS1_13power_functorIS8_EES8_EEEvT_T0_DpT1_
; %bb.0:
	v_mov_b32_e32 v60, v0
	v_mov_b32_e32 v0, s15
	s_mov_b64 s[18:19], s[0:1]
	s_mov_b32 s5, 0
	s_mov_b32 s32, 0
	;; [unrolled: 1-line block ×3, first 2 shown]
	global_load_u8 v0, v0, s[0:1] offset:1536
	s_add_u32 s0, s18, s15
	s_mul_hi_u32 s1, s15, 3
	s_mul_i32 s15, s15, 3
	s_addc_u32 s2, s19, 0
	s_add_u32 s0, s0, s15
	s_addc_u32 s1, s2, s1
	s_mov_b32 s9, s5
	s_load_b32 s0, s[0:1], 0x740
	s_waitcnt vmcnt(0)
	v_readfirstlane_b32 s1, v0
	s_delay_alu instid0(VALU_DEP_1)
	s_lshl_b32 s1, s1, 3
	s_clause 0x3
	s_load_b64 s[20:21], s[18:19], s1 offset:0x0
	s_load_b64 s[38:39], s[18:19], s1 offset:0x200
	;; [unrolled: 1-line block ×3, first 2 shown]
	s_load_b128 s[24:27], s[18:19], 0xc50
	s_waitcnt lgkmcnt(0)
	s_ashr_i32 s1, s0, 31
	s_delay_alu instid0(SALU_CYCLE_1) | instskip(NEXT) | instid1(SALU_CYCLE_1)
	s_lshl_b64 s[22:23], s[0:1], 20
	s_add_u32 s33, s20, s22
	s_addc_u32 s34, s21, s23
	s_add_u32 s35, s38, s22
	s_addc_u32 s36, s39, s23
	s_and_b32 s6, s33, 63
	s_and_b32 s8, s2, 3
	;; [unrolled: 1-line block ×3, first 2 shown]
	s_or_b64 s[6:7], s[6:7], s[8:9]
	s_lshl_b64 s[0:1], s[0:1], 16
	s_or_b64 s[4:5], s[4:5], s[6:7]
	s_sub_u32 s28, s2, s0
	s_subb_u32 s29, s3, s1
	s_cmp_eq_u64 s[4:5], 0
	s_mov_b32 s0, -1
	s_cbranch_scc0 .LBB140_5
; %bb.1:
	v_dual_mov_b32 v62, 0 :: v_dual_lshlrev_b32 v61, 2, v60
	s_mov_b32 s37, exec_lo
	s_delay_alu instid0(VALU_DEP_1)
	v_cmpx_gt_i64_e64 s[28:29], v[61:62]
	s_cbranch_execz .LBB140_4
; %bb.2:
	s_load_b32 s0, s[18:19], 0xc6c
	v_lshlrev_b32_e32 v63, 6, v60
	s_mov_b32 s40, 0
	s_waitcnt lgkmcnt(0)
	s_and_b32 s0, s0, 0xffff
	s_delay_alu instid0(SALU_CYCLE_1)
	v_add_lshl_u32 v61, v60, s0, 2
	s_lshl_b32 s41, s0, 2
	s_lshl_b32 s42, s0, 6
.LBB140_3:                              ; =>This Inner Loop Header: Depth=1
	v_add_co_u32 v4, s0, s35, v63
	s_delay_alu instid0(VALU_DEP_1) | instskip(SKIP_1) | instid1(VALU_DEP_1)
	v_add_co_ci_u32_e64 v5, null, s36, 0, s0
	v_add_co_u32 v84, s0, s33, v63
	v_add_co_ci_u32_e64 v85, null, s34, 0, s0
	global_load_b128 v[6:9], v[4:5], off
	global_load_b128 v[0:3], v[84:85], off
	global_load_b128 v[72:75], v[4:5], off offset:16
	s_clause 0x2
	global_load_b128 v[40:43], v[84:85], off offset:16
	global_load_b128 v[44:47], v[84:85], off offset:48
	;; [unrolled: 1-line block ×3, first 2 shown]
	s_clause 0x1
	global_load_b128 v[76:79], v[4:5], off offset:48
	global_load_b128 v[80:83], v[4:5], off offset:32
	s_getpc_b64 s[44:45]
	s_add_u32 s44, s44, _ZNK2at6native12_GLOBAL__N_113power_functorIN3c107complexIdEEEclERKS5_S8_@rel32@lo+4
	s_addc_u32 s45, s45, _ZNK2at6native12_GLOBAL__N_113power_functorIN3c107complexIdEEEclERKS5_S8_@rel32@hi+12
	s_waitcnt vmcnt(7)
	v_mul_f64 v[4:5], s[26:27], v[8:9]
	v_mul_f64 v[8:9], s[24:25], v[8:9]
	s_delay_alu instid0(VALU_DEP_2) | instskip(NEXT) | instid1(VALU_DEP_2)
	v_fma_f64 v[4:5], s[24:25], v[6:7], -v[4:5]
	v_fma_f64 v[6:7], s[26:27], v[6:7], v[8:9]
	s_swappc_b64 s[30:31], s[44:45]
	v_dual_mov_b32 v68, v0 :: v_dual_mov_b32 v69, v1
	v_dual_mov_b32 v70, v2 :: v_dual_mov_b32 v71, v3
	v_mul_f64 v[0:1], s[26:27], v[74:75]
	v_mul_f64 v[2:3], s[24:25], v[74:75]
	s_delay_alu instid0(VALU_DEP_2) | instskip(NEXT) | instid1(VALU_DEP_2)
	v_fma_f64 v[4:5], s[24:25], v[72:73], -v[0:1]
	v_fma_f64 v[6:7], s[26:27], v[72:73], v[2:3]
	v_dual_mov_b32 v0, v40 :: v_dual_mov_b32 v1, v41
	v_dual_mov_b32 v2, v42 :: v_dual_mov_b32 v3, v43
	s_swappc_b64 s[30:31], s[44:45]
	s_delay_alu instid0(VALU_DEP_2) | instskip(NEXT) | instid1(VALU_DEP_2)
	v_dual_mov_b32 v40, v0 :: v_dual_mov_b32 v41, v1
	v_dual_mov_b32 v42, v2 :: v_dual_mov_b32 v43, v3
	v_mul_f64 v[0:1], s[26:27], v[82:83]
	v_mul_f64 v[2:3], s[24:25], v[82:83]
	s_delay_alu instid0(VALU_DEP_2) | instskip(NEXT) | instid1(VALU_DEP_2)
	v_fma_f64 v[4:5], s[24:25], v[80:81], -v[0:1]
	v_fma_f64 v[6:7], s[26:27], v[80:81], v[2:3]
	v_dual_mov_b32 v0, v56 :: v_dual_mov_b32 v1, v57
	v_dual_mov_b32 v2, v58 :: v_dual_mov_b32 v3, v59
	s_swappc_b64 s[30:31], s[44:45]
	s_delay_alu instid0(VALU_DEP_2) | instskip(NEXT) | instid1(VALU_DEP_2)
	v_dual_mov_b32 v56, v0 :: v_dual_mov_b32 v57, v1
	v_dual_mov_b32 v58, v2 :: v_dual_mov_b32 v59, v3
	v_mul_f64 v[0:1], s[26:27], v[78:79]
	v_mul_f64 v[2:3], s[24:25], v[78:79]
	s_delay_alu instid0(VALU_DEP_2) | instskip(NEXT) | instid1(VALU_DEP_2)
	v_fma_f64 v[4:5], s[24:25], v[76:77], -v[0:1]
	v_fma_f64 v[6:7], s[26:27], v[76:77], v[2:3]
	v_dual_mov_b32 v0, v44 :: v_dual_mov_b32 v1, v45
	v_dual_mov_b32 v2, v46 :: v_dual_mov_b32 v3, v47
	s_swappc_b64 s[30:31], s[44:45]
	v_cmp_le_i64_e32 vcc_lo, s[28:29], v[61:62]
	v_cmp_lt_u64_e64 s0, 0xffff, v[61:62]
	v_add_co_u32 v61, s1, v61, s41
	s_delay_alu instid0(VALU_DEP_1)
	v_add_co_ci_u32_e64 v62, s1, 0, v62, s1
	s_clause 0x1
	global_store_b128 v[84:85], v[68:71], off
	global_store_b128 v[84:85], v[40:43], off offset:16
	s_or_b32 s0, vcc_lo, s0
	s_add_u32 s33, s33, s42
	s_addc_u32 s34, s34, 0
	s_add_u32 s35, s35, s42
	s_addc_u32 s36, s36, 0
	s_and_b32 s0, exec_lo, s0
	s_clause 0x1
	global_store_b128 v[84:85], v[56:59], off offset:32
	global_store_b128 v[84:85], v[0:3], off offset:48
	s_or_b32 s40, s0, s40
	s_delay_alu instid0(SALU_CYCLE_1)
	s_and_not1_b32 exec_lo, exec_lo, s40
	s_cbranch_execnz .LBB140_3
.LBB140_4:
	s_or_b32 exec_lo, exec_lo, s37
	s_mov_b32 s0, 0
.LBB140_5:
	s_delay_alu instid0(SALU_CYCLE_1)
	s_and_not1_b32 vcc_lo, exec_lo, s0
	s_cbranch_vccnz .LBB140_25
; %bb.6:
	v_cmp_lt_i64_e64 s0, s[28:29], 1
	s_delay_alu instid0(VALU_DEP_1)
	s_and_b32 vcc_lo, exec_lo, s0
	s_cbranch_vccnz .LBB140_25
; %bb.7:
	s_load_b32 s0, s[18:19], 0xc6c
	v_mov_b32_e32 v61, 0
	v_lshl_or_b32 v0, v60, 4, 8
	v_cmp_gt_u64_e64 s1, 0x10000, s[28:29]
	s_mov_b32 s35, 0
	s_delay_alu instid0(VALU_DEP_3) | instskip(NEXT) | instid1(VALU_DEP_3)
	v_mov_b32_e32 v1, v61
	v_add_co_u32 v62, s2, s38, v0
	s_delay_alu instid0(VALU_DEP_1) | instskip(SKIP_1) | instid1(VALU_DEP_1)
	v_add_co_ci_u32_e64 v63, null, s39, 0, s2
	v_add_co_u32 v80, s2, s20, v0
	v_add_co_ci_u32_e64 v81, null, s21, 0, s2
	s_waitcnt lgkmcnt(0)
	s_and_b32 s33, s0, 0xffff
	s_and_b32 s0, s1, exec_lo
	v_add_lshl_u32 v4, v60, s33, 4
	v_mad_u64_u32 v[2:3], null, s33, 48, v[0:1]
	s_cselect_b32 s37, s29, 0
	s_cselect_b32 s36, s28, 0x10000
	s_delay_alu instid0(VALU_DEP_2) | instskip(NEXT) | instid1(VALU_DEP_1)
	v_add_co_u32 v82, s0, s20, v4
	v_add_co_ci_u32_e64 v83, null, s21, 0, s0
	v_add_co_u32 v86, s0, s38, v4
	s_delay_alu instid0(VALU_DEP_1)
	v_add_co_ci_u32_e64 v87, null, s39, 0, s0
	s_lshl_b32 s0, s33, 5
	v_add_co_u32 v84, vcc_lo, s38, v2
	v_add_co_u32 v0, s0, v0, s0
	v_add_co_ci_u32_e32 v85, vcc_lo, s39, v3, vcc_lo
	v_add_co_ci_u32_e64 v1, null, 0, 0, s0
	v_add_co_u32 v88, vcc_lo, s20, v2
	v_add_co_ci_u32_e32 v89, vcc_lo, s21, v3, vcc_lo
	v_add_co_u32 v90, vcc_lo, s38, v0
	s_delay_alu instid0(VALU_DEP_4)
	v_add_co_ci_u32_e32 v91, vcc_lo, s39, v1, vcc_lo
	v_add_co_u32 v92, vcc_lo, s20, v0
	v_add_co_ci_u32_e32 v93, vcc_lo, s21, v1, vcc_lo
	s_lshl_b32 s34, s33, 2
	s_lshl_b32 s40, s33, 1
	s_mul_i32 s41, s33, 3
	s_lshl_b32 s21, s33, 6
	s_mov_b64 s[38:39], s[34:35]
	s_branch .LBB140_9
.LBB140_8:                              ;   in Loop: Header=BB140_9 Depth=1
	s_or_b32 exec_lo, exec_lo, s18
	v_add_co_u32 v60, vcc_lo, v60, s34
	v_add_co_ci_u32_e32 v61, vcc_lo, 0, v61, vcc_lo
	v_add_co_u32 v62, vcc_lo, v62, s21
	v_add_co_ci_u32_e32 v63, vcc_lo, 0, v63, vcc_lo
	;; [unrolled: 2-line block ×7, first 2 shown]
	v_cmp_ge_i64_e64 s0, s[38:39], s[28:29]
	v_cmp_lt_u64_e64 s1, 0xffff, s[38:39]
	v_add_co_u32 v90, vcc_lo, v90, s21
	v_add_co_ci_u32_e32 v91, vcc_lo, 0, v91, vcc_lo
	v_add_co_u32 v92, vcc_lo, v92, s21
	v_add_co_ci_u32_e32 v93, vcc_lo, 0, v93, vcc_lo
	s_or_b32 s0, s0, s1
	s_add_u32 s38, s38, s34
	s_addc_u32 s39, s39, 0
	s_and_b32 vcc_lo, exec_lo, s0
	s_cbranch_vccnz .LBB140_25
.LBB140_9:                              ; =>This Inner Loop Header: Depth=1
	s_waitcnt vmcnt(0)
	v_mov_b32_e32 v70, 0
	v_mov_b32_e32 v71, 0
	v_cmp_gt_u64_e32 vcc_lo, s[36:37], v[60:61]
	s_delay_alu instid0(VALU_DEP_3) | instskip(SKIP_1) | instid1(VALU_DEP_4)
	v_mov_b32_e32 v6, v70
	v_mov_b32_e32 v4, v70
	v_dual_mov_b32 v2, v70 :: v_dual_mov_b32 v3, v71
	v_mov_b32_e32 v7, v71
	v_dual_mov_b32 v5, v71 :: v_dual_mov_b32 v0, v70
	v_mov_b32_e32 v1, v71
	s_and_saveexec_b32 s1, vcc_lo
	s_cbranch_execz .LBB140_11
; %bb.10:                               ;   in Loop: Header=BB140_9 Depth=1
	v_add_co_u32 v0, s0, v80, s22
	s_delay_alu instid0(VALU_DEP_1) | instskip(SKIP_1) | instid1(VALU_DEP_1)
	v_add_co_ci_u32_e64 v1, s0, s23, v81, s0
	v_add_co_u32 v4, s0, v62, s22
	v_add_co_ci_u32_e64 v5, s0, s23, v63, s0
	global_load_b128 v[0:3], v[0:1], off offset:-8
	global_load_b128 v[4:7], v[4:5], off offset:-8
.LBB140_11:                             ;   in Loop: Header=BB140_9 Depth=1
	s_or_b32 exec_lo, exec_lo, s1
	v_add_co_u32 v8, s0, s33, v60
	s_delay_alu instid0(VALU_DEP_1) | instskip(SKIP_2) | instid1(VALU_DEP_3)
	v_add_co_ci_u32_e64 v9, s0, 0, v61, s0
	v_dual_mov_b32 v68, v70 :: v_dual_mov_b32 v69, v71
	v_dual_mov_b32 v42, v70 :: v_dual_mov_b32 v43, v71
	v_cmp_gt_u64_e64 s18, s[36:37], v[8:9]
	v_dual_mov_b32 v40, v70 :: v_dual_mov_b32 v41, v71
	s_delay_alu instid0(VALU_DEP_2)
	s_and_saveexec_b32 s1, s18
	s_cbranch_execz .LBB140_13
; %bb.12:                               ;   in Loop: Header=BB140_9 Depth=1
	v_add_co_u32 v8, s0, v82, s22
	s_delay_alu instid0(VALU_DEP_1) | instskip(SKIP_1) | instid1(VALU_DEP_1)
	v_add_co_ci_u32_e64 v9, s0, s23, v83, s0
	v_add_co_u32 v10, s0, v86, s22
	v_add_co_ci_u32_e64 v11, s0, s23, v87, s0
	global_load_b128 v[40:43], v[8:9], off
	global_load_b128 v[68:71], v[10:11], off
.LBB140_13:                             ;   in Loop: Header=BB140_9 Depth=1
	s_or_b32 exec_lo, exec_lo, s1
	v_add_co_u32 v8, s0, s40, v60
	s_delay_alu instid0(VALU_DEP_1) | instskip(SKIP_2) | instid1(VALU_DEP_2)
	v_add_co_ci_u32_e64 v9, s0, 0, v61, s0
	v_mov_b32_e32 v74, 0
	v_mov_b32_e32 v75, 0
	v_mov_b32_e32 v46, v74
	s_delay_alu instid0(VALU_DEP_4) | instskip(NEXT) | instid1(VALU_DEP_3)
	v_cmp_gt_u64_e64 s19, s[36:37], v[8:9]
	v_dual_mov_b32 v44, v74 :: v_dual_mov_b32 v45, v75
	v_dual_mov_b32 v79, v75 :: v_dual_mov_b32 v78, v74
	v_dual_mov_b32 v77, v75 :: v_dual_mov_b32 v76, v74
	v_mov_b32_e32 v47, v75
	s_and_saveexec_b32 s1, s19
	s_cbranch_execz .LBB140_15
; %bb.14:                               ;   in Loop: Header=BB140_9 Depth=1
	v_add_co_u32 v8, s0, v92, s22
	s_delay_alu instid0(VALU_DEP_1) | instskip(SKIP_1) | instid1(VALU_DEP_1)
	v_add_co_ci_u32_e64 v9, s0, s23, v93, s0
	v_add_co_u32 v10, s0, v90, s22
	v_add_co_ci_u32_e64 v11, s0, s23, v91, s0
	global_load_b128 v[44:47], v[8:9], off offset:-8
	global_load_b128 v[76:79], v[10:11], off offset:-8
.LBB140_15:                             ;   in Loop: Header=BB140_9 Depth=1
	s_or_b32 exec_lo, exec_lo, s1
	v_add_co_u32 v8, s0, s41, v60
	s_delay_alu instid0(VALU_DEP_1) | instskip(SKIP_2) | instid1(VALU_DEP_3)
	v_add_co_ci_u32_e64 v9, s0, 0, v61, s0
	v_dual_mov_b32 v72, v74 :: v_dual_mov_b32 v73, v75
	v_dual_mov_b32 v58, v74 :: v_dual_mov_b32 v59, v75
	v_cmp_gt_u64_e64 s20, s[36:37], v[8:9]
	v_dual_mov_b32 v56, v74 :: v_dual_mov_b32 v57, v75
	s_delay_alu instid0(VALU_DEP_2)
	s_and_saveexec_b32 s1, s20
	s_cbranch_execnz .LBB140_20
; %bb.16:                               ;   in Loop: Header=BB140_9 Depth=1
	s_or_b32 exec_lo, exec_lo, s1
	s_and_saveexec_b32 s35, vcc_lo
	s_cbranch_execnz .LBB140_21
.LBB140_17:                             ;   in Loop: Header=BB140_9 Depth=1
	s_or_b32 exec_lo, exec_lo, s35
	s_and_saveexec_b32 s35, s18
	s_cbranch_execnz .LBB140_22
.LBB140_18:                             ;   in Loop: Header=BB140_9 Depth=1
	s_or_b32 exec_lo, exec_lo, s35
	s_and_saveexec_b32 s18, s19
	s_cbranch_execnz .LBB140_23
.LBB140_19:                             ;   in Loop: Header=BB140_9 Depth=1
	s_or_b32 exec_lo, exec_lo, s18
	s_and_saveexec_b32 s18, s20
	s_cbranch_execz .LBB140_8
	s_branch .LBB140_24
.LBB140_20:                             ;   in Loop: Header=BB140_9 Depth=1
	v_add_co_u32 v8, s0, v88, s22
	s_delay_alu instid0(VALU_DEP_1) | instskip(SKIP_1) | instid1(VALU_DEP_1)
	v_add_co_ci_u32_e64 v9, s0, s23, v89, s0
	v_add_co_u32 v10, s0, v84, s22
	v_add_co_ci_u32_e64 v11, s0, s23, v85, s0
	global_load_b128 v[56:59], v[8:9], off offset:-8
	global_load_b128 v[72:75], v[10:11], off offset:-8
	s_or_b32 exec_lo, exec_lo, s1
	s_and_saveexec_b32 s35, vcc_lo
	s_cbranch_execz .LBB140_17
.LBB140_21:                             ;   in Loop: Header=BB140_9 Depth=1
	s_waitcnt vmcnt(0)
	v_mul_f64 v[8:9], s[26:27], v[6:7]
	v_mul_f64 v[10:11], s[26:27], v[4:5]
	s_getpc_b64 s[0:1]
	s_add_u32 s0, s0, _ZNK2at6native12_GLOBAL__N_113power_functorIN3c107complexIdEEEclERKS5_S8_@rel32@lo+4
	s_addc_u32 s1, s1, _ZNK2at6native12_GLOBAL__N_113power_functorIN3c107complexIdEEEclERKS5_S8_@rel32@hi+12
	s_delay_alu instid0(VALU_DEP_2) | instskip(NEXT) | instid1(VALU_DEP_2)
	v_fma_f64 v[4:5], s[24:25], v[4:5], -v[8:9]
	v_fma_f64 v[6:7], s[24:25], v[6:7], v[10:11]
	s_swappc_b64 s[30:31], s[0:1]
	v_add_co_u32 v4, vcc_lo, v80, s22
	v_add_co_ci_u32_e32 v5, vcc_lo, s23, v81, vcc_lo
	global_store_b128 v[4:5], v[0:3], off offset:-8
	s_or_b32 exec_lo, exec_lo, s35
	s_and_saveexec_b32 s35, s18
	s_cbranch_execz .LBB140_18
.LBB140_22:                             ;   in Loop: Header=BB140_9 Depth=1
	s_waitcnt vmcnt(0)
	v_mul_f64 v[0:1], s[26:27], v[70:71]
	v_mul_f64 v[2:3], s[26:27], v[68:69]
	s_getpc_b64 s[0:1]
	s_add_u32 s0, s0, _ZNK2at6native12_GLOBAL__N_113power_functorIN3c107complexIdEEEclERKS5_S8_@rel32@lo+4
	s_addc_u32 s1, s1, _ZNK2at6native12_GLOBAL__N_113power_functorIN3c107complexIdEEEclERKS5_S8_@rel32@hi+12
	s_delay_alu instid0(VALU_DEP_2) | instskip(NEXT) | instid1(VALU_DEP_2)
	v_fma_f64 v[4:5], s[24:25], v[68:69], -v[0:1]
	v_fma_f64 v[6:7], s[24:25], v[70:71], v[2:3]
	v_dual_mov_b32 v0, v40 :: v_dual_mov_b32 v1, v41
	v_dual_mov_b32 v2, v42 :: v_dual_mov_b32 v3, v43
	s_swappc_b64 s[30:31], s[0:1]
	v_add_co_u32 v4, vcc_lo, v82, s22
	v_add_co_ci_u32_e32 v5, vcc_lo, s23, v83, vcc_lo
	global_store_b128 v[4:5], v[0:3], off
	s_or_b32 exec_lo, exec_lo, s35
	s_and_saveexec_b32 s18, s19
	s_cbranch_execz .LBB140_19
.LBB140_23:                             ;   in Loop: Header=BB140_9 Depth=1
	s_waitcnt vmcnt(0)
	v_mul_f64 v[0:1], s[26:27], v[78:79]
	v_mul_f64 v[2:3], s[26:27], v[76:77]
	s_getpc_b64 s[0:1]
	s_add_u32 s0, s0, _ZNK2at6native12_GLOBAL__N_113power_functorIN3c107complexIdEEEclERKS5_S8_@rel32@lo+4
	s_addc_u32 s1, s1, _ZNK2at6native12_GLOBAL__N_113power_functorIN3c107complexIdEEEclERKS5_S8_@rel32@hi+12
	s_delay_alu instid0(VALU_DEP_2) | instskip(NEXT) | instid1(VALU_DEP_2)
	v_fma_f64 v[4:5], s[24:25], v[76:77], -v[0:1]
	v_fma_f64 v[6:7], s[24:25], v[78:79], v[2:3]
	v_dual_mov_b32 v0, v44 :: v_dual_mov_b32 v1, v45
	v_dual_mov_b32 v2, v46 :: v_dual_mov_b32 v3, v47
	s_swappc_b64 s[30:31], s[0:1]
	v_add_co_u32 v4, vcc_lo, v92, s22
	v_add_co_ci_u32_e32 v5, vcc_lo, s23, v93, vcc_lo
	global_store_b128 v[4:5], v[0:3], off offset:-8
	s_or_b32 exec_lo, exec_lo, s18
	s_and_saveexec_b32 s18, s20
	s_cbranch_execz .LBB140_8
.LBB140_24:                             ;   in Loop: Header=BB140_9 Depth=1
	s_waitcnt vmcnt(0)
	v_mul_f64 v[0:1], s[26:27], v[74:75]
	v_mul_f64 v[2:3], s[26:27], v[72:73]
	s_getpc_b64 s[0:1]
	s_add_u32 s0, s0, _ZNK2at6native12_GLOBAL__N_113power_functorIN3c107complexIdEEEclERKS5_S8_@rel32@lo+4
	s_addc_u32 s1, s1, _ZNK2at6native12_GLOBAL__N_113power_functorIN3c107complexIdEEEclERKS5_S8_@rel32@hi+12
	s_delay_alu instid0(VALU_DEP_2) | instskip(NEXT) | instid1(VALU_DEP_2)
	v_fma_f64 v[4:5], s[24:25], v[72:73], -v[0:1]
	v_fma_f64 v[6:7], s[24:25], v[74:75], v[2:3]
	v_dual_mov_b32 v0, v56 :: v_dual_mov_b32 v1, v57
	v_dual_mov_b32 v2, v58 :: v_dual_mov_b32 v3, v59
	s_swappc_b64 s[30:31], s[0:1]
	v_add_co_u32 v4, vcc_lo, v88, s22
	v_add_co_ci_u32_e32 v5, vcc_lo, s23, v89, vcc_lo
	global_store_b128 v[4:5], v[0:3], off offset:-8
	s_branch .LBB140_8
.LBB140_25:
	s_endpgm
	.section	.rodata,"a",@progbits
	.p2align	6, 0x0
	.amdhsa_kernel _ZN2at6native12_GLOBAL__N_125multi_tensor_apply_kernelINS1_18TensorListMetadataILi2EEENS1_24BinaryOpListAlphaFunctorIN3c107complexIdEELi2ELi2ELi0EEEJNS1_13power_functorIS8_EES8_EEEvT_T0_DpT1_
		.amdhsa_group_segment_fixed_size 0
		.amdhsa_private_segment_fixed_size 0
		.amdhsa_kernarg_size 3424
		.amdhsa_user_sgpr_count 15
		.amdhsa_user_sgpr_dispatch_ptr 0
		.amdhsa_user_sgpr_queue_ptr 0
		.amdhsa_user_sgpr_kernarg_segment_ptr 1
		.amdhsa_user_sgpr_dispatch_id 0
		.amdhsa_user_sgpr_private_segment_size 0
		.amdhsa_wavefront_size32 1
		.amdhsa_uses_dynamic_stack 0
		.amdhsa_enable_private_segment 0
		.amdhsa_system_sgpr_workgroup_id_x 1
		.amdhsa_system_sgpr_workgroup_id_y 0
		.amdhsa_system_sgpr_workgroup_id_z 0
		.amdhsa_system_sgpr_workgroup_info 0
		.amdhsa_system_vgpr_workitem_id 0
		.amdhsa_next_free_vgpr 94
		.amdhsa_next_free_sgpr 46
		.amdhsa_reserve_vcc 1
		.amdhsa_float_round_mode_32 0
		.amdhsa_float_round_mode_16_64 0
		.amdhsa_float_denorm_mode_32 3
		.amdhsa_float_denorm_mode_16_64 3
		.amdhsa_dx10_clamp 1
		.amdhsa_ieee_mode 1
		.amdhsa_fp16_overflow 0
		.amdhsa_workgroup_processor_mode 1
		.amdhsa_memory_ordered 1
		.amdhsa_forward_progress 0
		.amdhsa_shared_vgpr_count 0
		.amdhsa_exception_fp_ieee_invalid_op 0
		.amdhsa_exception_fp_denorm_src 0
		.amdhsa_exception_fp_ieee_div_zero 0
		.amdhsa_exception_fp_ieee_overflow 0
		.amdhsa_exception_fp_ieee_underflow 0
		.amdhsa_exception_fp_ieee_inexact 0
		.amdhsa_exception_int_div_zero 0
	.end_amdhsa_kernel
	.section	.text._ZN2at6native12_GLOBAL__N_125multi_tensor_apply_kernelINS1_18TensorListMetadataILi2EEENS1_24BinaryOpListAlphaFunctorIN3c107complexIdEELi2ELi2ELi0EEEJNS1_13power_functorIS8_EES8_EEEvT_T0_DpT1_,"axG",@progbits,_ZN2at6native12_GLOBAL__N_125multi_tensor_apply_kernelINS1_18TensorListMetadataILi2EEENS1_24BinaryOpListAlphaFunctorIN3c107complexIdEELi2ELi2ELi0EEEJNS1_13power_functorIS8_EES8_EEEvT_T0_DpT1_,comdat
.Lfunc_end140:
	.size	_ZN2at6native12_GLOBAL__N_125multi_tensor_apply_kernelINS1_18TensorListMetadataILi2EEENS1_24BinaryOpListAlphaFunctorIN3c107complexIdEELi2ELi2ELi0EEEJNS1_13power_functorIS8_EES8_EEEvT_T0_DpT1_, .Lfunc_end140-_ZN2at6native12_GLOBAL__N_125multi_tensor_apply_kernelINS1_18TensorListMetadataILi2EEENS1_24BinaryOpListAlphaFunctorIN3c107complexIdEELi2ELi2ELi0EEEJNS1_13power_functorIS8_EES8_EEEvT_T0_DpT1_
                                        ; -- End function
	.section	.AMDGPU.csdata,"",@progbits
; Kernel info:
; codeLenInByte = 2216
; NumSgprs: 48
; NumVgprs: 94
; ScratchSize: 0
; MemoryBound: 1
; FloatMode: 240
; IeeeMode: 1
; LDSByteSize: 0 bytes/workgroup (compile time only)
; SGPRBlocks: 5
; VGPRBlocks: 11
; NumSGPRsForWavesPerEU: 48
; NumVGPRsForWavesPerEU: 94
; Occupancy: 16
; WaveLimiterHint : 0
; COMPUTE_PGM_RSRC2:SCRATCH_EN: 0
; COMPUTE_PGM_RSRC2:USER_SGPR: 15
; COMPUTE_PGM_RSRC2:TRAP_HANDLER: 0
; COMPUTE_PGM_RSRC2:TGID_X_EN: 1
; COMPUTE_PGM_RSRC2:TGID_Y_EN: 0
; COMPUTE_PGM_RSRC2:TGID_Z_EN: 0
; COMPUTE_PGM_RSRC2:TIDIG_COMP_CNT: 0
	.text
	.p2align	2                               ; -- Begin function _ZNK2at6native12_GLOBAL__N_113power_functorIN3c107complexIfEEEclERKS5_S8_
	.type	_ZNK2at6native12_GLOBAL__N_113power_functorIN3c107complexIfEEEclERKS5_S8_,@function
_ZNK2at6native12_GLOBAL__N_113power_functorIN3c107complexIfEEEclERKS5_S8_: ; @_ZNK2at6native12_GLOBAL__N_113power_functorIN3c107complexIfEEEclERKS5_S8_
; %bb.0:
                                        ; implicit-def: $vgpr5
                                        ; implicit-def: $vgpr4
	s_waitcnt vmcnt(0) expcnt(0) lgkmcnt(0)
	s_mov_b32 s0, exec_lo
	v_cmpx_o_f32_e32 v0, v1
	s_xor_b32 s7, exec_lo, s0
	s_cbranch_execz .LBB141_28
; %bb.1:
	v_cmp_lt_f32_e64 s0, |v0|, |v1|
                                        ; implicit-def: $vgpr5
                                        ; implicit-def: $vgpr4
	s_mov_b32 s1, exec_lo
	s_delay_alu instid0(VALU_DEP_1) | instskip(NEXT) | instid1(VALU_DEP_1)
	v_cndmask_b32_e64 v6, |v1|, |v0|, s0
	v_cmpx_nlt_f32_e32 0x77f684df, v6
	s_xor_b32 s8, exec_lo, s1
	s_cbranch_execz .LBB141_25
; %bb.2:
	v_and_b32_e32 v4, 0x7fffffff, v1
                                        ; implicit-def: $vgpr5
	s_mov_b32 s1, exec_lo
	s_delay_alu instid0(VALU_DEP_1) | instskip(NEXT) | instid1(VALU_DEP_1)
	v_cndmask_b32_e64 v7, |v0|, v4, s0
                                        ; implicit-def: $vgpr4
	v_cmpx_neq_f32_e32 1.0, v7
	s_xor_b32 s9, exec_lo, s1
	s_cbranch_execz .LBB141_18
; %bb.3:
	v_dual_max_f32 v4, v6, v6 :: v_dual_max_f32 v5, v7, v7
	s_delay_alu instid0(VALU_DEP_1) | instskip(SKIP_1) | instid1(VALU_DEP_2)
	v_min_f32_e32 v8, v5, v4
	v_max_f32_e32 v4, v5, v4
                                        ; implicit-def: $vgpr5
	v_cmp_ngt_f32_e32 vcc_lo, 0x358637bd, v8
	s_delay_alu instid0(VALU_DEP_2) | instskip(NEXT) | instid1(VALU_DEP_1)
	v_cmp_nlt_f32_e64 s1, 0x49742400, v4
                                        ; implicit-def: $vgpr4
	s_and_b32 s1, s1, vcc_lo
	s_delay_alu instid0(SALU_CYCLE_1) | instskip(NEXT) | instid1(SALU_CYCLE_1)
	s_and_saveexec_b32 s2, s1
	s_xor_b32 s10, exec_lo, s2
	s_cbranch_execz .LBB141_15
; %bb.4:
                                        ; implicit-def: $vgpr5
                                        ; implicit-def: $vgpr4
	s_mov_b32 s1, exec_lo
	v_cmpx_le_f32_e32 1.0, v7
	s_xor_b32 s2, exec_lo, s1
	s_cbranch_execz .LBB141_6
; %bb.5:
	v_add_f32_e32 v4, -1.0, v7
	v_add_f32_e32 v5, 1.0, v7
	s_mov_b32 s1, 0x3e9b6dac
	v_cmp_class_f32_e64 s3, v0, 0x204
	s_delay_alu instid0(VALU_DEP_2) | instskip(NEXT) | instid1(VALU_DEP_1)
	v_mul_f32_e32 v7, v4, v5
	v_fmac_f32_e32 v7, v6, v6
	s_delay_alu instid0(VALU_DEP_1) | instskip(NEXT) | instid1(VALU_DEP_1)
	v_add_f32_e32 v6, 1.0, v7
	v_cvt_f64_f32_e32 v[4:5], v6
	s_delay_alu instid0(VALU_DEP_1) | instskip(SKIP_1) | instid1(VALU_DEP_1)
	v_frexp_exp_i32_f64_e32 v4, v[4:5]
	v_frexp_mant_f32_e32 v5, v6
	v_cmp_gt_f32_e32 vcc_lo, 0x3f2aaaab, v5
	v_add_f32_e32 v5, -1.0, v6
	s_delay_alu instid0(VALU_DEP_1) | instskip(SKIP_3) | instid1(VALU_DEP_2)
	v_sub_f32_e32 v9, v5, v6
	v_sub_f32_e32 v5, v7, v5
	v_subrev_co_ci_u32_e32 v4, vcc_lo, 0, v4, vcc_lo
	v_cmp_eq_f32_e32 vcc_lo, 0x7f800000, v7
	v_sub_nc_u32_e32 v8, 0, v4
	v_cvt_f32_i32_e32 v4, v4
	s_delay_alu instid0(VALU_DEP_2) | instskip(NEXT) | instid1(VALU_DEP_1)
	v_ldexp_f32 v6, v6, v8
	v_dual_add_f32 v10, 1.0, v6 :: v_dual_add_f32 v9, 1.0, v9
	s_delay_alu instid0(VALU_DEP_1) | instskip(NEXT) | instid1(VALU_DEP_2)
	v_add_f32_e32 v5, v5, v9
	v_add_f32_e32 v9, -1.0, v10
	s_delay_alu instid0(VALU_DEP_2) | instskip(NEXT) | instid1(VALU_DEP_2)
	v_ldexp_f32 v5, v5, v8
	v_dual_add_f32 v8, -1.0, v6 :: v_dual_sub_f32 v9, v6, v9
	s_delay_alu instid0(VALU_DEP_1) | instskip(NEXT) | instid1(VALU_DEP_1)
	v_add_f32_e32 v11, 1.0, v8
	v_dual_add_f32 v9, v5, v9 :: v_dual_sub_f32 v6, v6, v11
	s_delay_alu instid0(VALU_DEP_1) | instskip(NEXT) | instid1(VALU_DEP_2)
	v_add_f32_e32 v11, v10, v9
	v_add_f32_e32 v5, v5, v6
	s_delay_alu instid0(VALU_DEP_2) | instskip(SKIP_1) | instid1(VALU_DEP_1)
	v_rcp_f32_e32 v6, v11
	v_sub_f32_e32 v10, v11, v10
	v_dual_add_f32 v12, v8, v5 :: v_dual_sub_f32 v9, v9, v10
	s_delay_alu instid0(VALU_DEP_1) | instskip(SKIP_2) | instid1(VALU_DEP_1)
	v_sub_f32_e32 v8, v12, v8
	s_waitcnt_depctr 0xfff
	v_mul_f32_e32 v13, v12, v6
	v_mul_f32_e32 v14, v11, v13
	s_delay_alu instid0(VALU_DEP_1) | instskip(NEXT) | instid1(VALU_DEP_1)
	v_fma_f32 v10, v13, v11, -v14
	v_fmac_f32_e32 v10, v13, v9
	s_delay_alu instid0(VALU_DEP_1) | instskip(NEXT) | instid1(VALU_DEP_1)
	v_add_f32_e32 v15, v14, v10
	v_sub_f32_e32 v16, v12, v15
	s_delay_alu instid0(VALU_DEP_1) | instskip(NEXT) | instid1(VALU_DEP_1)
	v_sub_f32_e32 v12, v12, v16
	v_dual_sub_f32 v12, v12, v15 :: v_dual_sub_f32 v5, v5, v8
	v_sub_f32_e32 v8, v15, v14
	s_delay_alu instid0(VALU_DEP_1) | instskip(NEXT) | instid1(VALU_DEP_1)
	v_dual_sub_f32 v8, v8, v10 :: v_dual_add_f32 v5, v5, v12
	v_add_f32_e32 v5, v8, v5
	s_delay_alu instid0(VALU_DEP_1) | instskip(NEXT) | instid1(VALU_DEP_1)
	v_add_f32_e32 v8, v16, v5
	v_mul_f32_e32 v10, v6, v8
	s_delay_alu instid0(VALU_DEP_1) | instskip(NEXT) | instid1(VALU_DEP_1)
	v_dual_sub_f32 v15, v16, v8 :: v_dual_mul_f32 v12, v11, v10
	v_fma_f32 v11, v10, v11, -v12
	s_delay_alu instid0(VALU_DEP_1) | instskip(NEXT) | instid1(VALU_DEP_1)
	v_fmac_f32_e32 v11, v10, v9
	v_add_f32_e32 v9, v12, v11
	s_delay_alu instid0(VALU_DEP_1) | instskip(SKIP_1) | instid1(VALU_DEP_2)
	v_sub_f32_e32 v14, v8, v9
	v_sub_f32_e32 v12, v9, v12
	v_dual_sub_f32 v8, v8, v14 :: v_dual_add_f32 v5, v5, v15
	s_delay_alu instid0(VALU_DEP_1) | instskip(NEXT) | instid1(VALU_DEP_1)
	v_sub_f32_e32 v8, v8, v9
	v_add_f32_e32 v5, v5, v8
	s_delay_alu instid0(VALU_DEP_4) | instskip(SKIP_1) | instid1(VALU_DEP_2)
	v_dual_add_f32 v8, v13, v10 :: v_dual_sub_f32 v9, v12, v11
	v_max_f32_e64 v11, |v1|, |v1|
	v_add_f32_e32 v5, v9, v5
	s_delay_alu instid0(VALU_DEP_3) | instskip(NEXT) | instid1(VALU_DEP_2)
	v_sub_f32_e32 v9, v8, v13
	v_dual_add_f32 v5, v14, v5 :: v_dual_mul_f32 v14, 0x3f317218, v4
	s_delay_alu instid0(VALU_DEP_1) | instskip(NEXT) | instid1(VALU_DEP_2)
	v_mul_f32_e32 v5, v6, v5
	v_fma_f32 v15, 0x3f317218, v4, -v14
	s_delay_alu instid0(VALU_DEP_1) | instskip(NEXT) | instid1(VALU_DEP_1)
	v_dual_sub_f32 v9, v10, v9 :: v_dual_fmamk_f32 v4, v4, 0xb102e308, v15
	v_add_f32_e32 v5, v9, v5
	s_delay_alu instid0(VALU_DEP_1) | instskip(NEXT) | instid1(VALU_DEP_1)
	v_add_f32_e32 v6, v8, v5
	v_mul_f32_e32 v9, v6, v6
	s_delay_alu instid0(VALU_DEP_1) | instskip(SKIP_2) | instid1(VALU_DEP_2)
	v_fmaak_f32 v10, s1, v9, 0x3ecc95a3
	v_mul_f32_e32 v12, v6, v9
	s_mov_b32 s1, 0x3b2d2a58
	v_fmaak_f32 v9, v9, v10, 0x3f2aaada
	v_max_f32_e64 v10, |v0|, |v0|
	v_ldexp_f32 v13, v6, 1
	s_delay_alu instid0(VALU_DEP_3) | instskip(NEXT) | instid1(VALU_DEP_3)
	v_dual_sub_f32 v6, v6, v8 :: v_dual_mul_f32 v9, v12, v9
	v_max_f32_e32 v12, v10, v11
	s_delay_alu instid0(VALU_DEP_2) | instskip(NEXT) | instid1(VALU_DEP_3)
	v_dual_min_f32 v10, v10, v11 :: v_dual_sub_f32 v5, v5, v6
	v_add_f32_e32 v8, v13, v9
	s_delay_alu instid0(VALU_DEP_3) | instskip(SKIP_1) | instid1(VALU_DEP_4)
	v_frexp_mant_f32_e32 v11, v12
	v_frexp_exp_i32_f32_e32 v12, v12
	v_ldexp_f32 v5, v5, 1
	s_delay_alu instid0(VALU_DEP_4) | instskip(NEXT) | instid1(VALU_DEP_4)
	v_sub_f32_e32 v6, v8, v13
	v_rcp_f32_e32 v11, v11
	v_frexp_exp_i32_f32_e32 v13, v10
	s_delay_alu instid0(VALU_DEP_2) | instskip(SKIP_1) | instid1(VALU_DEP_3)
	v_sub_f32_e32 v6, v9, v6
	v_frexp_mant_f32_e32 v9, v10
	v_sub_nc_u32_e32 v10, v13, v12
	s_delay_alu instid0(VALU_DEP_3) | instskip(SKIP_3) | instid1(VALU_DEP_2)
	v_add_f32_e32 v5, v5, v6
	s_waitcnt_depctr 0xfff
	v_dual_mul_f32 v6, v9, v11 :: v_dual_add_f32 v9, v14, v4
	v_add_f32_e32 v11, v8, v5
	v_ldexp_f32 v6, v6, v10
	s_delay_alu instid0(VALU_DEP_3) | instskip(NEXT) | instid1(VALU_DEP_3)
	v_sub_f32_e32 v14, v9, v14
	v_sub_f32_e32 v8, v11, v8
	s_delay_alu instid0(VALU_DEP_3) | instskip(SKIP_1) | instid1(VALU_DEP_3)
	v_mul_f32_e32 v12, v6, v6
	v_add_f32_e32 v10, v9, v11
	v_dual_sub_f32 v4, v4, v14 :: v_dual_sub_f32 v5, v5, v8
	s_delay_alu instid0(VALU_DEP_3) | instskip(NEXT) | instid1(VALU_DEP_3)
	v_fmaak_f32 v15, s1, v12, 0xbc7a590c
	v_sub_f32_e32 v13, v10, v9
	v_cmp_neq_f32_e64 s1, -1.0, v7
	s_delay_alu instid0(VALU_DEP_2) | instskip(SKIP_2) | instid1(VALU_DEP_3)
	v_sub_f32_e32 v16, v10, v13
	v_sub_f32_e32 v8, v11, v13
	v_add_f32_e32 v13, v4, v5
	v_sub_f32_e32 v9, v9, v16
	s_delay_alu instid0(VALU_DEP_1) | instskip(NEXT) | instid1(VALU_DEP_1)
	v_add_f32_e32 v8, v8, v9
	v_dual_fmaak_f32 v15, v12, v15, 0x3d29fb3f :: v_dual_add_f32 v8, v13, v8
	s_delay_alu instid0(VALU_DEP_1) | instskip(NEXT) | instid1(VALU_DEP_1)
	v_dual_fmaak_f32 v11, v12, v15, 0xbd97d4d7 :: v_dual_add_f32 v14, v10, v8
	v_dual_fmaak_f32 v9, v12, v11, 0x3dd931b2 :: v_dual_sub_f32 v10, v14, v10
	v_sub_f32_e32 v11, v13, v4
	s_delay_alu instid0(VALU_DEP_1) | instskip(NEXT) | instid1(VALU_DEP_1)
	v_sub_f32_e32 v13, v13, v11
	v_dual_sub_f32 v5, v5, v11 :: v_dual_sub_f32 v4, v4, v13
	s_delay_alu instid0(VALU_DEP_1) | instskip(SKIP_1) | instid1(VALU_DEP_1)
	v_dual_add_f32 v4, v5, v4 :: v_dual_fmaak_f32 v9, v12, v9, 0xbe1160e6
	v_sub_f32_e32 v5, v8, v10
	v_add_f32_e32 v4, v4, v5
	s_delay_alu instid0(VALU_DEP_1) | instskip(NEXT) | instid1(VALU_DEP_1)
	v_dual_fmaak_f32 v9, v12, v9, 0x3e4cb8bf :: v_dual_add_f32 v4, v14, v4
	v_fmaak_f32 v9, v12, v9, 0xbeaaaa62
	s_delay_alu instid0(VALU_DEP_1) | instskip(NEXT) | instid1(VALU_DEP_1)
	v_mul_f32_e32 v8, v12, v9
	v_fmac_f32_e32 v6, v6, v8
	s_delay_alu instid0(VALU_DEP_1) | instskip(NEXT) | instid1(VALU_DEP_1)
	v_sub_f32_e32 v5, 0x3fc90fdb, v6
	v_cndmask_b32_e64 v5, v6, v5, s0
	v_cndmask_b32_e32 v4, v4, v7, vcc_lo
	v_cmp_gt_i32_e32 vcc_lo, 0, v0
	v_mov_b32_e32 v6, 0x4016cbe4
	s_delay_alu instid0(VALU_DEP_4) | instskip(SKIP_4) | instid1(VALU_DEP_2)
	v_sub_f32_e32 v9, 0x40490fdb, v5
	v_cndmask_b32_e64 v8, 0, 0x40490fdb, vcc_lo
	v_cmp_ngt_f32_e32 vcc_lo, -1.0, v7
	v_cndmask_b32_e32 v4, 0x7fc00000, v4, vcc_lo
	v_cmp_gt_f32_e32 vcc_lo, 0, v0
	v_cndmask_b32_e64 v0, 0xff800000, v4, s1
	v_cndmask_b32_e32 v4, v5, v9, vcc_lo
	v_cndmask_b32_e32 v6, 0x3f490fdb, v6, vcc_lo
	v_cmp_gt_f32_e64 vcc_lo, 0x33800000, |v7|
	v_cmp_class_f32_e64 s1, v1, 0x204
	v_cndmask_b32_e32 v0, v0, v7, vcc_lo
	v_cmp_eq_f32_e32 vcc_lo, 0, v1
                                        ; implicit-def: $vgpr7
	s_delay_alu instid0(VALU_DEP_2) | instskip(SKIP_2) | instid1(VALU_DEP_1)
	v_mul_f32_e32 v5, 0.5, v0
	v_cndmask_b32_e32 v4, v4, v8, vcc_lo
	s_and_b32 vcc_lo, s3, s1
                                        ; implicit-def: $vgpr0
	v_cndmask_b32_e32 v4, v4, v6, vcc_lo
                                        ; implicit-def: $vgpr6
.LBB141_6:
	s_and_not1_saveexec_b32 s11, s2
	s_cbranch_execz .LBB141_14
; %bb.7:
	v_mul_f32_e32 v8, v6, v6
                                        ; implicit-def: $vgpr5
                                        ; implicit-def: $vgpr4
	s_mov_b32 s1, exec_lo
	s_delay_alu instid0(VALU_DEP_1) | instskip(NEXT) | instid1(VALU_DEP_1)
	v_fmac_f32_e32 v8, v7, v7
	v_cmpx_ge_f32_e32 0x3f333333, v8
	s_xor_b32 s2, exec_lo, s1
	s_cbranch_execz .LBB141_9
; %bb.8:
	v_max_f32_e64 v4, |v1|, |v1|
	v_max_f32_e64 v5, |v0|, |v0|
	v_cmp_gt_f32_e32 vcc_lo, 0x800000, v8
	s_mov_b32 s1, 0x3b2d2a58
	v_cmp_class_f32_e64 s3, v0, 0x204
	v_cmp_class_f32_e64 s4, v1, 0x204
	v_max_f32_e32 v6, v5, v4
	v_min_f32_e32 v4, v5, v4
	v_cndmask_b32_e64 v10, 0, 0x41b17218, vcc_lo
	s_delay_alu instid0(VALU_DEP_3) | instskip(SKIP_1) | instid1(VALU_DEP_2)
	v_frexp_mant_f32_e32 v7, v6
	v_frexp_exp_i32_f32_e32 v6, v6
	v_rcp_f32_e32 v5, v7
	v_frexp_exp_i32_f32_e32 v7, v4
	v_frexp_mant_f32_e32 v4, v4
	s_delay_alu instid0(VALU_DEP_2) | instskip(SKIP_4) | instid1(VALU_DEP_2)
	v_sub_nc_u32_e32 v6, v7, v6
	v_cndmask_b32_e64 v7, 1.0, 0x4f800000, vcc_lo
	s_waitcnt_depctr 0xfff
	v_mul_f32_e32 v4, v4, v5
	v_mul_f32_e32 v7, v8, v7
	v_ldexp_f32 v4, v4, v6
	s_delay_alu instid0(VALU_DEP_2) | instskip(NEXT) | instid1(VALU_DEP_1)
	v_log_f32_e32 v7, v7
	v_mul_f32_e32 v5, v4, v4
	s_delay_alu instid0(VALU_DEP_1) | instskip(SKIP_4) | instid1(VALU_DEP_1)
	v_fmaak_f32 v6, s1, v5, 0xbc7a590c
	v_cmp_gt_i32_e64 s1, 0, v0
	s_waitcnt_depctr 0xfff
	v_cmp_gt_f32_e64 vcc_lo, 0x7f800000, |v7|
	v_fmaak_f32 v6, v5, v6, 0x3d29fb3f
	v_fmaak_f32 v6, v5, v6, 0xbd97d4d7
	s_delay_alu instid0(VALU_DEP_1) | instskip(NEXT) | instid1(VALU_DEP_1)
	v_fmaak_f32 v6, v5, v6, 0x3dd931b2
	v_fmaak_f32 v6, v5, v6, 0xbe1160e6
	s_delay_alu instid0(VALU_DEP_1) | instskip(NEXT) | instid1(VALU_DEP_1)
	v_fmaak_f32 v6, v5, v6, 0x3e4cb8bf
	v_fmaak_f32 v6, v5, v6, 0xbeaaaa62
	s_delay_alu instid0(VALU_DEP_1) | instskip(NEXT) | instid1(VALU_DEP_1)
	v_dual_mul_f32 v5, v5, v6 :: v_dual_mul_f32 v6, 0x3f317217, v7
	v_fmac_f32_e32 v4, v4, v5
	s_delay_alu instid0(VALU_DEP_2) | instskip(NEXT) | instid1(VALU_DEP_1)
	v_fma_f32 v5, 0x3f317217, v7, -v6
	v_fmamk_f32 v5, v7, 0x3377d1cf, v5
	s_delay_alu instid0(VALU_DEP_1) | instskip(NEXT) | instid1(VALU_DEP_1)
	v_dual_sub_f32 v8, 0x3fc90fdb, v4 :: v_dual_add_f32 v5, v6, v5
	v_cndmask_b32_e64 v4, v4, v8, s0
	v_cndmask_b32_e64 v8, 0, 0x40490fdb, s1
	v_mov_b32_e32 v6, 0x4016cbe4
	v_cmp_eq_f32_e64 s1, 0, v1
	v_cndmask_b32_e32 v5, v7, v5, vcc_lo
	v_sub_f32_e32 v9, 0x40490fdb, v4
	v_cmp_gt_f32_e32 vcc_lo, 0, v0
                                        ; implicit-def: $vgpr7
	s_delay_alu instid0(VALU_DEP_3) | instskip(NEXT) | instid1(VALU_DEP_3)
	v_sub_f32_e32 v0, v5, v10
	v_cndmask_b32_e32 v4, v4, v9, vcc_lo
	v_cndmask_b32_e32 v6, 0x3f490fdb, v6, vcc_lo
	s_and_b32 vcc_lo, s3, s4
	s_delay_alu instid0(VALU_DEP_3) | instskip(NEXT) | instid1(VALU_DEP_3)
	v_mul_f32_e32 v5, 0.5, v0
                                        ; implicit-def: $vgpr0
	v_cndmask_b32_e64 v4, v4, v8, s1
	s_delay_alu instid0(VALU_DEP_1)
	v_cndmask_b32_e32 v4, v4, v6, vcc_lo
                                        ; implicit-def: $vgpr6
.LBB141_9:
	s_and_not1_saveexec_b32 s12, s2
	s_cbranch_execz .LBB141_13
; %bb.10:
	v_and_b32_e32 v8, 0x7fff0000, v6
	v_and_b32_e32 v5, 0x7fff0000, v7
	s_mov_b32 s13, 0
	s_delay_alu instid0(VALU_DEP_2) | instskip(SKIP_1) | instid1(VALU_DEP_3)
	v_sub_f32_e32 v9, v6, v8
	v_mul_f32_e32 v6, v8, v8
	v_mul_f32_e32 v4, v5, v5
	v_sub_f32_e32 v7, v7, v5
	s_delay_alu instid0(VALU_DEP_1) | instskip(NEXT) | instid1(VALU_DEP_1)
	v_dual_add_f32 v15, v8, v8 :: v_dual_and_b32 v10, 0xffff0000, v7
	v_dual_sub_f32 v8, v7, v10 :: v_dual_and_b32 v11, 0xffff0000, v9
	s_delay_alu instid0(VALU_DEP_1) | instskip(SKIP_2) | instid1(VALU_DEP_3)
	v_dual_add_f32 v12, v5, v5 :: v_dual_mul_f32 v5, v15, v11
	v_dual_sub_f32 v16, v9, v11 :: v_dual_mul_f32 v7, v10, v10
	v_add_f32_e32 v9, v10, v10
	v_dual_mul_f32 v14, v12, v10 :: v_dual_add_f32 v17, v11, v11
	v_dual_mul_f32 v13, v11, v11 :: v_dual_mul_f32 v10, v12, v8
	s_delay_alu instid0(VALU_DEP_4) | instskip(NEXT) | instid1(VALU_DEP_4)
	v_mul_f32_e32 v12, v15, v16
	v_mul_f32_e32 v11, v9, v8
	;; [unrolled: 1-line block ×5, first 2 shown]
.LBB141_11:                             ; =>This Inner Loop Header: Depth=1
	v_cmp_nlt_f32_e32 vcc_lo, v4, v6
	s_delay_alu instid0(VALU_DEP_2) | instskip(SKIP_1) | instid1(VALU_DEP_2)
	v_dual_mov_b32 v17, v15 :: v_dual_cndmask_b32 v16, v4, v6
	v_cndmask_b32_e32 v4, v6, v4, vcc_lo
	v_cmp_nlt_f32_e64 s1, v16, v14
	s_delay_alu instid0(VALU_DEP_1) | instskip(SKIP_2) | instid1(VALU_DEP_2)
	v_cndmask_b32_e64 v15, v16, v14, s1
	v_cndmask_b32_e64 v6, v14, v16, s1
	s_and_b32 s14, vcc_lo, s1
	v_cmp_nlt_f32_e64 s2, v15, v5
	s_delay_alu instid0(VALU_DEP_1) | instskip(SKIP_1) | instid1(VALU_DEP_2)
	v_cndmask_b32_e64 v18, v15, v5, s2
	v_cndmask_b32_e64 v14, v5, v15, s2
	v_cmp_nlt_f32_e64 s3, v18, v7
	s_delay_alu instid0(VALU_DEP_1) | instskip(SKIP_2) | instid1(VALU_DEP_2)
	v_cndmask_b32_e64 v16, v18, v7, s3
	v_cndmask_b32_e64 v5, v7, v18, s3
	s_and_b32 s15, s2, s3
	v_cmp_nlt_f32_e64 s4, v16, v13
	s_delay_alu instid0(VALU_DEP_1) | instskip(SKIP_1) | instid1(VALU_DEP_2)
	v_cndmask_b32_e64 v19, v16, v13, s4
	v_cndmask_b32_e64 v7, v13, v16, s4
	v_cmp_nlt_f32_e64 s5, v19, v10
	s_delay_alu instid0(VALU_DEP_1) | instskip(SKIP_2) | instid1(VALU_DEP_2)
	v_cndmask_b32_e64 v20, v19, v10, s5
	s_and_b32 s3, s4, s5
	v_cndmask_b32_e64 v13, v10, v19, s5
	v_cmp_nlt_f32_e64 s6, v20, v12
	s_delay_alu instid0(VALU_DEP_1) | instskip(SKIP_2) | instid1(VALU_DEP_2)
	v_cndmask_b32_e64 v21, v20, v12, s6
	s_and_b32 s3, s3, s6
	v_cndmask_b32_e64 v10, v12, v20, s6
	v_cmp_nlt_f32_e32 vcc_lo, v21, v11
	v_cndmask_b32_e32 v22, v21, v11, vcc_lo
	s_and_b32 s4, s3, vcc_lo
	v_cndmask_b32_e32 v12, v11, v21, vcc_lo
	s_delay_alu instid0(VALU_DEP_2) | instskip(NEXT) | instid1(VALU_DEP_1)
	v_cmp_nlt_f32_e64 s1, v22, v9
	v_cndmask_b32_e64 v18, v22, v9, s1
	s_and_b32 s4, s4, s1
	v_cndmask_b32_e64 v11, v9, v22, s1
	s_delay_alu instid0(VALU_DEP_2) | instskip(NEXT) | instid1(VALU_DEP_1)
	v_cmp_nlt_f32_e64 s2, v18, v8
	v_cndmask_b32_e64 v16, v18, v8, s2
	s_and_b32 s4, s4, s2
	v_cndmask_b32_e64 v9, v8, v18, s2
	s_delay_alu instid0(VALU_DEP_2) | instskip(NEXT) | instid1(VALU_DEP_1)
	v_cmp_nlt_f32_e64 s3, v16, v17
	s_and_b32 s4, s4, s3
	v_cndmask_b32_e64 v15, v16, v17, s3
	s_and_b32 s1, s4, s15
	v_cndmask_b32_e64 v8, v17, v16, s3
	s_and_b32 s1, s1, s14
	s_delay_alu instid0(SALU_CYCLE_1) | instskip(NEXT) | instid1(SALU_CYCLE_1)
	s_and_b32 s1, exec_lo, s1
	s_or_b32 s13, s1, s13
	s_delay_alu instid0(SALU_CYCLE_1)
	s_and_not1_b32 exec_lo, exec_lo, s13
	s_cbranch_execnz .LBB141_11
; %bb.12:
	s_or_b32 exec_lo, exec_lo, s13
	v_add_f32_e32 v4, -1.0, v4
	s_mov_b32 s1, 0x3e9b6dac
	v_cmp_class_f32_e64 s2, v0, 0x204
	s_delay_alu instid0(VALU_DEP_2) | instskip(NEXT) | instid1(VALU_DEP_1)
	v_add_f32_e32 v4, v4, v6
	v_add_f32_e32 v4, v4, v14
	s_delay_alu instid0(VALU_DEP_1) | instskip(NEXT) | instid1(VALU_DEP_1)
	v_add_f32_e32 v4, v4, v5
	v_add_f32_e32 v4, v4, v7
	s_delay_alu instid0(VALU_DEP_1) | instskip(NEXT) | instid1(VALU_DEP_1)
	;; [unrolled: 3-line block ×5, first 2 shown]
	v_add_f32_e32 v6, v15, v4
	v_add_f32_e32 v7, 1.0, v6
	s_delay_alu instid0(VALU_DEP_1) | instskip(NEXT) | instid1(VALU_DEP_1)
	v_cvt_f64_f32_e32 v[4:5], v7
	v_frexp_exp_i32_f64_e32 v4, v[4:5]
	v_frexp_mant_f32_e32 v5, v7
	s_delay_alu instid0(VALU_DEP_1) | instskip(SKIP_1) | instid1(VALU_DEP_1)
	v_cmp_gt_f32_e32 vcc_lo, 0x3f2aaaab, v5
	v_add_f32_e32 v5, -1.0, v7
	v_sub_f32_e32 v9, v5, v7
	v_sub_f32_e32 v5, v6, v5
	s_delay_alu instid0(VALU_DEP_2) | instskip(NEXT) | instid1(VALU_DEP_1)
	v_add_f32_e32 v9, 1.0, v9
	v_add_f32_e32 v5, v5, v9
	v_subrev_co_ci_u32_e32 v4, vcc_lo, 0, v4, vcc_lo
	s_delay_alu instid0(VALU_DEP_1) | instskip(SKIP_1) | instid1(VALU_DEP_2)
	v_sub_nc_u32_e32 v8, 0, v4
	v_cvt_f32_i32_e32 v4, v4
	v_ldexp_f32 v7, v7, v8
	v_ldexp_f32 v5, v5, v8
	s_delay_alu instid0(VALU_DEP_2) | instskip(NEXT) | instid1(VALU_DEP_1)
	v_add_f32_e32 v10, 1.0, v7
	v_add_f32_e32 v9, -1.0, v10
	s_delay_alu instid0(VALU_DEP_1) | instskip(NEXT) | instid1(VALU_DEP_1)
	v_sub_f32_e32 v9, v7, v9
	v_dual_add_f32 v9, v5, v9 :: v_dual_add_f32 v8, -1.0, v7
	s_delay_alu instid0(VALU_DEP_1) | instskip(NEXT) | instid1(VALU_DEP_1)
	v_add_f32_e32 v11, 1.0, v8
	v_sub_f32_e32 v7, v7, v11
	s_delay_alu instid0(VALU_DEP_1) | instskip(NEXT) | instid1(VALU_DEP_1)
	v_add_f32_e32 v5, v5, v7
	v_add_f32_e32 v12, v8, v5
	s_delay_alu instid0(VALU_DEP_1) | instskip(NEXT) | instid1(VALU_DEP_1)
	v_sub_f32_e32 v8, v12, v8
	v_sub_f32_e32 v5, v5, v8
	v_add_f32_e32 v11, v10, v9
	v_cmp_eq_f32_e32 vcc_lo, 0x7f800000, v6
	s_delay_alu instid0(VALU_DEP_2) | instskip(SKIP_1) | instid1(VALU_DEP_1)
	v_rcp_f32_e32 v7, v11
	v_sub_f32_e32 v10, v11, v10
	v_sub_f32_e32 v9, v9, v10
	s_waitcnt_depctr 0xfff
	v_mul_f32_e32 v13, v12, v7
	s_delay_alu instid0(VALU_DEP_1) | instskip(NEXT) | instid1(VALU_DEP_1)
	v_mul_f32_e32 v14, v11, v13
	v_fma_f32 v10, v13, v11, -v14
	s_delay_alu instid0(VALU_DEP_1) | instskip(NEXT) | instid1(VALU_DEP_1)
	v_fmac_f32_e32 v10, v13, v9
	v_add_f32_e32 v15, v14, v10
	s_delay_alu instid0(VALU_DEP_1) | instskip(NEXT) | instid1(VALU_DEP_1)
	v_sub_f32_e32 v16, v12, v15
	v_sub_f32_e32 v12, v12, v16
	s_delay_alu instid0(VALU_DEP_1) | instskip(NEXT) | instid1(VALU_DEP_1)
	v_sub_f32_e32 v12, v12, v15
	v_dual_add_f32 v5, v5, v12 :: v_dual_sub_f32 v8, v15, v14
	s_delay_alu instid0(VALU_DEP_1) | instskip(NEXT) | instid1(VALU_DEP_1)
	v_sub_f32_e32 v8, v8, v10
	v_add_f32_e32 v5, v8, v5
	s_delay_alu instid0(VALU_DEP_1) | instskip(NEXT) | instid1(VALU_DEP_1)
	v_add_f32_e32 v8, v16, v5
	v_mul_f32_e32 v10, v7, v8
	s_delay_alu instid0(VALU_DEP_1) | instskip(NEXT) | instid1(VALU_DEP_1)
	v_mul_f32_e32 v12, v11, v10
	v_fma_f32 v11, v10, v11, -v12
	s_delay_alu instid0(VALU_DEP_1) | instskip(SKIP_1) | instid1(VALU_DEP_2)
	v_fmac_f32_e32 v11, v10, v9
	v_sub_f32_e32 v15, v16, v8
	v_add_f32_e32 v9, v12, v11
	s_delay_alu instid0(VALU_DEP_1) | instskip(NEXT) | instid1(VALU_DEP_1)
	v_dual_add_f32 v5, v5, v15 :: v_dual_sub_f32 v14, v8, v9
	v_sub_f32_e32 v8, v8, v14
	s_delay_alu instid0(VALU_DEP_1) | instskip(NEXT) | instid1(VALU_DEP_1)
	v_sub_f32_e32 v8, v8, v9
	v_add_f32_e32 v5, v5, v8
	v_add_f32_e32 v8, v13, v10
	v_sub_f32_e32 v12, v9, v12
	s_delay_alu instid0(VALU_DEP_1) | instskip(SKIP_1) | instid1(VALU_DEP_2)
	v_sub_f32_e32 v9, v12, v11
	v_max_f32_e64 v11, |v1|, |v1|
	v_add_f32_e32 v5, v9, v5
	s_delay_alu instid0(VALU_DEP_1) | instskip(NEXT) | instid1(VALU_DEP_1)
	v_dual_add_f32 v5, v14, v5 :: v_dual_mul_f32 v14, 0x3f317218, v4
	v_mul_f32_e32 v5, v7, v5
	v_sub_f32_e32 v9, v8, v13
	s_delay_alu instid0(VALU_DEP_3) | instskip(NEXT) | instid1(VALU_DEP_2)
	v_fma_f32 v15, 0x3f317218, v4, -v14
	v_sub_f32_e32 v9, v10, v9
	s_delay_alu instid0(VALU_DEP_1) | instskip(NEXT) | instid1(VALU_DEP_1)
	v_add_f32_e32 v5, v9, v5
	v_add_f32_e32 v7, v8, v5
	s_delay_alu instid0(VALU_DEP_1) | instskip(NEXT) | instid1(VALU_DEP_1)
	v_mul_f32_e32 v9, v7, v7
	v_fmaak_f32 v10, s1, v9, 0x3ecc95a3
	v_mul_f32_e32 v12, v7, v9
	s_mov_b32 s1, 0x3b2d2a58
	s_delay_alu instid0(VALU_DEP_2) | instskip(SKIP_1) | instid1(VALU_DEP_1)
	v_fmaak_f32 v9, v9, v10, 0x3f2aaada
	v_max_f32_e64 v10, |v0|, |v0|
	v_dual_mul_f32 v9, v12, v9 :: v_dual_max_f32 v12, v10, v11
	v_min_f32_e32 v10, v10, v11
	v_ldexp_f32 v13, v7, 1
	v_sub_f32_e32 v7, v7, v8
	s_delay_alu instid0(VALU_DEP_4) | instskip(SKIP_1) | instid1(VALU_DEP_3)
	v_frexp_mant_f32_e32 v11, v12
	v_frexp_exp_i32_f32_e32 v12, v12
	v_sub_f32_e32 v5, v5, v7
	s_delay_alu instid0(VALU_DEP_3) | instskip(NEXT) | instid1(VALU_DEP_1)
	v_rcp_f32_e32 v11, v11
	v_ldexp_f32 v5, v5, 1
	v_fmamk_f32 v4, v4, 0xb102e308, v15
	v_add_f32_e32 v8, v13, v9
	s_delay_alu instid0(VALU_DEP_1) | instskip(SKIP_1) | instid1(VALU_DEP_2)
	v_sub_f32_e32 v7, v8, v13
	v_frexp_exp_i32_f32_e32 v13, v10
	v_sub_f32_e32 v7, v9, v7
	v_frexp_mant_f32_e32 v9, v10
	s_delay_alu instid0(VALU_DEP_3) | instskip(NEXT) | instid1(VALU_DEP_3)
	v_sub_nc_u32_e32 v10, v13, v12
	v_add_f32_e32 v5, v5, v7
	s_delay_alu instid0(VALU_DEP_3) | instskip(SKIP_1) | instid1(VALU_DEP_1)
	v_mul_f32_e32 v7, v9, v11
	v_add_f32_e32 v9, v14, v4
	v_dual_add_f32 v11, v8, v5 :: v_dual_sub_f32 v14, v9, v14
	s_delay_alu instid0(VALU_DEP_1) | instskip(NEXT) | instid1(VALU_DEP_4)
	v_sub_f32_e32 v8, v11, v8
	v_ldexp_f32 v7, v7, v10
	v_add_f32_e32 v10, v9, v11
	s_delay_alu instid0(VALU_DEP_4) | instskip(NEXT) | instid1(VALU_DEP_2)
	v_sub_f32_e32 v4, v4, v14
	v_dual_mul_f32 v12, v7, v7 :: v_dual_sub_f32 v13, v10, v9
	s_delay_alu instid0(VALU_DEP_1) | instskip(SKIP_1) | instid1(VALU_DEP_2)
	v_dual_fmaak_f32 v15, s1, v12, 0xbc7a590c :: v_dual_sub_f32 v16, v10, v13
	v_cmp_neq_f32_e64 s1, -1.0, v6
	v_fmaak_f32 v15, v12, v15, 0x3d29fb3f
	s_delay_alu instid0(VALU_DEP_3) | instskip(SKIP_1) | instid1(VALU_DEP_1)
	v_sub_f32_e32 v9, v9, v16
	v_dual_sub_f32 v5, v5, v8 :: v_dual_sub_f32 v8, v11, v13
	v_add_f32_e32 v8, v8, v9
	s_delay_alu instid0(VALU_DEP_2) | instskip(NEXT) | instid1(VALU_DEP_1)
	v_add_f32_e32 v13, v4, v5
	v_dual_fmaak_f32 v11, v12, v15, 0xbd97d4d7 :: v_dual_add_f32 v8, v13, v8
	s_delay_alu instid0(VALU_DEP_1) | instskip(NEXT) | instid1(VALU_DEP_1)
	v_dual_add_f32 v14, v10, v8 :: v_dual_fmaak_f32 v9, v12, v11, 0x3dd931b2
	v_dual_sub_f32 v10, v14, v10 :: v_dual_fmaak_f32 v9, v12, v9, 0xbe1160e6
	s_delay_alu instid0(VALU_DEP_1) | instskip(NEXT) | instid1(VALU_DEP_1)
	v_fmaak_f32 v9, v12, v9, 0x3e4cb8bf
	v_fmaak_f32 v9, v12, v9, 0xbeaaaa62
	v_sub_f32_e32 v11, v13, v4
	s_delay_alu instid0(VALU_DEP_1) | instskip(NEXT) | instid1(VALU_DEP_1)
	v_sub_f32_e32 v13, v13, v11
	v_dual_sub_f32 v5, v5, v11 :: v_dual_sub_f32 v4, v4, v13
	s_delay_alu instid0(VALU_DEP_1) | instskip(SKIP_1) | instid1(VALU_DEP_1)
	v_dual_add_f32 v4, v5, v4 :: v_dual_sub_f32 v5, v8, v10
	v_mul_f32_e32 v8, v12, v9
	v_dual_add_f32 v4, v4, v5 :: v_dual_fmac_f32 v7, v7, v8
	s_delay_alu instid0(VALU_DEP_1) | instskip(NEXT) | instid1(VALU_DEP_1)
	v_add_f32_e32 v4, v14, v4
	v_cndmask_b32_e32 v4, v4, v6, vcc_lo
	v_cmp_gt_i32_e32 vcc_lo, 0, v0
	v_cndmask_b32_e64 v8, 0, 0x40490fdb, vcc_lo
	v_cmp_ngt_f32_e32 vcc_lo, -1.0, v6
	s_delay_alu instid0(VALU_DEP_4) | instskip(SKIP_1) | instid1(VALU_DEP_2)
	v_cndmask_b32_e32 v4, 0x7fc00000, v4, vcc_lo
	v_cmp_gt_f32_e32 vcc_lo, 0, v0
	v_cndmask_b32_e64 v0, 0xff800000, v4, s1
	v_sub_f32_e32 v5, 0x3fc90fdb, v7
	v_cmp_class_f32_e64 s1, v1, 0x204
	s_delay_alu instid0(VALU_DEP_2) | instskip(NEXT) | instid1(VALU_DEP_1)
	v_cndmask_b32_e64 v5, v7, v5, s0
	v_sub_f32_e32 v9, 0x40490fdb, v5
	s_delay_alu instid0(VALU_DEP_1) | instskip(NEXT) | instid1(VALU_DEP_1)
	v_dual_cndmask_b32 v4, v5, v9 :: v_dual_mov_b32 v7, 0x4016cbe4
	v_cndmask_b32_e32 v7, 0x3f490fdb, v7, vcc_lo
	v_cmp_gt_f32_e64 vcc_lo, 0x33800000, |v6|
	v_cndmask_b32_e32 v0, v0, v6, vcc_lo
	v_cmp_eq_f32_e32 vcc_lo, 0, v1
	s_delay_alu instid0(VALU_DEP_2) | instskip(SKIP_2) | instid1(VALU_DEP_1)
	v_mul_f32_e32 v5, 0.5, v0
	v_cndmask_b32_e32 v4, v4, v8, vcc_lo
	s_and_b32 vcc_lo, s2, s1
	v_cndmask_b32_e32 v4, v4, v7, vcc_lo
.LBB141_13:
	s_or_b32 exec_lo, exec_lo, s12
.LBB141_14:
	s_delay_alu instid0(SALU_CYCLE_1)
	s_or_b32 exec_lo, exec_lo, s11
                                        ; implicit-def: $vgpr0
.LBB141_15:
	s_and_not1_saveexec_b32 s2, s10
	s_cbranch_execz .LBB141_17
; %bb.16:
	v_max_f32_e64 v6, |v1|, |v1|
	v_max_f32_e64 v7, |v0|, |v0|
	s_mov_b32 s1, 0x3b2d2a58
	v_cmp_class_f32_e64 s3, v0, 0x204
	v_cmp_class_f32_e64 s4, v1, 0x204
	s_delay_alu instid0(VALU_DEP_3) | instskip(SKIP_1) | instid1(VALU_DEP_2)
	v_max_f32_e32 v8, v7, v6
	v_min_f32_e32 v6, v7, v6
	v_cvt_f64_f32_e32 v[4:5], v8
	s_delay_alu instid0(VALU_DEP_2) | instskip(SKIP_1) | instid1(VALU_DEP_3)
	v_frexp_exp_i32_f32_e32 v9, v6
	v_frexp_mant_f32_e32 v6, v6
	v_frexp_exp_i32_f64_e32 v4, v[4:5]
	v_frexp_mant_f32_e32 v5, v8
	s_delay_alu instid0(VALU_DEP_1) | instskip(SKIP_4) | instid1(VALU_DEP_2)
	v_rcp_f32_e32 v5, v5
	s_waitcnt_depctr 0xfff
	v_mul_f32_e32 v5, v6, v5
	v_frexp_exp_i32_f32_e32 v7, v8
	v_cmp_neq_f32_e32 vcc_lo, 0x7f800000, v8
	v_sub_nc_u32_e32 v7, v9, v7
	s_delay_alu instid0(VALU_DEP_1) | instskip(NEXT) | instid1(VALU_DEP_1)
	v_ldexp_f32 v5, v5, v7
	v_mul_f32_e32 v9, v5, v5
	v_sub_nc_u32_e32 v10, 0, v4
	s_delay_alu instid0(VALU_DEP_1) | instskip(SKIP_1) | instid1(VALU_DEP_2)
	v_ldexp_f32 v6, |v1|, v10
	v_ldexp_f32 v7, |v0|, v10
	v_mul_f32_e32 v6, v6, v6
	s_delay_alu instid0(VALU_DEP_1) | instskip(SKIP_1) | instid1(VALU_DEP_2)
	v_dual_fmac_f32 v6, v7, v7 :: v_dual_fmaak_f32 v7, s1, v9, 0xbc7a590c
	v_cmp_gt_i32_e64 s1, 0, v0
	v_sqrt_f32_e32 v6, v6
	s_delay_alu instid0(VALU_DEP_2) | instskip(NEXT) | instid1(VALU_DEP_1)
	v_fmaak_f32 v7, v9, v7, 0x3d29fb3f
	v_fmaak_f32 v7, v9, v7, 0xbd97d4d7
	s_waitcnt_depctr 0xfff
	v_ldexp_f32 v4, v6, v4
	v_fmaak_f32 v6, v9, v7, 0x3dd931b2
	s_delay_alu instid0(VALU_DEP_1) | instskip(NEXT) | instid1(VALU_DEP_1)
	v_fmaak_f32 v6, v9, v6, 0xbe1160e6
	v_fmaak_f32 v6, v9, v6, 0x3e4cb8bf
	s_delay_alu instid0(VALU_DEP_1) | instskip(NEXT) | instid1(VALU_DEP_1)
	v_fmaak_f32 v6, v9, v6, 0xbeaaaa62
	v_mul_f32_e32 v6, v9, v6
	v_cndmask_b32_e32 v4, 0x7f800000, v4, vcc_lo
	v_mov_b32_e32 v9, 0x4016cbe4
	s_delay_alu instid0(VALU_DEP_3) | instskip(NEXT) | instid1(VALU_DEP_3)
	v_fmac_f32_e32 v5, v5, v6
	v_cmp_gt_f32_e32 vcc_lo, 0x800000, v4
	v_cndmask_b32_e64 v7, 1.0, 0x4f800000, vcc_lo
	s_delay_alu instid0(VALU_DEP_1) | instskip(NEXT) | instid1(VALU_DEP_1)
	v_dual_mul_f32 v4, v4, v7 :: v_dual_sub_f32 v7, 0x3fc90fdb, v5
	v_log_f32_e32 v4, v4
	s_delay_alu instid0(VALU_DEP_1) | instskip(SKIP_2) | instid1(VALU_DEP_3)
	v_cndmask_b32_e64 v5, v5, v7, s0
	v_cndmask_b32_e64 v7, 0, 0x40490fdb, s1
	v_cmp_gt_f32_e64 s1, 0, v0
	v_sub_f32_e32 v10, 0x40490fdb, v5
	s_waitcnt_depctr 0xfff
	v_mul_f32_e32 v6, 0x3f317217, v4
	v_cndmask_b32_e64 v5, v5, v10, s1
	s_delay_alu instid0(VALU_DEP_2) | instskip(NEXT) | instid1(VALU_DEP_1)
	v_fma_f32 v8, 0x3f317217, v4, -v6
	v_fmamk_f32 v8, v4, 0x3377d1cf, v8
	s_delay_alu instid0(VALU_DEP_1) | instskip(SKIP_3) | instid1(VALU_DEP_4)
	v_add_f32_e32 v0, v6, v8
	v_cndmask_b32_e64 v8, 0, 0x41b17218, vcc_lo
	v_cmp_gt_f32_e64 vcc_lo, 0x7f800000, |v4|
	v_cndmask_b32_e64 v6, 0x3f490fdb, v9, s1
	v_cndmask_b32_e32 v0, v4, v0, vcc_lo
	v_cmp_eq_f32_e32 vcc_lo, 0, v1
	v_cndmask_b32_e32 v4, v5, v7, vcc_lo
	s_and_b32 vcc_lo, s3, s4
	s_delay_alu instid0(VALU_DEP_3) | instskip(NEXT) | instid1(VALU_DEP_2)
	v_sub_f32_e32 v5, v0, v8
	v_cndmask_b32_e32 v4, v4, v6, vcc_lo
.LBB141_17:
	s_or_b32 exec_lo, exec_lo, s2
                                        ; implicit-def: $vgpr6
                                        ; implicit-def: $vgpr0
.LBB141_18:
	s_and_not1_saveexec_b32 s2, s9
	s_cbranch_execz .LBB141_24
; %bb.19:
                                        ; implicit-def: $vgpr5
                                        ; implicit-def: $vgpr4
	s_mov_b32 s1, exec_lo
	v_cmpx_ngt_f32_e32 0x1fec1e4a, v6
	s_xor_b32 s3, exec_lo, s1
	s_cbranch_execz .LBB141_21
; %bb.20:
	v_mul_f32_e32 v6, v6, v6
	s_mov_b32 s1, 0x3e9b6dac
	v_cmp_class_f32_e64 s4, v0, 0x204
	v_cmp_class_f32_e64 s6, v1, 0x204
	s_delay_alu instid0(VALU_DEP_3) | instskip(NEXT) | instid1(VALU_DEP_1)
	v_add_f32_e32 v7, 1.0, v6
	v_cvt_f64_f32_e32 v[4:5], v7
	s_delay_alu instid0(VALU_DEP_1) | instskip(SKIP_1) | instid1(VALU_DEP_1)
	v_frexp_exp_i32_f64_e32 v4, v[4:5]
	v_frexp_mant_f32_e32 v5, v7
	v_cmp_gt_f32_e32 vcc_lo, 0x3f2aaaab, v5
	v_add_f32_e32 v5, -1.0, v7
	v_cmp_gt_f32_e64 s5, 0x33800000, |v6|
	s_delay_alu instid0(VALU_DEP_2) | instskip(SKIP_2) | instid1(VALU_DEP_2)
	v_sub_f32_e32 v9, v5, v7
	v_subrev_co_ci_u32_e32 v4, vcc_lo, 0, v4, vcc_lo
	v_cmp_gt_i32_e32 vcc_lo, 0, v0
	v_sub_nc_u32_e32 v8, 0, v4
	v_cvt_f32_i32_e32 v4, v4
	s_delay_alu instid0(VALU_DEP_2) | instskip(SKIP_1) | instid1(VALU_DEP_2)
	v_ldexp_f32 v7, v7, v8
	v_sub_f32_e32 v5, v6, v5
	v_dual_add_f32 v9, 1.0, v9 :: v_dual_add_f32 v10, 1.0, v7
	s_delay_alu instid0(VALU_DEP_1) | instskip(NEXT) | instid1(VALU_DEP_2)
	v_add_f32_e32 v5, v5, v9
	v_add_f32_e32 v9, -1.0, v10
	s_delay_alu instid0(VALU_DEP_2) | instskip(NEXT) | instid1(VALU_DEP_2)
	v_ldexp_f32 v5, v5, v8
	v_dual_add_f32 v8, -1.0, v7 :: v_dual_sub_f32 v9, v7, v9
	s_delay_alu instid0(VALU_DEP_1) | instskip(NEXT) | instid1(VALU_DEP_2)
	v_add_f32_e32 v11, 1.0, v8
	v_add_f32_e32 v9, v5, v9
	s_delay_alu instid0(VALU_DEP_2) | instskip(NEXT) | instid1(VALU_DEP_2)
	v_sub_f32_e32 v7, v7, v11
	v_add_f32_e32 v11, v10, v9
	s_delay_alu instid0(VALU_DEP_2) | instskip(NEXT) | instid1(VALU_DEP_2)
	v_add_f32_e32 v5, v5, v7
	v_rcp_f32_e32 v7, v11
	v_sub_f32_e32 v10, v10, v11
	s_delay_alu instid0(VALU_DEP_1) | instskip(NEXT) | instid1(VALU_DEP_1)
	v_dual_add_f32 v12, v8, v5 :: v_dual_add_f32 v9, v9, v10
	v_sub_f32_e32 v8, v8, v12
	s_waitcnt_depctr 0xfff
	v_mul_f32_e32 v13, v12, v7
	s_delay_alu instid0(VALU_DEP_1) | instskip(NEXT) | instid1(VALU_DEP_1)
	v_dual_add_f32 v5, v5, v8 :: v_dual_mul_f32 v14, v11, v13
	v_fma_f32 v10, v13, v11, -v14
	s_delay_alu instid0(VALU_DEP_1) | instskip(NEXT) | instid1(VALU_DEP_1)
	v_fmac_f32_e32 v10, v13, v9
	v_add_f32_e32 v15, v14, v10
	s_delay_alu instid0(VALU_DEP_1) | instskip(SKIP_1) | instid1(VALU_DEP_2)
	v_sub_f32_e32 v16, v12, v15
	v_sub_f32_e32 v8, v15, v14
	;; [unrolled: 1-line block ×3, first 2 shown]
	s_delay_alu instid0(VALU_DEP_2) | instskip(NEXT) | instid1(VALU_DEP_2)
	v_sub_f32_e32 v8, v8, v10
	v_sub_f32_e32 v12, v12, v15
	s_delay_alu instid0(VALU_DEP_1) | instskip(NEXT) | instid1(VALU_DEP_1)
	v_add_f32_e32 v5, v5, v12
	v_add_f32_e32 v5, v8, v5
	s_delay_alu instid0(VALU_DEP_1) | instskip(NEXT) | instid1(VALU_DEP_1)
	v_add_f32_e32 v8, v16, v5
	v_mul_f32_e32 v10, v7, v8
	s_delay_alu instid0(VALU_DEP_1) | instskip(NEXT) | instid1(VALU_DEP_1)
	v_dual_sub_f32 v15, v16, v8 :: v_dual_mul_f32 v12, v11, v10
	v_fma_f32 v11, v10, v11, -v12
	s_delay_alu instid0(VALU_DEP_1) | instskip(NEXT) | instid1(VALU_DEP_1)
	v_fmac_f32_e32 v11, v10, v9
	v_add_f32_e32 v9, v12, v11
	s_delay_alu instid0(VALU_DEP_1) | instskip(SKIP_1) | instid1(VALU_DEP_2)
	v_sub_f32_e32 v14, v8, v9
	v_sub_f32_e32 v12, v9, v12
	v_dual_sub_f32 v8, v8, v14 :: v_dual_add_f32 v5, v5, v15
	s_delay_alu instid0(VALU_DEP_1) | instskip(NEXT) | instid1(VALU_DEP_1)
	v_sub_f32_e32 v8, v8, v9
	v_add_f32_e32 v5, v5, v8
	s_delay_alu instid0(VALU_DEP_4) | instskip(NEXT) | instid1(VALU_DEP_1)
	v_dual_add_f32 v8, v13, v10 :: v_dual_sub_f32 v9, v12, v11
	v_add_f32_e32 v5, v9, v5
	s_delay_alu instid0(VALU_DEP_2) | instskip(NEXT) | instid1(VALU_DEP_2)
	v_sub_f32_e32 v9, v8, v13
	v_add_f32_e32 v5, v14, v5
	s_delay_alu instid0(VALU_DEP_2) | instskip(SKIP_1) | instid1(VALU_DEP_3)
	v_sub_f32_e32 v9, v10, v9
	v_max_f32_e64 v10, |v0|, |v0|
	v_mul_f32_e32 v5, v7, v5
	v_max_f32_e64 v7, |v1|, |v1|
	s_delay_alu instid0(VALU_DEP_1) | instskip(SKIP_1) | instid1(VALU_DEP_2)
	v_dual_add_f32 v5, v9, v5 :: v_dual_max_f32 v12, v10, v7
	v_min_f32_e32 v7, v10, v7
	v_add_f32_e32 v9, v8, v5
	s_delay_alu instid0(VALU_DEP_3) | instskip(SKIP_1) | instid1(VALU_DEP_3)
	v_frexp_mant_f32_e32 v14, v12
	v_frexp_exp_i32_f32_e32 v10, v12
	v_mul_f32_e32 v11, v9, v9
	v_ldexp_f32 v15, v9, 1
	s_delay_alu instid0(VALU_DEP_2) | instskip(SKIP_1) | instid1(VALU_DEP_2)
	v_dual_sub_f32 v8, v9, v8 :: v_dual_fmaak_f32 v13, s1, v11, 0x3ecc95a3
	v_mul_f32_e32 v12, v9, v11
	v_sub_f32_e32 v5, v5, v8
	s_mov_b32 s1, 0x3b2d2a58
	s_delay_alu instid0(VALU_DEP_3)
	v_fmaak_f32 v11, v11, v13, 0x3f2aaada
	v_rcp_f32_e32 v13, v14
	v_frexp_exp_i32_f32_e32 v14, v7
	v_frexp_mant_f32_e32 v7, v7
	v_ldexp_f32 v5, v5, 1
	v_dual_mul_f32 v11, v12, v11 :: v_dual_mul_f32 v12, 0x3f317218, v4
	s_delay_alu instid0(VALU_DEP_4) | instskip(SKIP_2) | instid1(VALU_DEP_1)
	v_sub_nc_u32_e32 v10, v14, v10
	s_waitcnt_depctr 0xfff
	v_mul_f32_e32 v7, v7, v13
	v_ldexp_f32 v7, v7, v10
	v_fma_f32 v10, 0x3f317218, v4, -v12
	s_delay_alu instid0(VALU_DEP_1) | instskip(NEXT) | instid1(VALU_DEP_1)
	v_fmamk_f32 v4, v4, 0xb102e308, v10
	v_dual_add_f32 v10, v12, v4 :: v_dual_add_f32 v9, v15, v11
	s_delay_alu instid0(VALU_DEP_1) | instskip(NEXT) | instid1(VALU_DEP_2)
	v_sub_f32_e32 v12, v10, v12
	v_sub_f32_e32 v8, v9, v15
	s_delay_alu instid0(VALU_DEP_2) | instskip(NEXT) | instid1(VALU_DEP_2)
	v_sub_f32_e32 v4, v4, v12
	v_sub_f32_e32 v8, v11, v8
	s_delay_alu instid0(VALU_DEP_1) | instskip(NEXT) | instid1(VALU_DEP_1)
	v_add_f32_e32 v5, v5, v8
	v_add_f32_e32 v13, v9, v5
	s_delay_alu instid0(VALU_DEP_1) | instskip(NEXT) | instid1(VALU_DEP_1)
	v_add_f32_e32 v14, v10, v13
	v_sub_f32_e32 v15, v14, v10
	s_delay_alu instid0(VALU_DEP_1) | instskip(NEXT) | instid1(VALU_DEP_1)
	v_sub_f32_e32 v16, v14, v15
	v_dual_sub_f32 v10, v10, v16 :: v_dual_sub_f32 v9, v13, v9
	s_delay_alu instid0(VALU_DEP_1) | instskip(NEXT) | instid1(VALU_DEP_1)
	v_sub_f32_e32 v5, v5, v9
	v_dual_mul_f32 v11, v7, v7 :: v_dual_add_f32 v12, v4, v5
	s_delay_alu instid0(VALU_DEP_1) | instskip(SKIP_1) | instid1(VALU_DEP_2)
	v_fmaak_f32 v8, s1, v11, 0xbc7a590c
	v_cmp_gt_f32_e64 s1, 0, v0
	v_fmaak_f32 v8, v11, v8, 0x3d29fb3f
	s_delay_alu instid0(VALU_DEP_1) | instskip(NEXT) | instid1(VALU_DEP_1)
	v_fmaak_f32 v8, v11, v8, 0xbd97d4d7
	v_fmaak_f32 v8, v11, v8, 0x3dd931b2
	s_delay_alu instid0(VALU_DEP_1) | instskip(NEXT) | instid1(VALU_DEP_1)
	v_fmaak_f32 v8, v11, v8, 0xbe1160e6
	v_fmaak_f32 v8, v11, v8, 0x3e4cb8bf
	s_delay_alu instid0(VALU_DEP_1) | instskip(NEXT) | instid1(VALU_DEP_1)
	v_dual_fmaak_f32 v8, v11, v8, 0xbeaaaa62 :: v_dual_sub_f32 v9, v13, v15
	v_mul_f32_e32 v8, v11, v8
	s_delay_alu instid0(VALU_DEP_1) | instskip(NEXT) | instid1(VALU_DEP_3)
	v_fmac_f32_e32 v7, v7, v8
	v_dual_add_f32 v9, v9, v10 :: v_dual_sub_f32 v10, v12, v4
	s_delay_alu instid0(VALU_DEP_1) | instskip(NEXT) | instid1(VALU_DEP_3)
	v_sub_f32_e32 v11, v12, v10
	v_dual_sub_f32 v5, v5, v10 :: v_dual_sub_f32 v10, 0x3fc90fdb, v7
	s_delay_alu instid0(VALU_DEP_2) | instskip(NEXT) | instid1(VALU_DEP_1)
	v_sub_f32_e32 v4, v4, v11
	v_dual_add_f32 v9, v12, v9 :: v_dual_add_f32 v4, v5, v4
	s_delay_alu instid0(VALU_DEP_1) | instskip(NEXT) | instid1(VALU_DEP_1)
	v_add_f32_e32 v12, v14, v9
	v_sub_f32_e32 v8, v12, v14
	s_delay_alu instid0(VALU_DEP_1) | instskip(SKIP_2) | instid1(VALU_DEP_3)
	v_sub_f32_e32 v5, v9, v8
	v_cndmask_b32_e64 v8, 0, 0x40490fdb, vcc_lo
	v_cmp_eq_f32_e32 vcc_lo, 0x7f800000, v6
	v_add_f32_e32 v4, v4, v5
	v_cndmask_b32_e64 v7, v7, v10, s0
	s_or_b32 vcc_lo, vcc_lo, s5
	s_delay_alu instid0(VALU_DEP_1) | instskip(NEXT) | instid1(VALU_DEP_1)
	v_dual_add_f32 v0, v12, v4 :: v_dual_sub_f32 v5, 0x40490fdb, v7
	v_cndmask_b32_e32 v0, v0, v6, vcc_lo
	s_delay_alu instid0(VALU_DEP_2) | instskip(SKIP_2) | instid1(VALU_DEP_3)
	v_cndmask_b32_e64 v4, v7, v5, s1
	v_cmp_eq_f32_e32 vcc_lo, 0, v1
	v_mov_b32_e32 v9, 0x4016cbe4
                                        ; implicit-def: $vgpr6
	v_cndmask_b32_e32 v4, v4, v8, vcc_lo
	s_delay_alu instid0(VALU_DEP_2) | instskip(SKIP_2) | instid1(VALU_DEP_2)
	v_cndmask_b32_e64 v7, 0x3f490fdb, v9, s1
	s_and_b32 vcc_lo, s4, s6
	v_mul_f32_e32 v5, 0.5, v0
                                        ; implicit-def: $vgpr0
	v_cndmask_b32_e32 v4, v4, v7, vcc_lo
.LBB141_21:
	s_and_not1_saveexec_b32 s3, s3
	s_cbranch_execz .LBB141_23
; %bb.22:
	v_max_f32_e64 v4, |v1|, |v1|
	v_max_f32_e64 v5, |v0|, |v0|
	s_mov_b32 s1, 0x3b2d2a58
	v_cmp_gt_i32_e32 vcc_lo, 0, v0
	v_cmp_class_f32_e64 s4, v0, 0x204
	v_cmp_class_f32_e64 s5, v1, 0x204
	v_max_f32_e32 v7, v5, v4
	v_min_f32_e32 v4, v5, v4
	s_delay_alu instid0(VALU_DEP_2) | instskip(NEXT) | instid1(VALU_DEP_1)
	v_frexp_mant_f32_e32 v8, v7
	v_rcp_f32_e32 v5, v8
	s_delay_alu instid0(VALU_DEP_2) | instskip(SKIP_4) | instid1(VALU_DEP_1)
	v_frexp_exp_i32_f32_e32 v8, v4
	v_frexp_mant_f32_e32 v4, v4
	s_waitcnt_depctr 0xfff
	v_mul_f32_e32 v4, v4, v5
	v_frexp_exp_i32_f32_e32 v7, v7
	v_sub_nc_u32_e32 v7, v8, v7
	v_cndmask_b32_e64 v8, 0, 0x40490fdb, vcc_lo
	v_cmp_gt_f32_e32 vcc_lo, 0, v0
	s_delay_alu instid0(VALU_DEP_3) | instskip(NEXT) | instid1(VALU_DEP_1)
	v_ldexp_f32 v4, v4, v7
	v_mul_f32_e32 v5, v4, v4
	s_delay_alu instid0(VALU_DEP_1) | instskip(SKIP_1) | instid1(VALU_DEP_2)
	v_fmaak_f32 v7, s1, v5, 0xbc7a590c
	v_cmp_eq_f32_e64 s1, 0, v1
	v_fmaak_f32 v7, v5, v7, 0x3d29fb3f
	s_delay_alu instid0(VALU_DEP_1) | instskip(NEXT) | instid1(VALU_DEP_1)
	v_fmaak_f32 v7, v5, v7, 0xbd97d4d7
	v_fmaak_f32 v7, v5, v7, 0x3dd931b2
	s_delay_alu instid0(VALU_DEP_1) | instskip(NEXT) | instid1(VALU_DEP_1)
	v_fmaak_f32 v7, v5, v7, 0xbe1160e6
	;; [unrolled: 3-line block ×3, first 2 shown]
	v_mul_f32_e32 v5, v5, v7
	s_delay_alu instid0(VALU_DEP_1) | instskip(NEXT) | instid1(VALU_DEP_1)
	v_fmac_f32_e32 v4, v4, v5
	v_sub_f32_e32 v5, 0x3fc90fdb, v4
	s_delay_alu instid0(VALU_DEP_1) | instskip(NEXT) | instid1(VALU_DEP_1)
	v_cndmask_b32_e64 v4, v4, v5, s0
	v_sub_f32_e32 v5, 0x40490fdb, v4
	s_delay_alu instid0(VALU_DEP_1) | instskip(SKIP_1) | instid1(VALU_DEP_2)
	v_dual_cndmask_b32 v4, v4, v5 :: v_dual_mov_b32 v5, 0x4016cbe4
	v_mul_f32_e32 v7, 0.5, v6
	v_cndmask_b32_e64 v0, v4, v8, s1
	s_delay_alu instid0(VALU_DEP_3) | instskip(SKIP_1) | instid1(VALU_DEP_1)
	v_cndmask_b32_e32 v4, 0x3f490fdb, v5, vcc_lo
	s_and_b32 vcc_lo, s4, s5
	v_dual_mul_f32 v5, v6, v7 :: v_dual_cndmask_b32 v4, v0, v4
.LBB141_23:
	s_or_b32 exec_lo, exec_lo, s3
.LBB141_24:
	s_delay_alu instid0(SALU_CYCLE_1)
	s_or_b32 exec_lo, exec_lo, s2
                                        ; implicit-def: $vgpr0
.LBB141_25:
	s_and_not1_saveexec_b32 s2, s8
	s_cbranch_execz .LBB141_27
; %bb.26:
	v_div_scale_f32 v4, null, 0x402df854, 0x402df854, v0
	v_div_scale_f32 v5, null, 0x402df854, 0x402df854, v1
	v_div_scale_f32 v10, vcc_lo, v0, 0x402df854, v0
	s_delay_alu instid0(VALU_DEP_3) | instskip(NEXT) | instid1(VALU_DEP_2)
	v_rcp_f32_e32 v6, v4
	v_rcp_f32_e32 v7, v5
	v_cmp_class_f32_e64 s3, v1, 0x204
	s_waitcnt_depctr 0xfff
	v_fma_f32 v8, -v4, v6, 1.0
	v_fma_f32 v9, -v5, v7, 1.0
	s_delay_alu instid0(VALU_DEP_1) | instskip(SKIP_1) | instid1(VALU_DEP_2)
	v_dual_fmac_f32 v6, v8, v6 :: v_dual_fmac_f32 v7, v9, v7
	v_div_scale_f32 v8, s1, v1, 0x402df854, v1
	v_mul_f32_e32 v9, v10, v6
	s_delay_alu instid0(VALU_DEP_1) | instskip(NEXT) | instid1(VALU_DEP_1)
	v_fma_f32 v12, -v4, v9, v10
	v_fmac_f32_e32 v9, v12, v6
	s_delay_alu instid0(VALU_DEP_1) | instskip(NEXT) | instid1(VALU_DEP_1)
	v_fma_f32 v4, -v4, v9, v10
	v_div_fmas_f32 v4, v4, v6, v9
	v_max_f32_e64 v9, |v0|, |v0|
	v_mul_f32_e32 v11, v8, v7
	s_mov_b32 vcc_lo, s1
	s_mov_b32 s1, 0x3b2d2a58
	v_div_fixup_f32 v6, v4, 0x402df854, v0
	s_delay_alu instid0(VALU_DEP_2) | instskip(NEXT) | instid1(VALU_DEP_1)
	v_fma_f32 v13, -v5, v11, v8
	v_fmac_f32_e32 v11, v13, v7
	s_delay_alu instid0(VALU_DEP_1) | instskip(NEXT) | instid1(VALU_DEP_1)
	v_fma_f32 v5, -v5, v11, v8
	v_div_fmas_f32 v5, v5, v7, v11
	s_delay_alu instid0(VALU_DEP_1) | instskip(NEXT) | instid1(VALU_DEP_1)
	v_div_fixup_f32 v7, v5, 0x402df854, v1
	v_max_f32_e64 v8, |v6|, |v7|
	s_delay_alu instid0(VALU_DEP_1) | instskip(SKIP_1) | instid1(VALU_DEP_2)
	v_cvt_f64_f32_e32 v[4:5], v8
	v_cmp_neq_f32_e32 vcc_lo, 0x7f800000, v8
	v_frexp_exp_i32_f64_e32 v4, v[4:5]
	v_max_f32_e64 v5, |v1|, |v1|
	s_delay_alu instid0(VALU_DEP_1) | instskip(SKIP_1) | instid1(VALU_DEP_2)
	v_max_f32_e32 v10, v9, v5
	v_min_f32_e32 v5, v9, v5
	v_frexp_mant_f32_e32 v11, v10
	v_frexp_exp_i32_f32_e32 v10, v10
	s_delay_alu instid0(VALU_DEP_3) | instskip(SKIP_1) | instid1(VALU_DEP_4)
	v_frexp_exp_i32_f32_e32 v12, v5
	v_frexp_mant_f32_e32 v5, v5
	v_rcp_f32_e32 v9, v11
	s_delay_alu instid0(VALU_DEP_2) | instskip(SKIP_1) | instid1(VALU_DEP_1)
	v_sub_nc_u32_e32 v10, v12, v10
	v_sub_nc_u32_e32 v11, 0, v4
	v_ldexp_f32 v7, |v7|, v11
	v_ldexp_f32 v6, |v6|, v11
	s_delay_alu instid0(VALU_DEP_2) | instskip(NEXT) | instid1(VALU_DEP_1)
	v_mul_f32_e32 v7, v7, v7
	v_fmac_f32_e32 v7, v6, v6
	s_delay_alu instid0(VALU_DEP_1) | instskip(SKIP_2) | instid1(VALU_DEP_1)
	v_sqrt_f32_e32 v7, v7
	s_waitcnt_depctr 0xfff
	v_ldexp_f32 v4, v7, v4
	v_cndmask_b32_e32 v4, 0x7f800000, v4, vcc_lo
	s_delay_alu instid0(VALU_DEP_1) | instskip(SKIP_1) | instid1(VALU_DEP_1)
	v_cmp_gt_f32_e32 vcc_lo, 0x800000, v4
	v_cndmask_b32_e64 v8, 1.0, 0x4f800000, vcc_lo
	v_mul_f32_e32 v4, v4, v8
	s_delay_alu instid0(VALU_DEP_1) | instskip(SKIP_1) | instid1(VALU_DEP_1)
	v_log_f32_e32 v4, v4
	v_mul_f32_e32 v5, v5, v9
	v_ldexp_f32 v5, v5, v10
	v_cndmask_b32_e64 v10, 0, 0x41b17218, vcc_lo
	s_waitcnt_depctr 0xfff
	v_cmp_gt_f32_e64 vcc_lo, 0x7f800000, |v4|
	v_mul_f32_e32 v6, v5, v5
	s_delay_alu instid0(VALU_DEP_1) | instskip(SKIP_1) | instid1(VALU_DEP_2)
	v_fmaak_f32 v9, s1, v6, 0xbc7a590c
	v_cmp_class_f32_e64 s1, v0, 0x204
	v_fmaak_f32 v9, v6, v9, 0x3d29fb3f
	s_delay_alu instid0(VALU_DEP_1) | instskip(SKIP_1) | instid1(VALU_DEP_2)
	v_fmaak_f32 v7, v6, v9, 0xbd97d4d7
	v_mov_b32_e32 v9, 0x4016cbe4
	v_fmaak_f32 v7, v6, v7, 0x3dd931b2
	s_delay_alu instid0(VALU_DEP_1) | instskip(NEXT) | instid1(VALU_DEP_1)
	v_fmaak_f32 v7, v6, v7, 0xbe1160e6
	v_fmaak_f32 v7, v6, v7, 0x3e4cb8bf
	s_delay_alu instid0(VALU_DEP_1) | instskip(NEXT) | instid1(VALU_DEP_1)
	v_fmaak_f32 v7, v6, v7, 0xbeaaaa62
	v_dual_mul_f32 v6, v6, v7 :: v_dual_mul_f32 v7, 0x3f317217, v4
	s_delay_alu instid0(VALU_DEP_1) | instskip(NEXT) | instid1(VALU_DEP_2)
	v_fmac_f32_e32 v5, v5, v6
	v_fma_f32 v6, 0x3f317217, v4, -v7
	s_delay_alu instid0(VALU_DEP_2) | instskip(NEXT) | instid1(VALU_DEP_2)
	v_sub_f32_e32 v8, 0x3fc90fdb, v5
	v_fmamk_f32 v6, v4, 0x3377d1cf, v6
	s_delay_alu instid0(VALU_DEP_2) | instskip(SKIP_1) | instid1(VALU_DEP_2)
	v_cndmask_b32_e64 v5, v5, v8, s0
	v_cmp_gt_i32_e64 s0, 0, v0
	v_dual_add_f32 v6, v7, v6 :: v_dual_sub_f32 v7, 0x40490fdb, v5
	s_delay_alu instid0(VALU_DEP_2) | instskip(SKIP_1) | instid1(VALU_DEP_3)
	v_cndmask_b32_e64 v8, 0, 0x40490fdb, s0
	v_cmp_gt_f32_e64 s0, 0, v0
	v_cndmask_b32_e32 v4, v4, v6, vcc_lo
	v_cmp_eq_f32_e32 vcc_lo, 0, v1
	s_delay_alu instid0(VALU_DEP_3) | instskip(SKIP_1) | instid1(VALU_DEP_4)
	v_cndmask_b32_e64 v0, v5, v7, s0
	v_cndmask_b32_e64 v6, 0x3f490fdb, v9, s0
	v_sub_f32_e32 v4, v4, v10
	s_delay_alu instid0(VALU_DEP_3) | instskip(SKIP_1) | instid1(VALU_DEP_1)
	v_cndmask_b32_e32 v0, v0, v8, vcc_lo
	s_and_b32 vcc_lo, s1, s3
	v_dual_add_f32 v5, 1.0, v4 :: v_dual_cndmask_b32 v4, v0, v6
.LBB141_27:
	s_or_b32 exec_lo, exec_lo, s2
                                        ; implicit-def: $vgpr0
.LBB141_28:
	s_and_not1_saveexec_b32 s0, s7
	s_cbranch_execz .LBB141_34
; %bb.29:
	v_cmp_ngt_f32_e64 s1, 0x20000000, |v0|
	v_cmp_ngt_f32_e64 s2, 0x20000000, |v1|
                                        ; implicit-def: $vgpr4
	s_delay_alu instid0(VALU_DEP_1) | instskip(NEXT) | instid1(SALU_CYCLE_1)
	s_or_b32 s1, s1, s2
	s_and_saveexec_b32 s2, s1
	s_delay_alu instid0(SALU_CYCLE_1)
	s_xor_b32 s1, exec_lo, s2
; %bb.30:
	v_mul_f32_e32 v4, v1, v1
	s_delay_alu instid0(VALU_DEP_1)
	v_fmac_f32_e32 v4, v0, v0
                                        ; implicit-def: $vgpr0
; %bb.31:
	s_and_not1_saveexec_b32 s1, s1
; %bb.32:
	v_mul_f32_e32 v4, 4.0, v1
	v_mul_f32_e32 v0, 4.0, v0
	s_delay_alu instid0(VALU_DEP_2) | instskip(NEXT) | instid1(VALU_DEP_1)
	v_mul_f32_e32 v4, v4, v4
	v_fmac_f32_e32 v4, v0, v0
	s_delay_alu instid0(VALU_DEP_1)
	v_mul_f32_e32 v4, 0x3d800000, v4
; %bb.33:
	s_or_b32 exec_lo, exec_lo, s1
	s_delay_alu instid0(VALU_DEP_1) | instskip(SKIP_1) | instid1(VALU_DEP_1)
	v_cmp_gt_f32_e32 vcc_lo, 0x800000, v4
	v_cndmask_b32_e64 v0, 1.0, 0x4f800000, vcc_lo
	v_mul_f32_e32 v0, v4, v0
	s_delay_alu instid0(VALU_DEP_1) | instskip(SKIP_2) | instid1(VALU_DEP_1)
	v_log_f32_e32 v0, v0
	s_waitcnt_depctr 0xfff
	v_mul_f32_e32 v4, 0x3f317217, v0
	v_fma_f32 v5, 0x3f317217, v0, -v4
	s_delay_alu instid0(VALU_DEP_1) | instskip(NEXT) | instid1(VALU_DEP_1)
	v_fmamk_f32 v5, v0, 0x3377d1cf, v5
	v_add_f32_e32 v4, v4, v5
	v_cndmask_b32_e64 v5, 0, 0x41b17218, vcc_lo
	v_cmp_gt_f32_e64 vcc_lo, 0x7f800000, |v0|
	s_delay_alu instid0(VALU_DEP_3) | instskip(NEXT) | instid1(VALU_DEP_1)
	v_cndmask_b32_e32 v0, v0, v4, vcc_lo
	v_dual_mov_b32 v4, 0x7fc00000 :: v_dual_sub_f32 v5, v0, v5
.LBB141_34:
	s_or_b32 exec_lo, exec_lo, s0
	s_delay_alu instid0(VALU_DEP_1) | instskip(SKIP_1) | instid1(VALU_DEP_1)
	v_bfi_b32 v0, 0x7fffffff, v4, v1
	s_mov_b32 s0, exec_lo
	v_mul_f32_e64 v4, v0, -v3
	s_delay_alu instid0(VALU_DEP_1) | instskip(NEXT) | instid1(VALU_DEP_1)
	v_dual_mul_f32 v1, v5, v3 :: v_dual_fmac_f32 v4, v2, v5
	v_fmac_f32_e32 v1, v2, v0
                                        ; implicit-def: $vgpr0
	s_delay_alu instid0(VALU_DEP_1) | instskip(NEXT) | instid1(VALU_DEP_1)
	v_and_b32_e32 v3, 0x7fffffff, v1
	v_cmpx_ne_u32_e32 0, v3
	s_xor_b32 s3, exec_lo, s0
	s_cbranch_execz .LBB141_40
; %bb.35:
	v_and_b32_e32 v2, 0x7fffffff, v4
                                        ; implicit-def: $vgpr0
	s_mov_b32 s0, exec_lo
	s_delay_alu instid0(VALU_DEP_1)
	v_cmpx_ne_u32_e32 0, v2
	s_xor_b32 s4, exec_lo, s0
	s_cbranch_execz .LBB141_67
; %bb.36:
                                        ; implicit-def: $vgpr0
	s_mov_b32 s0, exec_lo
	v_cmpx_gt_u32_e32 0x7f800000, v3
	s_xor_b32 s5, exec_lo, s0
	s_cbranch_execz .LBB141_60
; %bb.37:
	v_add_nc_u32_e32 v0, 0xbd4e8de8, v4
	s_delay_alu instid0(VALU_DEP_1) | instskip(SKIP_1) | instid1(SALU_CYCLE_1)
	v_cmp_lt_u32_e32 vcc_lo, 0x8e8e5c, v0
                                        ; implicit-def: $vgpr0
	s_and_saveexec_b32 s0, vcc_lo
	s_xor_b32 s6, exec_lo, s0
	s_cbranch_execz .LBB141_49
; %bb.38:
	v_cmp_ngt_f32_e64 s7, 0x48000000, |v1|
                                        ; implicit-def: $vgpr2
                                        ; implicit-def: $vgpr0
	s_delay_alu instid0(VALU_DEP_1) | instskip(NEXT) | instid1(SALU_CYCLE_1)
	s_and_saveexec_b32 s0, s7
	s_xor_b32 s8, exec_lo, s0
	s_cbranch_execz .LBB141_42
; %bb.39:
	s_mov_b32 s0, 0x7fffff
	v_mov_b32_e32 v7, 0
	v_and_or_b32 v0, v3, s0, 0x800000
	v_lshrrev_b32_e32 v2, 23, v3
	s_delay_alu instid0(VALU_DEP_2) | instskip(NEXT) | instid1(VALU_DEP_1)
	v_mad_u64_u32 v[5:6], null, 0xfe5163ab, v0, 0
	v_mad_u64_u32 v[8:9], null, 0x3c439041, v0, v[6:7]
	s_delay_alu instid0(VALU_DEP_1) | instskip(NEXT) | instid1(VALU_DEP_1)
	v_mov_b32_e32 v6, v9
	v_mad_u64_u32 v[9:10], null, 0xdb629599, v0, v[6:7]
	v_add_nc_u32_e32 v2, 0xffffff88, v2
	s_delay_alu instid0(VALU_DEP_1) | instskip(NEXT) | instid1(VALU_DEP_3)
	v_cmp_lt_u32_e32 vcc_lo, 63, v2
	v_mov_b32_e32 v6, v10
	v_cndmask_b32_e64 v13, 0, 0xffffffc0, vcc_lo
	s_delay_alu instid0(VALU_DEP_2) | instskip(SKIP_1) | instid1(VALU_DEP_3)
	v_mad_u64_u32 v[10:11], null, 0xf534ddc0, v0, v[6:7]
	v_cndmask_b32_e32 v5, v9, v5, vcc_lo
	v_add_nc_u32_e32 v2, v13, v2
	s_delay_alu instid0(VALU_DEP_3) | instskip(NEXT) | instid1(VALU_DEP_2)
	v_mov_b32_e32 v6, v11
	v_cmp_lt_u32_e64 s0, 31, v2
	s_delay_alu instid0(VALU_DEP_2) | instskip(NEXT) | instid1(VALU_DEP_2)
	v_mad_u64_u32 v[11:12], null, 0xfc2757d1, v0, v[6:7]
	v_cndmask_b32_e64 v14, 0, 0xffffffe0, s0
	s_delay_alu instid0(VALU_DEP_1) | instskip(NEXT) | instid1(VALU_DEP_3)
	v_add_nc_u32_e32 v2, v14, v2
	v_mov_b32_e32 v6, v12
	s_delay_alu instid0(VALU_DEP_2) | instskip(NEXT) | instid1(VALU_DEP_2)
	v_cmp_lt_u32_e64 s1, 31, v2
	v_mad_u64_u32 v[12:13], null, 0x4e441529, v0, v[6:7]
	s_delay_alu instid0(VALU_DEP_1) | instskip(NEXT) | instid1(VALU_DEP_1)
	v_mov_b32_e32 v6, v13
	v_mad_u64_u32 v[13:14], null, 0xa2f9836e, v0, v[6:7]
	s_delay_alu instid0(VALU_DEP_4) | instskip(NEXT) | instid1(VALU_DEP_4)
	v_cndmask_b32_e64 v0, 0, 0xffffffe0, s1
	v_cndmask_b32_e32 v6, v12, v10, vcc_lo
	s_delay_alu instid0(VALU_DEP_2) | instskip(NEXT) | instid1(VALU_DEP_4)
	v_dual_cndmask_b32 v7, v13, v11 :: v_dual_add_nc_u32 v0, v0, v2
	v_dual_cndmask_b32 v12, v14, v12 :: v_dual_cndmask_b32 v11, v11, v9
	v_cndmask_b32_e32 v2, v10, v8, vcc_lo
	s_delay_alu instid0(VALU_DEP_3) | instskip(NEXT) | instid1(VALU_DEP_4)
	v_sub_nc_u32_e32 v10, 32, v0
	v_cndmask_b32_e64 v8, v7, v6, s0
	s_delay_alu instid0(VALU_DEP_4)
	v_cndmask_b32_e64 v7, v12, v7, s0
	v_cndmask_b32_e64 v6, v6, v11, s0
	;; [unrolled: 1-line block ×3, first 2 shown]
	v_cmp_eq_u32_e64 s2, 0, v0
	v_cndmask_b32_e64 v2, v2, v5, s0
	v_cndmask_b32_e64 v7, v7, v8, s1
	;; [unrolled: 1-line block ×4, first 2 shown]
	s_delay_alu instid0(VALU_DEP_4) | instskip(NEXT) | instid1(VALU_DEP_3)
	v_cndmask_b32_e64 v2, v11, v2, s1
	v_alignbit_b32 v12, v7, v8, v10
	s_delay_alu instid0(VALU_DEP_3) | instskip(NEXT) | instid1(VALU_DEP_3)
	v_alignbit_b32 v13, v8, v6, v10
	v_alignbit_b32 v10, v6, v2, v10
	s_delay_alu instid0(VALU_DEP_3) | instskip(NEXT) | instid1(VALU_DEP_3)
	v_cndmask_b32_e64 v0, v12, v7, s2
	v_cndmask_b32_e64 v7, v13, v8, s2
	s_delay_alu instid0(VALU_DEP_3) | instskip(NEXT) | instid1(VALU_DEP_3)
	v_cndmask_b32_e64 v6, v10, v6, s2
	v_bfe_u32 v8, v0, 29, 1
	s_delay_alu instid0(VALU_DEP_3) | instskip(NEXT) | instid1(VALU_DEP_3)
	v_alignbit_b32 v5, v0, v7, 30
	v_alignbit_b32 v7, v7, v6, 30
	v_alignbit_b32 v2, v6, v2, 30
	s_delay_alu instid0(VALU_DEP_4) | instskip(NEXT) | instid1(VALU_DEP_1)
	v_sub_nc_u32_e32 v9, 0, v8
	v_xor_b32_e32 v11, v5, v9
	v_cmp_ne_u32_e32 vcc_lo, v5, v9
	v_xor_b32_e32 v6, v7, v9
	v_xor_b32_e32 v2, v2, v9
	s_delay_alu instid0(VALU_DEP_4) | instskip(NEXT) | instid1(VALU_DEP_1)
	v_clz_i32_u32_e32 v12, v11
	v_add_nc_u32_e32 v10, 1, v12
	s_delay_alu instid0(VALU_DEP_1) | instskip(NEXT) | instid1(VALU_DEP_1)
	v_cndmask_b32_e32 v5, 33, v10, vcc_lo
	v_sub_nc_u32_e32 v7, 32, v5
	s_delay_alu instid0(VALU_DEP_1) | instskip(SKIP_2) | instid1(VALU_DEP_2)
	v_alignbit_b32 v9, v11, v6, v7
	v_alignbit_b32 v2, v6, v2, v7
	v_lshrrev_b32_e32 v6, 29, v0
	v_alignbit_b32 v7, v9, v2, 9
	s_delay_alu instid0(VALU_DEP_2) | instskip(SKIP_1) | instid1(VALU_DEP_3)
	v_lshlrev_b32_e32 v6, 31, v6
	v_alignbit_b32 v9, v5, v9, 9
	v_clz_i32_u32_e32 v10, v7
	s_delay_alu instid0(VALU_DEP_2) | instskip(SKIP_1) | instid1(VALU_DEP_3)
	v_or_b32_e32 v9, v9, v6
	v_or_b32_e32 v6, 0x33800000, v6
	v_min_u32_e32 v10, 32, v10
	s_delay_alu instid0(VALU_DEP_3) | instskip(NEXT) | instid1(VALU_DEP_2)
	v_xor_b32_e32 v9, 1.0, v9
	v_sub_nc_u32_e32 v11, 31, v10
	v_add_lshl_u32 v5, v10, v5, 23
	s_delay_alu instid0(VALU_DEP_3) | instskip(NEXT) | instid1(VALU_DEP_3)
	v_mul_f32_e32 v10, 0x3fc90fda, v9
	v_alignbit_b32 v2, v7, v2, v11
	s_delay_alu instid0(VALU_DEP_3) | instskip(NEXT) | instid1(VALU_DEP_3)
	v_sub_nc_u32_e32 v5, v6, v5
	v_fma_f32 v6, 0x3fc90fda, v9, -v10
	s_delay_alu instid0(VALU_DEP_3) | instskip(NEXT) | instid1(VALU_DEP_2)
	v_lshrrev_b32_e32 v2, 9, v2
	v_fmamk_f32 v6, v9, 0x33a22168, v6
	s_delay_alu instid0(VALU_DEP_2) | instskip(NEXT) | instid1(VALU_DEP_1)
	v_or_b32_e32 v2, v5, v2
	v_fmac_f32_e32 v6, 0x3fc90fda, v2
	v_lshrrev_b32_e32 v2, 30, v0
	s_delay_alu instid0(VALU_DEP_2) | instskip(NEXT) | instid1(VALU_DEP_2)
	v_add_f32_e32 v0, v10, v6
	v_add_nc_u32_e32 v2, v8, v2
	s_and_not1_saveexec_b32 s0, s8
	s_branch .LBB141_43
.LBB141_40:
	s_and_not1_saveexec_b32 s0, s3
	s_cbranch_execz .LBB141_78
.LBB141_41:
	v_mul_f32_e32 v0, 0x3fb8aa3b, v4
	v_cmp_ngt_f32_e32 vcc_lo, 0xc2ce8ed0, v4
	s_delay_alu instid0(VALU_DEP_2) | instskip(SKIP_1) | instid1(VALU_DEP_2)
	v_rndne_f32_e32 v2, v0
	v_fma_f32 v3, 0x3fb8aa3b, v4, -v0
	v_sub_f32_e32 v0, v0, v2
	s_delay_alu instid0(VALU_DEP_2) | instskip(SKIP_1) | instid1(VALU_DEP_2)
	v_fmamk_f32 v3, v4, 0x32a5705f, v3
	v_cvt_i32_f32_e32 v2, v2
	v_add_f32_e32 v0, v0, v3
	s_delay_alu instid0(VALU_DEP_1) | instskip(SKIP_2) | instid1(VALU_DEP_1)
	v_exp_f32_e32 v0, v0
	s_waitcnt_depctr 0xfff
	v_ldexp_f32 v0, v0, v2
	v_cndmask_b32_e32 v0, 0, v0, vcc_lo
	v_cmp_nlt_f32_e32 vcc_lo, 0x42b17218, v4
	s_delay_alu instid0(VALU_DEP_2)
	v_cndmask_b32_e32 v0, 0x7f800000, v0, vcc_lo
	s_or_b32 exec_lo, exec_lo, s0
	s_setpc_b64 s[30:31]
.LBB141_42:
	s_and_not1_saveexec_b32 s0, s8
.LBB141_43:
	v_mul_f32_e64 v0, 0x3f22f983, |v1|
	s_delay_alu instid0(VALU_DEP_1) | instskip(NEXT) | instid1(VALU_DEP_1)
	v_rndne_f32_e32 v2, v0
	v_fma_f32 v0, 0xbfc90fda, v2, |v1|
	s_delay_alu instid0(VALU_DEP_1) | instskip(NEXT) | instid1(VALU_DEP_1)
	v_fmamk_f32 v0, v2, 0xb3a22168, v0
	v_fmamk_f32 v0, v2, 0xa7c234c4, v0
	v_cvt_i32_f32_e32 v2, v2
; %bb.44:
	s_or_b32 exec_lo, exec_lo, s0
                                        ; implicit-def: $vgpr6
                                        ; implicit-def: $vgpr5
	s_and_saveexec_b32 s0, s7
	s_delay_alu instid0(SALU_CYCLE_1)
	s_xor_b32 s7, exec_lo, s0
	s_cbranch_execz .LBB141_46
; %bb.45:
	s_mov_b32 s0, 0x7fffff
	v_mov_b32_e32 v7, 0
	v_and_or_b32 v15, v3, s0, 0x800000
	v_lshrrev_b32_e32 v12, 23, v3
	s_delay_alu instid0(VALU_DEP_2) | instskip(NEXT) | instid1(VALU_DEP_2)
	v_mad_u64_u32 v[5:6], null, 0xfe5163ab, v15, 0
	v_add_nc_u32_e32 v13, 0xffffff88, v12
	s_delay_alu instid0(VALU_DEP_1) | instskip(NEXT) | instid1(VALU_DEP_3)
	v_cmp_lt_u32_e32 vcc_lo, 63, v13
	v_mad_u64_u32 v[8:9], null, 0x3c439041, v15, v[6:7]
	v_cndmask_b32_e64 v14, 0, 0xffffffc0, vcc_lo
	s_delay_alu instid0(VALU_DEP_2) | instskip(NEXT) | instid1(VALU_DEP_2)
	v_mov_b32_e32 v6, v9
	v_add_nc_u32_e32 v14, v14, v13
	s_delay_alu instid0(VALU_DEP_2) | instskip(NEXT) | instid1(VALU_DEP_2)
	v_mad_u64_u32 v[9:10], null, 0xdb629599, v15, v[6:7]
	v_cmp_lt_u32_e64 s0, 31, v14
	s_delay_alu instid0(VALU_DEP_1) | instskip(NEXT) | instid1(VALU_DEP_3)
	v_cndmask_b32_e64 v16, 0, 0xffffffe0, s0
	v_dual_mov_b32 v6, v10 :: v_dual_cndmask_b32 v5, v9, v5
	s_delay_alu instid0(VALU_DEP_2) | instskip(NEXT) | instid1(VALU_DEP_2)
	v_add_nc_u32_e32 v16, v16, v14
	v_mad_u64_u32 v[10:11], null, 0xf534ddc0, v15, v[6:7]
	s_delay_alu instid0(VALU_DEP_2) | instskip(NEXT) | instid1(VALU_DEP_2)
	v_cmp_lt_u32_e64 s1, 31, v16
	v_mov_b32_e32 v6, v11
	s_delay_alu instid0(VALU_DEP_3) | instskip(NEXT) | instid1(VALU_DEP_2)
	v_cndmask_b32_e32 v8, v10, v8, vcc_lo
	v_mad_u64_u32 v[11:12], null, 0xfc2757d1, v15, v[6:7]
	s_delay_alu instid0(VALU_DEP_2) | instskip(NEXT) | instid1(VALU_DEP_2)
	v_cndmask_b32_e64 v5, v8, v5, s0
	v_mov_b32_e32 v6, v12
	s_delay_alu instid0(VALU_DEP_1) | instskip(NEXT) | instid1(VALU_DEP_1)
	v_mad_u64_u32 v[12:13], null, 0x4e441529, v15, v[6:7]
	v_mov_b32_e32 v6, v13
	s_delay_alu instid0(VALU_DEP_1) | instskip(SKIP_1) | instid1(VALU_DEP_1)
	v_mad_u64_u32 v[13:14], null, 0xa2f9836e, v15, v[6:7]
	v_cndmask_b32_e64 v6, 0, 0xffffffe0, s1
	v_dual_cndmask_b32 v7, v12, v10 :: v_dual_add_nc_u32 v6, v6, v16
	s_delay_alu instid0(VALU_DEP_3) | instskip(NEXT) | instid1(VALU_DEP_4)
	v_cndmask_b32_e32 v13, v13, v11, vcc_lo
	v_dual_cndmask_b32 v11, v11, v9 :: v_dual_cndmask_b32 v12, v14, v12
	s_delay_alu instid0(VALU_DEP_3) | instskip(NEXT) | instid1(VALU_DEP_3)
	v_cmp_eq_u32_e64 s2, 0, v6
	v_cndmask_b32_e64 v10, v13, v7, s0
	s_delay_alu instid0(VALU_DEP_3) | instskip(NEXT) | instid1(VALU_DEP_4)
	v_cndmask_b32_e64 v7, v7, v11, s0
	v_cndmask_b32_e64 v12, v12, v13, s0
	v_sub_nc_u32_e32 v13, 32, v6
	v_cndmask_b32_e64 v11, v11, v8, s0
	s_delay_alu instid0(VALU_DEP_3) | instskip(SKIP_1) | instid1(VALU_DEP_3)
	v_cndmask_b32_e64 v12, v12, v10, s1
	v_cndmask_b32_e64 v10, v10, v7, s1
	;; [unrolled: 1-line block ×4, first 2 shown]
	s_delay_alu instid0(VALU_DEP_3) | instskip(NEXT) | instid1(VALU_DEP_3)
	v_alignbit_b32 v14, v12, v10, v13
	v_alignbit_b32 v15, v10, v7, v13
	s_delay_alu instid0(VALU_DEP_3) | instskip(NEXT) | instid1(VALU_DEP_3)
	v_alignbit_b32 v13, v7, v5, v13
	v_cndmask_b32_e64 v6, v14, v12, s2
	s_delay_alu instid0(VALU_DEP_3) | instskip(NEXT) | instid1(VALU_DEP_3)
	v_cndmask_b32_e64 v9, v15, v10, s2
	v_cndmask_b32_e64 v7, v13, v7, s2
	s_delay_alu instid0(VALU_DEP_3) | instskip(NEXT) | instid1(VALU_DEP_3)
	v_bfe_u32 v10, v6, 29, 1
	v_alignbit_b32 v8, v6, v9, 30
	s_delay_alu instid0(VALU_DEP_3) | instskip(SKIP_1) | instid1(VALU_DEP_4)
	v_alignbit_b32 v9, v9, v7, 30
	v_alignbit_b32 v5, v7, v5, 30
	v_sub_nc_u32_e32 v12, 0, v10
	s_delay_alu instid0(VALU_DEP_1) | instskip(SKIP_3) | instid1(VALU_DEP_4)
	v_xor_b32_e32 v11, v8, v12
	v_cmp_ne_u32_e32 vcc_lo, v8, v12
	v_xor_b32_e32 v7, v9, v12
	v_xor_b32_e32 v5, v5, v12
	v_clz_i32_u32_e32 v14, v11
	s_delay_alu instid0(VALU_DEP_1) | instskip(NEXT) | instid1(VALU_DEP_1)
	v_add_nc_u32_e32 v13, 1, v14
	v_cndmask_b32_e32 v8, 33, v13, vcc_lo
	s_delay_alu instid0(VALU_DEP_1) | instskip(NEXT) | instid1(VALU_DEP_1)
	v_sub_nc_u32_e32 v9, 32, v8
	v_alignbit_b32 v11, v11, v7, v9
	v_alignbit_b32 v5, v7, v5, v9
	v_lshrrev_b32_e32 v7, 29, v6
	v_lshrrev_b32_e32 v6, 30, v6
	s_delay_alu instid0(VALU_DEP_3) | instskip(NEXT) | instid1(VALU_DEP_3)
	v_alignbit_b32 v9, v11, v5, 9
	v_lshlrev_b32_e32 v7, 31, v7
	v_alignbit_b32 v11, v8, v11, 9
	s_delay_alu instid0(VALU_DEP_4) | instskip(NEXT) | instid1(VALU_DEP_4)
	v_add_nc_u32_e32 v6, v10, v6
	v_clz_i32_u32_e32 v12, v9
	s_delay_alu instid0(VALU_DEP_3) | instskip(SKIP_1) | instid1(VALU_DEP_3)
	v_or_b32_e32 v11, v11, v7
	v_or_b32_e32 v7, 0x33800000, v7
	v_min_u32_e32 v12, 32, v12
	s_delay_alu instid0(VALU_DEP_3) | instskip(NEXT) | instid1(VALU_DEP_2)
	v_xor_b32_e32 v11, 1.0, v11
	v_sub_nc_u32_e32 v13, 31, v12
	v_add_lshl_u32 v8, v12, v8, 23
	s_delay_alu instid0(VALU_DEP_3) | instskip(NEXT) | instid1(VALU_DEP_3)
	v_mul_f32_e32 v12, 0x3fc90fda, v11
	v_alignbit_b32 v5, v9, v5, v13
	s_delay_alu instid0(VALU_DEP_3) | instskip(NEXT) | instid1(VALU_DEP_3)
	v_sub_nc_u32_e32 v7, v7, v8
	v_fma_f32 v8, 0x3fc90fda, v11, -v12
	s_delay_alu instid0(VALU_DEP_3) | instskip(NEXT) | instid1(VALU_DEP_2)
	v_lshrrev_b32_e32 v5, 9, v5
	v_fmamk_f32 v8, v11, 0x33a22168, v8
	s_delay_alu instid0(VALU_DEP_2) | instskip(NEXT) | instid1(VALU_DEP_1)
	v_or_b32_e32 v5, v7, v5
	v_fmac_f32_e32 v8, 0x3fc90fda, v5
	s_delay_alu instid0(VALU_DEP_1)
	v_add_f32_e32 v5, v12, v8
	s_and_not1_saveexec_b32 s0, s7
	s_cbranch_execnz .LBB141_47
	s_branch .LBB141_48
.LBB141_46:
	s_and_not1_saveexec_b32 s0, s7
.LBB141_47:
	v_mul_f32_e64 v5, 0x3f22f983, |v1|
	s_delay_alu instid0(VALU_DEP_1) | instskip(NEXT) | instid1(VALU_DEP_1)
	v_rndne_f32_e32 v6, v5
	v_fma_f32 v5, 0xbfc90fda, v6, |v1|
	s_delay_alu instid0(VALU_DEP_1) | instskip(NEXT) | instid1(VALU_DEP_1)
	v_fmamk_f32 v5, v6, 0xb3a22168, v5
	v_fmamk_f32 v5, v6, 0xa7c234c4, v5
	v_cvt_i32_f32_e32 v6, v6
.LBB141_48:
	s_or_b32 exec_lo, exec_lo, s0
	v_mul_f32_e32 v7, 0x3fb8aa3b, v4
	v_dual_mul_f32 v8, v0, v0 :: v_dual_and_b32 v11, 1, v2
	v_lshlrev_b32_e32 v2, 30, v2
	s_mov_b32 s1, 0x37d75334
	s_delay_alu instid0(VALU_DEP_3) | instskip(SKIP_2) | instid1(SALU_CYCLE_1)
	v_rndne_f32_e32 v9, v7
	v_fma_f32 v10, 0x3fb8aa3b, v4, -v7
	s_mov_b32 s0, 0xb94c1982
	v_dual_mul_f32 v12, v5, v5 :: v_dual_fmaak_f32 v13, s0, v8, 0x3c0881c4
	s_delay_alu instid0(VALU_DEP_2)
	v_dual_sub_f32 v7, v7, v9 :: v_dual_fmamk_f32 v10, v4, 0x32a5705f, v10
	v_fmaak_f32 v14, s1, v8, 0xbab64f3b
	v_cvt_i32_f32_e32 v9, v9
	v_cmp_eq_u32_e32 vcc_lo, 0, v11
	v_and_b32_e32 v2, 0x80000000, v2
	v_dual_add_f32 v7, v7, v10 :: v_dual_fmaak_f32 v10, v8, v13, 0xbe2aaa9d
	s_delay_alu instid0(VALU_DEP_1)
	v_exp_f32_e32 v7, v7
	s_waitcnt_depctr 0xfff
	v_ldexp_f32 v7, v7, v9
	v_and_b32_e32 v9, 1, v6
	v_fmaak_f32 v13, v8, v14, 0x3d2aabf7
	v_dual_fmaak_f32 v15, s0, v12, 0x3c0881c4 :: v_dual_mul_f32 v10, v8, v10
	v_cmp_nlt_f32_e64 s0, 0x42b17218, v4
	s_delay_alu instid0(VALU_DEP_3) | instskip(NEXT) | instid1(VALU_DEP_3)
	v_dual_fmaak_f32 v13, v8, v13, 0xbf000004 :: v_dual_lshlrev_b32 v6, 30, v6
	v_fmac_f32_e32 v0, v0, v10
	s_delay_alu instid0(VALU_DEP_2) | instskip(NEXT) | instid1(VALU_DEP_3)
	v_and_or_b32 v3, 0x80000000, v6, v3
	v_fma_f32 v8, v8, v13, 1.0
	s_delay_alu instid0(VALU_DEP_1) | instskip(SKIP_2) | instid1(VALU_DEP_3)
	v_cndmask_b32_e64 v0, -v0, v8, vcc_lo
	v_cmp_eq_u32_e32 vcc_lo, 0, v9
	v_fmaak_f32 v14, v12, v15, 0xbe2aaa9d
	v_xor_b32_e32 v0, v2, v0
	s_delay_alu instid0(VALU_DEP_2) | instskip(NEXT) | instid1(VALU_DEP_1)
	v_mul_f32_e32 v14, v12, v14
	v_dual_fmaak_f32 v16, s1, v12, 0xbab64f3b :: v_dual_fmac_f32 v5, v5, v14
	s_delay_alu instid0(VALU_DEP_1) | instskip(NEXT) | instid1(VALU_DEP_1)
	v_fmaak_f32 v15, v12, v16, 0x3d2aabf7
	v_fmaak_f32 v15, v12, v15, 0xbf000004
	s_delay_alu instid0(VALU_DEP_1) | instskip(NEXT) | instid1(VALU_DEP_1)
	v_fma_f32 v10, v12, v15, 1.0
	v_cndmask_b32_e32 v5, v10, v5, vcc_lo
	v_cmp_ngt_f32_e32 vcc_lo, 0xc2ce8ed0, v4
                                        ; implicit-def: $vgpr4
	v_cndmask_b32_e32 v6, 0, v7, vcc_lo
	v_cmp_class_f32_e64 vcc_lo, v1, 0x1f8
	s_delay_alu instid0(VALU_DEP_4) | instskip(NEXT) | instid1(VALU_DEP_3)
	v_xor3_b32 v1, v3, v5, v1
                                        ; implicit-def: $vgpr3
	v_cndmask_b32_e64 v2, 0x7f800000, v6, s0
	v_cndmask_b32_e32 v0, 0x7fc00000, v0, vcc_lo
	s_delay_alu instid0(VALU_DEP_1) | instskip(NEXT) | instid1(VALU_DEP_1)
	v_dual_cndmask_b32 v1, 0x7fc00000, v1 :: v_dual_mul_f32 v0, v2, v0
	v_mul_f32_e32 v1, v2, v1
.LBB141_49:
	s_and_not1_saveexec_b32 s6, s6
	s_cbranch_execz .LBB141_52
; %bb.50:
	s_delay_alu instid0(VALU_DEP_1) | instskip(NEXT) | instid1(VALU_DEP_1)
	v_cmp_ngt_f32_e64 s7, 0x48000000, |v1|
                                        ; implicit-def: $vgpr2
                                        ; implicit-def: $vgpr0
	s_and_saveexec_b32 s0, s7
	s_delay_alu instid0(SALU_CYCLE_1)
	s_xor_b32 s8, exec_lo, s0
	s_cbranch_execz .LBB141_53
; %bb.51:
	s_mov_b32 s0, 0x7fffff
	v_mov_b32_e32 v7, 0
	v_and_or_b32 v0, v3, s0, 0x800000
	v_lshrrev_b32_e32 v2, 23, v3
	s_delay_alu instid0(VALU_DEP_2) | instskip(NEXT) | instid1(VALU_DEP_1)
	v_mad_u64_u32 v[5:6], null, 0xfe5163ab, v0, 0
	v_mad_u64_u32 v[8:9], null, 0x3c439041, v0, v[6:7]
	s_delay_alu instid0(VALU_DEP_1) | instskip(NEXT) | instid1(VALU_DEP_1)
	v_mov_b32_e32 v6, v9
	v_mad_u64_u32 v[9:10], null, 0xdb629599, v0, v[6:7]
	v_add_nc_u32_e32 v2, 0xffffff88, v2
	s_delay_alu instid0(VALU_DEP_1) | instskip(NEXT) | instid1(VALU_DEP_3)
	v_cmp_lt_u32_e32 vcc_lo, 63, v2
	v_mov_b32_e32 v6, v10
	v_cndmask_b32_e64 v13, 0, 0xffffffc0, vcc_lo
	s_delay_alu instid0(VALU_DEP_2) | instskip(SKIP_1) | instid1(VALU_DEP_3)
	v_mad_u64_u32 v[10:11], null, 0xf534ddc0, v0, v[6:7]
	v_cndmask_b32_e32 v5, v9, v5, vcc_lo
	v_add_nc_u32_e32 v2, v13, v2
	s_delay_alu instid0(VALU_DEP_3) | instskip(NEXT) | instid1(VALU_DEP_2)
	v_mov_b32_e32 v6, v11
	v_cmp_lt_u32_e64 s0, 31, v2
	s_delay_alu instid0(VALU_DEP_2) | instskip(NEXT) | instid1(VALU_DEP_2)
	v_mad_u64_u32 v[11:12], null, 0xfc2757d1, v0, v[6:7]
	v_cndmask_b32_e64 v14, 0, 0xffffffe0, s0
	s_delay_alu instid0(VALU_DEP_1) | instskip(NEXT) | instid1(VALU_DEP_3)
	v_add_nc_u32_e32 v2, v14, v2
	v_mov_b32_e32 v6, v12
	s_delay_alu instid0(VALU_DEP_2) | instskip(NEXT) | instid1(VALU_DEP_2)
	v_cmp_lt_u32_e64 s1, 31, v2
	v_mad_u64_u32 v[12:13], null, 0x4e441529, v0, v[6:7]
	s_delay_alu instid0(VALU_DEP_1) | instskip(NEXT) | instid1(VALU_DEP_1)
	v_mov_b32_e32 v6, v13
	v_mad_u64_u32 v[13:14], null, 0xa2f9836e, v0, v[6:7]
	s_delay_alu instid0(VALU_DEP_4) | instskip(NEXT) | instid1(VALU_DEP_4)
	v_cndmask_b32_e64 v0, 0, 0xffffffe0, s1
	v_cndmask_b32_e32 v6, v12, v10, vcc_lo
	s_delay_alu instid0(VALU_DEP_2) | instskip(NEXT) | instid1(VALU_DEP_4)
	v_dual_cndmask_b32 v7, v13, v11 :: v_dual_add_nc_u32 v0, v0, v2
	v_dual_cndmask_b32 v12, v14, v12 :: v_dual_cndmask_b32 v11, v11, v9
	v_cndmask_b32_e32 v2, v10, v8, vcc_lo
	s_delay_alu instid0(VALU_DEP_3) | instskip(NEXT) | instid1(VALU_DEP_4)
	v_sub_nc_u32_e32 v10, 32, v0
	v_cndmask_b32_e64 v8, v7, v6, s0
	s_delay_alu instid0(VALU_DEP_4)
	v_cndmask_b32_e64 v7, v12, v7, s0
	v_cndmask_b32_e64 v6, v6, v11, s0
	;; [unrolled: 1-line block ×3, first 2 shown]
	v_cmp_eq_u32_e64 s2, 0, v0
	v_cndmask_b32_e64 v2, v2, v5, s0
	v_cndmask_b32_e64 v7, v7, v8, s1
	;; [unrolled: 1-line block ×4, first 2 shown]
	s_delay_alu instid0(VALU_DEP_4) | instskip(NEXT) | instid1(VALU_DEP_3)
	v_cndmask_b32_e64 v2, v11, v2, s1
	v_alignbit_b32 v12, v7, v8, v10
	s_delay_alu instid0(VALU_DEP_3) | instskip(NEXT) | instid1(VALU_DEP_3)
	v_alignbit_b32 v13, v8, v6, v10
	v_alignbit_b32 v10, v6, v2, v10
	s_delay_alu instid0(VALU_DEP_3) | instskip(NEXT) | instid1(VALU_DEP_3)
	v_cndmask_b32_e64 v0, v12, v7, s2
	v_cndmask_b32_e64 v7, v13, v8, s2
	s_delay_alu instid0(VALU_DEP_3) | instskip(NEXT) | instid1(VALU_DEP_3)
	v_cndmask_b32_e64 v6, v10, v6, s2
	v_bfe_u32 v8, v0, 29, 1
	s_delay_alu instid0(VALU_DEP_3) | instskip(NEXT) | instid1(VALU_DEP_3)
	v_alignbit_b32 v5, v0, v7, 30
	v_alignbit_b32 v7, v7, v6, 30
	;; [unrolled: 1-line block ×3, first 2 shown]
	s_delay_alu instid0(VALU_DEP_4) | instskip(NEXT) | instid1(VALU_DEP_1)
	v_sub_nc_u32_e32 v9, 0, v8
	v_xor_b32_e32 v11, v5, v9
	v_cmp_ne_u32_e32 vcc_lo, v5, v9
	v_xor_b32_e32 v6, v7, v9
	v_xor_b32_e32 v2, v2, v9
	s_delay_alu instid0(VALU_DEP_4) | instskip(NEXT) | instid1(VALU_DEP_1)
	v_clz_i32_u32_e32 v12, v11
	v_add_nc_u32_e32 v10, 1, v12
	s_delay_alu instid0(VALU_DEP_1) | instskip(NEXT) | instid1(VALU_DEP_1)
	v_cndmask_b32_e32 v5, 33, v10, vcc_lo
	v_sub_nc_u32_e32 v7, 32, v5
	s_delay_alu instid0(VALU_DEP_1) | instskip(SKIP_2) | instid1(VALU_DEP_2)
	v_alignbit_b32 v9, v11, v6, v7
	v_alignbit_b32 v2, v6, v2, v7
	v_lshrrev_b32_e32 v6, 29, v0
	v_alignbit_b32 v7, v9, v2, 9
	s_delay_alu instid0(VALU_DEP_2) | instskip(SKIP_1) | instid1(VALU_DEP_3)
	v_lshlrev_b32_e32 v6, 31, v6
	v_alignbit_b32 v9, v5, v9, 9
	v_clz_i32_u32_e32 v10, v7
	s_delay_alu instid0(VALU_DEP_2) | instskip(SKIP_1) | instid1(VALU_DEP_3)
	v_or_b32_e32 v9, v9, v6
	v_or_b32_e32 v6, 0x33800000, v6
	v_min_u32_e32 v10, 32, v10
	s_delay_alu instid0(VALU_DEP_3) | instskip(NEXT) | instid1(VALU_DEP_2)
	v_xor_b32_e32 v9, 1.0, v9
	v_sub_nc_u32_e32 v11, 31, v10
	v_add_lshl_u32 v5, v10, v5, 23
	s_delay_alu instid0(VALU_DEP_3) | instskip(NEXT) | instid1(VALU_DEP_3)
	v_mul_f32_e32 v10, 0x3fc90fda, v9
	v_alignbit_b32 v2, v7, v2, v11
	s_delay_alu instid0(VALU_DEP_3) | instskip(NEXT) | instid1(VALU_DEP_3)
	v_sub_nc_u32_e32 v5, v6, v5
	v_fma_f32 v6, 0x3fc90fda, v9, -v10
	s_delay_alu instid0(VALU_DEP_3) | instskip(NEXT) | instid1(VALU_DEP_2)
	v_lshrrev_b32_e32 v2, 9, v2
	v_fmamk_f32 v6, v9, 0x33a22168, v6
	s_delay_alu instid0(VALU_DEP_2) | instskip(NEXT) | instid1(VALU_DEP_1)
	v_or_b32_e32 v2, v5, v2
	v_fmac_f32_e32 v6, 0x3fc90fda, v2
	v_lshrrev_b32_e32 v2, 30, v0
	s_delay_alu instid0(VALU_DEP_2) | instskip(NEXT) | instid1(VALU_DEP_2)
	v_add_f32_e32 v0, v10, v6
	v_add_nc_u32_e32 v2, v8, v2
	s_and_not1_saveexec_b32 s0, s8
	s_branch .LBB141_54
.LBB141_52:
	s_or_b32 exec_lo, exec_lo, s6
                                        ; implicit-def: $vgpr4
                                        ; implicit-def: $vgpr2
	s_and_not1_saveexec_b32 s0, s5
	s_cbranch_execnz .LBB141_61
	s_branch .LBB141_66
.LBB141_53:
	s_and_not1_saveexec_b32 s0, s8
.LBB141_54:
	v_mul_f32_e64 v0, 0x3f22f983, |v1|
	s_delay_alu instid0(VALU_DEP_1) | instskip(NEXT) | instid1(VALU_DEP_1)
	v_rndne_f32_e32 v2, v0
	v_fma_f32 v0, 0xbfc90fda, v2, |v1|
	s_delay_alu instid0(VALU_DEP_1) | instskip(NEXT) | instid1(VALU_DEP_1)
	v_fmamk_f32 v0, v2, 0xb3a22168, v0
	v_fmamk_f32 v0, v2, 0xa7c234c4, v0
	v_cvt_i32_f32_e32 v2, v2
; %bb.55:
	s_or_b32 exec_lo, exec_lo, s0
                                        ; implicit-def: $vgpr6
                                        ; implicit-def: $vgpr5
	s_and_saveexec_b32 s0, s7
	s_delay_alu instid0(SALU_CYCLE_1)
	s_xor_b32 s7, exec_lo, s0
	s_cbranch_execz .LBB141_57
; %bb.56:
	s_mov_b32 s0, 0x7fffff
	v_mov_b32_e32 v7, 0
	v_and_or_b32 v15, v3, s0, 0x800000
	v_lshrrev_b32_e32 v12, 23, v3
	s_delay_alu instid0(VALU_DEP_2) | instskip(NEXT) | instid1(VALU_DEP_2)
	v_mad_u64_u32 v[5:6], null, 0xfe5163ab, v15, 0
	v_add_nc_u32_e32 v13, 0xffffff88, v12
	s_delay_alu instid0(VALU_DEP_1) | instskip(NEXT) | instid1(VALU_DEP_3)
	v_cmp_lt_u32_e32 vcc_lo, 63, v13
	v_mad_u64_u32 v[8:9], null, 0x3c439041, v15, v[6:7]
	v_cndmask_b32_e64 v14, 0, 0xffffffc0, vcc_lo
	s_delay_alu instid0(VALU_DEP_2) | instskip(NEXT) | instid1(VALU_DEP_2)
	v_mov_b32_e32 v6, v9
	v_add_nc_u32_e32 v14, v14, v13
	s_delay_alu instid0(VALU_DEP_2) | instskip(NEXT) | instid1(VALU_DEP_2)
	v_mad_u64_u32 v[9:10], null, 0xdb629599, v15, v[6:7]
	v_cmp_lt_u32_e64 s0, 31, v14
	s_delay_alu instid0(VALU_DEP_1) | instskip(NEXT) | instid1(VALU_DEP_3)
	v_cndmask_b32_e64 v16, 0, 0xffffffe0, s0
	v_dual_mov_b32 v6, v10 :: v_dual_cndmask_b32 v5, v9, v5
	s_delay_alu instid0(VALU_DEP_2) | instskip(NEXT) | instid1(VALU_DEP_2)
	v_add_nc_u32_e32 v16, v16, v14
	v_mad_u64_u32 v[10:11], null, 0xf534ddc0, v15, v[6:7]
	s_delay_alu instid0(VALU_DEP_2) | instskip(NEXT) | instid1(VALU_DEP_2)
	v_cmp_lt_u32_e64 s1, 31, v16
	v_mov_b32_e32 v6, v11
	s_delay_alu instid0(VALU_DEP_3) | instskip(NEXT) | instid1(VALU_DEP_2)
	v_cndmask_b32_e32 v8, v10, v8, vcc_lo
	v_mad_u64_u32 v[11:12], null, 0xfc2757d1, v15, v[6:7]
	s_delay_alu instid0(VALU_DEP_2) | instskip(NEXT) | instid1(VALU_DEP_2)
	v_cndmask_b32_e64 v5, v8, v5, s0
	v_mov_b32_e32 v6, v12
	s_delay_alu instid0(VALU_DEP_1) | instskip(NEXT) | instid1(VALU_DEP_1)
	v_mad_u64_u32 v[12:13], null, 0x4e441529, v15, v[6:7]
	v_mov_b32_e32 v6, v13
	s_delay_alu instid0(VALU_DEP_1) | instskip(SKIP_1) | instid1(VALU_DEP_1)
	v_mad_u64_u32 v[13:14], null, 0xa2f9836e, v15, v[6:7]
	v_cndmask_b32_e64 v6, 0, 0xffffffe0, s1
	v_dual_cndmask_b32 v7, v12, v10 :: v_dual_add_nc_u32 v6, v6, v16
	s_delay_alu instid0(VALU_DEP_3) | instskip(NEXT) | instid1(VALU_DEP_4)
	v_cndmask_b32_e32 v13, v13, v11, vcc_lo
	v_dual_cndmask_b32 v11, v11, v9 :: v_dual_cndmask_b32 v12, v14, v12
	s_delay_alu instid0(VALU_DEP_3) | instskip(NEXT) | instid1(VALU_DEP_3)
	v_cmp_eq_u32_e64 s2, 0, v6
	v_cndmask_b32_e64 v10, v13, v7, s0
	s_delay_alu instid0(VALU_DEP_3) | instskip(NEXT) | instid1(VALU_DEP_4)
	v_cndmask_b32_e64 v7, v7, v11, s0
	v_cndmask_b32_e64 v12, v12, v13, s0
	v_sub_nc_u32_e32 v13, 32, v6
	v_cndmask_b32_e64 v11, v11, v8, s0
	s_delay_alu instid0(VALU_DEP_3) | instskip(SKIP_1) | instid1(VALU_DEP_3)
	v_cndmask_b32_e64 v12, v12, v10, s1
	v_cndmask_b32_e64 v10, v10, v7, s1
	;; [unrolled: 1-line block ×4, first 2 shown]
	s_delay_alu instid0(VALU_DEP_3) | instskip(NEXT) | instid1(VALU_DEP_3)
	v_alignbit_b32 v14, v12, v10, v13
	v_alignbit_b32 v15, v10, v7, v13
	s_delay_alu instid0(VALU_DEP_3) | instskip(NEXT) | instid1(VALU_DEP_3)
	v_alignbit_b32 v13, v7, v5, v13
	v_cndmask_b32_e64 v6, v14, v12, s2
	s_delay_alu instid0(VALU_DEP_3) | instskip(NEXT) | instid1(VALU_DEP_3)
	v_cndmask_b32_e64 v9, v15, v10, s2
	v_cndmask_b32_e64 v7, v13, v7, s2
	s_delay_alu instid0(VALU_DEP_3) | instskip(NEXT) | instid1(VALU_DEP_3)
	v_bfe_u32 v10, v6, 29, 1
	v_alignbit_b32 v8, v6, v9, 30
	s_delay_alu instid0(VALU_DEP_3) | instskip(SKIP_1) | instid1(VALU_DEP_4)
	v_alignbit_b32 v9, v9, v7, 30
	v_alignbit_b32 v5, v7, v5, 30
	v_sub_nc_u32_e32 v12, 0, v10
	s_delay_alu instid0(VALU_DEP_1) | instskip(SKIP_3) | instid1(VALU_DEP_4)
	v_xor_b32_e32 v11, v8, v12
	v_cmp_ne_u32_e32 vcc_lo, v8, v12
	v_xor_b32_e32 v7, v9, v12
	v_xor_b32_e32 v5, v5, v12
	v_clz_i32_u32_e32 v14, v11
	s_delay_alu instid0(VALU_DEP_1) | instskip(NEXT) | instid1(VALU_DEP_1)
	v_add_nc_u32_e32 v13, 1, v14
	v_cndmask_b32_e32 v8, 33, v13, vcc_lo
	s_delay_alu instid0(VALU_DEP_1) | instskip(NEXT) | instid1(VALU_DEP_1)
	v_sub_nc_u32_e32 v9, 32, v8
	v_alignbit_b32 v11, v11, v7, v9
	v_alignbit_b32 v5, v7, v5, v9
	v_lshrrev_b32_e32 v7, 29, v6
	v_lshrrev_b32_e32 v6, 30, v6
	s_delay_alu instid0(VALU_DEP_3) | instskip(NEXT) | instid1(VALU_DEP_3)
	v_alignbit_b32 v9, v11, v5, 9
	v_lshlrev_b32_e32 v7, 31, v7
	v_alignbit_b32 v11, v8, v11, 9
	s_delay_alu instid0(VALU_DEP_4) | instskip(NEXT) | instid1(VALU_DEP_4)
	v_add_nc_u32_e32 v6, v10, v6
	v_clz_i32_u32_e32 v12, v9
	s_delay_alu instid0(VALU_DEP_3) | instskip(SKIP_1) | instid1(VALU_DEP_3)
	v_or_b32_e32 v11, v11, v7
	v_or_b32_e32 v7, 0x33800000, v7
	v_min_u32_e32 v12, 32, v12
	s_delay_alu instid0(VALU_DEP_3) | instskip(NEXT) | instid1(VALU_DEP_2)
	v_xor_b32_e32 v11, 1.0, v11
	v_sub_nc_u32_e32 v13, 31, v12
	v_add_lshl_u32 v8, v12, v8, 23
	s_delay_alu instid0(VALU_DEP_3) | instskip(NEXT) | instid1(VALU_DEP_3)
	v_mul_f32_e32 v12, 0x3fc90fda, v11
	v_alignbit_b32 v5, v9, v5, v13
	s_delay_alu instid0(VALU_DEP_3) | instskip(NEXT) | instid1(VALU_DEP_3)
	v_sub_nc_u32_e32 v7, v7, v8
	v_fma_f32 v8, 0x3fc90fda, v11, -v12
	s_delay_alu instid0(VALU_DEP_3) | instskip(NEXT) | instid1(VALU_DEP_2)
	v_lshrrev_b32_e32 v5, 9, v5
	v_fmamk_f32 v8, v11, 0x33a22168, v8
	s_delay_alu instid0(VALU_DEP_2) | instskip(NEXT) | instid1(VALU_DEP_1)
	v_or_b32_e32 v5, v7, v5
	v_fmac_f32_e32 v8, 0x3fc90fda, v5
	s_delay_alu instid0(VALU_DEP_1)
	v_add_f32_e32 v5, v12, v8
	s_and_not1_saveexec_b32 s0, s7
	s_cbranch_execnz .LBB141_58
	s_branch .LBB141_59
.LBB141_57:
	s_and_not1_saveexec_b32 s0, s7
.LBB141_58:
	v_mul_f32_e64 v5, 0x3f22f983, |v1|
	s_delay_alu instid0(VALU_DEP_1) | instskip(NEXT) | instid1(VALU_DEP_1)
	v_rndne_f32_e32 v6, v5
	v_fma_f32 v5, 0xbfc90fda, v6, |v1|
	s_delay_alu instid0(VALU_DEP_1) | instskip(NEXT) | instid1(VALU_DEP_1)
	v_fmamk_f32 v5, v6, 0xb3a22168, v5
	v_fmamk_f32 v5, v6, 0xa7c234c4, v5
	v_cvt_i32_f32_e32 v6, v6
.LBB141_59:
	s_or_b32 exec_lo, exec_lo, s0
	v_add_f32_e32 v4, 0xc322e3bc, v4
	v_mul_f32_e32 v10, v0, v0
	s_mov_b32 s0, 0x37d75334
	s_mov_b32 s1, 0xb94c1982
	v_mul_f32_e32 v11, v5, v5
	v_mul_f32_e32 v7, 0x3fb8aa3b, v4
	s_delay_alu instid0(VALU_DEP_2) | instskip(NEXT) | instid1(VALU_DEP_2)
	v_fmaak_f32 v14, s1, v11, 0x3c0881c4
	v_fma_f32 v8, 0x3fb8aa3b, v4, -v7
	v_rndne_f32_e32 v9, v7
	s_delay_alu instid0(VALU_DEP_3) | instskip(NEXT) | instid1(VALU_DEP_2)
	v_fmaak_f32 v14, v11, v14, 0xbe2aaa9d
	v_dual_sub_f32 v7, v7, v9 :: v_dual_fmamk_f32 v8, v4, 0x32a5705f, v8
	v_cvt_i32_f32_e32 v9, v9
	v_cmp_ngt_f32_e32 vcc_lo, 0xc2ce8ed0, v4
	s_delay_alu instid0(VALU_DEP_4) | instskip(NEXT) | instid1(VALU_DEP_4)
	v_mul_f32_e32 v14, v11, v14
	v_dual_add_f32 v7, v7, v8 :: v_dual_lshlrev_b32 v8, 30, v2
	v_and_b32_e32 v2, 1, v2
	s_delay_alu instid0(VALU_DEP_3) | instskip(NEXT) | instid1(VALU_DEP_3)
	v_fmac_f32_e32 v5, v5, v14
	v_exp_f32_e32 v7, v7
	s_delay_alu instid0(VALU_DEP_3)
	v_and_b32_e32 v8, 0x80000000, v8
	s_waitcnt_depctr 0xfff
	v_ldexp_f32 v7, v7, v9
	v_and_b32_e32 v9, 1, v6
	v_lshlrev_b32_e32 v6, 30, v6
	v_fmaak_f32 v12, s0, v10, 0xbab64f3b
	v_fmaak_f32 v13, s1, v10, 0x3c0881c4
	v_cndmask_b32_e32 v7, 0, v7, vcc_lo
	v_cmp_nlt_f32_e32 vcc_lo, 0x42b17218, v4
	v_and_or_b32 v3, 0x80000000, v6, v3
	s_delay_alu instid0(VALU_DEP_3)
	v_cndmask_b32_e32 v4, 0x7f800000, v7, vcc_lo
	v_fmaak_f32 v7, s0, v11, 0xbab64f3b
	v_fmaak_f32 v6, v10, v12, 0x3d2aabf7
	;; [unrolled: 1-line block ×3, first 2 shown]
	v_cmp_eq_u32_e32 vcc_lo, 0, v2
	s_mov_b32 s0, 0x7fffff
	v_fmaak_f32 v7, v11, v7, 0x3d2aabf7
	s_delay_alu instid0(VALU_DEP_1) | instskip(NEXT) | instid1(VALU_DEP_1)
	v_dual_fmaak_f32 v6, v10, v6, 0xbf000004 :: v_dual_fmaak_f32 v7, v11, v7, 0xbf000004
	v_fma_f32 v6, v10, v6, 1.0
	s_delay_alu instid0(VALU_DEP_2) | instskip(SKIP_1) | instid1(VALU_DEP_1)
	v_fma_f32 v7, v11, v7, 1.0
	v_mul_f32_e32 v12, v10, v12
	v_fmac_f32_e32 v0, v0, v12
	s_delay_alu instid0(VALU_DEP_1) | instskip(SKIP_1) | instid1(VALU_DEP_2)
	v_cndmask_b32_e64 v0, -v0, v6, vcc_lo
	v_cmp_eq_u32_e32 vcc_lo, 0, v9
	v_xor_b32_e32 v0, v8, v0
	v_cndmask_b32_e32 v5, v7, v5, vcc_lo
	v_cmp_class_f32_e64 vcc_lo, v1, 0x1f8
	s_delay_alu instid0(VALU_DEP_2) | instskip(NEXT) | instid1(VALU_DEP_4)
	v_xor3_b32 v3, v3, v5, v1
	v_cndmask_b32_e32 v0, 0x7fc00000, v0, vcc_lo
	v_and_or_b32 v1, v4, s0, 0x7f000000
	s_delay_alu instid0(VALU_DEP_1) | instskip(NEXT) | instid1(VALU_DEP_1)
	v_dual_cndmask_b32 v3, 0x7fc00000, v3 :: v_dual_mul_f32 v0, v0, v1
	v_mul_f32_e32 v1, v3, v1
	v_lshrrev_b32_e32 v13, 23, v4
	s_delay_alu instid0(VALU_DEP_1) | instskip(NEXT) | instid1(VALU_DEP_1)
	v_subrev_nc_u32_e32 v13, 19, v13
	v_lshrrev_b16 v10, 15, v13
	s_delay_alu instid0(VALU_DEP_1) | instskip(NEXT) | instid1(VALU_DEP_1)
	v_add_nc_u16 v2, v13, v10
	v_ashrrev_i16 v2, 1, v2
	s_delay_alu instid0(VALU_DEP_1) | instskip(NEXT) | instid1(VALU_DEP_1)
	v_bfe_i32 v2, v2, 0, 16
	v_lshl_add_u32 v4, v2, 23, 1.0
	v_sub_nc_u32_e32 v2, v13, v2
	s_delay_alu instid0(VALU_DEP_2) | instskip(NEXT) | instid1(VALU_DEP_2)
	v_mul_f32_e32 v0, v0, v4
	v_lshl_add_u32 v2, v2, 23, 1.0
	s_delay_alu instid0(VALU_DEP_1) | instskip(NEXT) | instid1(VALU_DEP_1)
	v_dual_mul_f32 v1, v1, v4 :: v_dual_mul_f32 v0, v0, v2
	v_mul_f32_e32 v1, v1, v2
	s_or_b32 exec_lo, exec_lo, s6
                                        ; implicit-def: $vgpr4
                                        ; implicit-def: $vgpr2
.LBB141_60:
	s_and_not1_saveexec_b32 s0, s5
	s_cbranch_execz .LBB141_66
.LBB141_61:
	s_delay_alu instid0(VALU_DEP_1)
	v_sub_f32_e32 v1, v1, v1
	s_mov_b32 s1, exec_lo
	v_cmpx_ne_u32_e32 0x7f800000, v2
	s_xor_b32 s1, exec_lo, s1
; %bb.62:
                                        ; implicit-def: $vgpr4
; %bb.63:
	s_delay_alu instid0(SALU_CYCLE_1)
	s_or_saveexec_b32 s1, s1
	v_mov_b32_e32 v0, v1
	s_xor_b32 exec_lo, exec_lo, s1
; %bb.64:
	v_cmp_lt_i32_e32 vcc_lo, -1, v4
	v_dual_cndmask_b32 v0, 0, v4 :: v_dual_cndmask_b32 v1, 0, v1
; %bb.65:
	s_or_b32 exec_lo, exec_lo, s1
.LBB141_66:
	s_delay_alu instid0(SALU_CYCLE_1)
	s_or_b32 exec_lo, exec_lo, s0
                                        ; implicit-def: $vgpr3
.LBB141_67:
	s_and_not1_saveexec_b32 s4, s4
	s_cbranch_execz .LBB141_77
; %bb.68:
	v_cmp_ngt_f32_e64 s5, 0x48000000, |v1|
	v_lshrrev_b32_e32 v4, 23, v3
                                        ; implicit-def: $vgpr2
                                        ; implicit-def: $vgpr0
	s_delay_alu instid0(VALU_DEP_2) | instskip(NEXT) | instid1(SALU_CYCLE_1)
	s_and_saveexec_b32 s0, s5
	s_xor_b32 s6, exec_lo, s0
	s_cbranch_execz .LBB141_70
; %bb.69:
	s_mov_b32 s0, 0x7fffff
	v_mov_b32_e32 v7, 0
	v_and_or_b32 v0, v3, s0, 0x800000
	s_delay_alu instid0(VALU_DEP_1) | instskip(NEXT) | instid1(VALU_DEP_1)
	v_mad_u64_u32 v[5:6], null, 0xfe5163ab, v0, 0
	v_mad_u64_u32 v[8:9], null, 0x3c439041, v0, v[6:7]
	s_delay_alu instid0(VALU_DEP_1) | instskip(NEXT) | instid1(VALU_DEP_1)
	v_mov_b32_e32 v6, v9
	v_mad_u64_u32 v[9:10], null, 0xdb629599, v0, v[6:7]
	v_add_nc_u32_e32 v2, 0xffffff88, v4
	s_delay_alu instid0(VALU_DEP_1) | instskip(NEXT) | instid1(VALU_DEP_3)
	v_cmp_lt_u32_e32 vcc_lo, 63, v2
	v_mov_b32_e32 v6, v10
	v_cndmask_b32_e64 v13, 0, 0xffffffc0, vcc_lo
	s_delay_alu instid0(VALU_DEP_2) | instskip(SKIP_1) | instid1(VALU_DEP_3)
	v_mad_u64_u32 v[10:11], null, 0xf534ddc0, v0, v[6:7]
	v_cndmask_b32_e32 v5, v9, v5, vcc_lo
	v_add_nc_u32_e32 v2, v13, v2
	s_delay_alu instid0(VALU_DEP_3) | instskip(NEXT) | instid1(VALU_DEP_2)
	v_mov_b32_e32 v6, v11
	v_cmp_lt_u32_e64 s0, 31, v2
	s_delay_alu instid0(VALU_DEP_2) | instskip(NEXT) | instid1(VALU_DEP_2)
	v_mad_u64_u32 v[11:12], null, 0xfc2757d1, v0, v[6:7]
	v_cndmask_b32_e64 v14, 0, 0xffffffe0, s0
	s_delay_alu instid0(VALU_DEP_1) | instskip(NEXT) | instid1(VALU_DEP_3)
	v_add_nc_u32_e32 v2, v14, v2
	v_mov_b32_e32 v6, v12
	s_delay_alu instid0(VALU_DEP_2) | instskip(NEXT) | instid1(VALU_DEP_2)
	v_cmp_lt_u32_e64 s1, 31, v2
	v_mad_u64_u32 v[12:13], null, 0x4e441529, v0, v[6:7]
	s_delay_alu instid0(VALU_DEP_1) | instskip(NEXT) | instid1(VALU_DEP_1)
	v_mov_b32_e32 v6, v13
	v_mad_u64_u32 v[13:14], null, 0xa2f9836e, v0, v[6:7]
	s_delay_alu instid0(VALU_DEP_4) | instskip(NEXT) | instid1(VALU_DEP_4)
	v_cndmask_b32_e64 v0, 0, 0xffffffe0, s1
	v_cndmask_b32_e32 v6, v12, v10, vcc_lo
	s_delay_alu instid0(VALU_DEP_2) | instskip(NEXT) | instid1(VALU_DEP_4)
	v_dual_cndmask_b32 v7, v13, v11 :: v_dual_add_nc_u32 v0, v0, v2
	v_dual_cndmask_b32 v12, v14, v12 :: v_dual_cndmask_b32 v11, v11, v9
	v_cndmask_b32_e32 v2, v10, v8, vcc_lo
	s_delay_alu instid0(VALU_DEP_3) | instskip(NEXT) | instid1(VALU_DEP_4)
	v_sub_nc_u32_e32 v10, 32, v0
	v_cndmask_b32_e64 v8, v7, v6, s0
	s_delay_alu instid0(VALU_DEP_4)
	v_cndmask_b32_e64 v7, v12, v7, s0
	v_cndmask_b32_e64 v6, v6, v11, s0
	;; [unrolled: 1-line block ×3, first 2 shown]
	v_cmp_eq_u32_e64 s2, 0, v0
	v_cndmask_b32_e64 v2, v2, v5, s0
	v_cndmask_b32_e64 v7, v7, v8, s1
	;; [unrolled: 1-line block ×4, first 2 shown]
	s_delay_alu instid0(VALU_DEP_4) | instskip(NEXT) | instid1(VALU_DEP_3)
	v_cndmask_b32_e64 v2, v11, v2, s1
	v_alignbit_b32 v12, v7, v8, v10
	s_delay_alu instid0(VALU_DEP_3) | instskip(NEXT) | instid1(VALU_DEP_3)
	v_alignbit_b32 v13, v8, v6, v10
	v_alignbit_b32 v10, v6, v2, v10
	s_delay_alu instid0(VALU_DEP_3) | instskip(NEXT) | instid1(VALU_DEP_3)
	v_cndmask_b32_e64 v0, v12, v7, s2
	v_cndmask_b32_e64 v7, v13, v8, s2
	s_delay_alu instid0(VALU_DEP_3) | instskip(NEXT) | instid1(VALU_DEP_3)
	v_cndmask_b32_e64 v6, v10, v6, s2
	v_bfe_u32 v8, v0, 29, 1
	s_delay_alu instid0(VALU_DEP_3) | instskip(NEXT) | instid1(VALU_DEP_3)
	v_alignbit_b32 v5, v0, v7, 30
	v_alignbit_b32 v7, v7, v6, 30
	;; [unrolled: 1-line block ×3, first 2 shown]
	s_delay_alu instid0(VALU_DEP_4) | instskip(NEXT) | instid1(VALU_DEP_1)
	v_sub_nc_u32_e32 v9, 0, v8
	v_xor_b32_e32 v11, v5, v9
	v_cmp_ne_u32_e32 vcc_lo, v5, v9
	v_xor_b32_e32 v6, v7, v9
	v_xor_b32_e32 v2, v2, v9
	s_delay_alu instid0(VALU_DEP_4) | instskip(NEXT) | instid1(VALU_DEP_1)
	v_clz_i32_u32_e32 v12, v11
	v_add_nc_u32_e32 v10, 1, v12
	s_delay_alu instid0(VALU_DEP_1) | instskip(NEXT) | instid1(VALU_DEP_1)
	v_cndmask_b32_e32 v5, 33, v10, vcc_lo
	v_sub_nc_u32_e32 v7, 32, v5
	s_delay_alu instid0(VALU_DEP_1) | instskip(SKIP_2) | instid1(VALU_DEP_2)
	v_alignbit_b32 v9, v11, v6, v7
	v_alignbit_b32 v2, v6, v2, v7
	v_lshrrev_b32_e32 v6, 29, v0
	v_alignbit_b32 v7, v9, v2, 9
	s_delay_alu instid0(VALU_DEP_2) | instskip(SKIP_1) | instid1(VALU_DEP_3)
	v_lshlrev_b32_e32 v6, 31, v6
	v_alignbit_b32 v9, v5, v9, 9
	v_clz_i32_u32_e32 v10, v7
	s_delay_alu instid0(VALU_DEP_2) | instskip(SKIP_1) | instid1(VALU_DEP_3)
	v_or_b32_e32 v9, v9, v6
	v_or_b32_e32 v6, 0x33800000, v6
	v_min_u32_e32 v10, 32, v10
	s_delay_alu instid0(VALU_DEP_3) | instskip(NEXT) | instid1(VALU_DEP_2)
	v_xor_b32_e32 v9, 1.0, v9
	v_sub_nc_u32_e32 v11, 31, v10
	v_add_lshl_u32 v5, v10, v5, 23
	s_delay_alu instid0(VALU_DEP_3) | instskip(NEXT) | instid1(VALU_DEP_3)
	v_mul_f32_e32 v10, 0x3fc90fda, v9
	v_alignbit_b32 v2, v7, v2, v11
	s_delay_alu instid0(VALU_DEP_3) | instskip(NEXT) | instid1(VALU_DEP_3)
	v_sub_nc_u32_e32 v5, v6, v5
	v_fma_f32 v6, 0x3fc90fda, v9, -v10
	s_delay_alu instid0(VALU_DEP_3) | instskip(NEXT) | instid1(VALU_DEP_2)
	v_lshrrev_b32_e32 v2, 9, v2
	v_fmamk_f32 v6, v9, 0x33a22168, v6
	s_delay_alu instid0(VALU_DEP_2) | instskip(NEXT) | instid1(VALU_DEP_1)
	v_or_b32_e32 v2, v5, v2
	v_fmac_f32_e32 v6, 0x3fc90fda, v2
	v_lshrrev_b32_e32 v2, 30, v0
	s_delay_alu instid0(VALU_DEP_2) | instskip(NEXT) | instid1(VALU_DEP_2)
	v_add_f32_e32 v0, v10, v6
	v_add_nc_u32_e32 v2, v8, v2
	s_or_saveexec_b32 s0, s6
	v_mul_f32_e64 v7, 0x3f22f983, |v1|
	s_xor_b32 exec_lo, exec_lo, s0
	s_branch .LBB141_71
.LBB141_70:
	s_or_saveexec_b32 s0, s6
	v_mul_f32_e64 v7, 0x3f22f983, |v1|
	s_xor_b32 exec_lo, exec_lo, s0
.LBB141_71:
	s_delay_alu instid0(VALU_DEP_1) | instskip(NEXT) | instid1(VALU_DEP_1)
	v_rndne_f32_e32 v2, v7
	v_fma_f32 v0, 0xbfc90fda, v2, |v1|
	s_delay_alu instid0(VALU_DEP_1) | instskip(NEXT) | instid1(VALU_DEP_1)
	v_fmamk_f32 v0, v2, 0xb3a22168, v0
	v_fmamk_f32 v0, v2, 0xa7c234c4, v0
	v_cvt_i32_f32_e32 v2, v2
; %bb.72:
	s_or_b32 exec_lo, exec_lo, s0
                                        ; implicit-def: $vgpr6
                                        ; implicit-def: $vgpr5
	s_and_saveexec_b32 s0, s5
	s_delay_alu instid0(SALU_CYCLE_1)
	s_xor_b32 s5, exec_lo, s0
	s_cbranch_execz .LBB141_74
; %bb.73:
	s_mov_b32 s0, 0x7fffff
	v_mov_b32_e32 v7, 0
	v_and_or_b32 v15, v3, s0, 0x800000
	s_delay_alu instid0(VALU_DEP_1) | instskip(NEXT) | instid1(VALU_DEP_1)
	v_mad_u64_u32 v[5:6], null, 0xfe5163ab, v15, 0
	v_mad_u64_u32 v[8:9], null, 0x3c439041, v15, v[6:7]
	s_delay_alu instid0(VALU_DEP_1) | instskip(NEXT) | instid1(VALU_DEP_1)
	v_mov_b32_e32 v6, v9
	v_mad_u64_u32 v[9:10], null, 0xdb629599, v15, v[6:7]
	v_add_nc_u32_e32 v4, 0xffffff88, v4
	s_delay_alu instid0(VALU_DEP_1) | instskip(NEXT) | instid1(VALU_DEP_3)
	v_cmp_lt_u32_e32 vcc_lo, 63, v4
	v_mov_b32_e32 v6, v10
	v_cndmask_b32_e64 v13, 0, 0xffffffc0, vcc_lo
	s_delay_alu instid0(VALU_DEP_2) | instskip(SKIP_1) | instid1(VALU_DEP_3)
	v_mad_u64_u32 v[10:11], null, 0xf534ddc0, v15, v[6:7]
	v_cndmask_b32_e32 v5, v9, v5, vcc_lo
	v_add_nc_u32_e32 v4, v13, v4
	s_delay_alu instid0(VALU_DEP_3) | instskip(NEXT) | instid1(VALU_DEP_2)
	v_mov_b32_e32 v6, v11
	v_cmp_lt_u32_e64 s0, 31, v4
	s_delay_alu instid0(VALU_DEP_2) | instskip(NEXT) | instid1(VALU_DEP_2)
	v_mad_u64_u32 v[11:12], null, 0xfc2757d1, v15, v[6:7]
	v_cndmask_b32_e64 v14, 0, 0xffffffe0, s0
	s_delay_alu instid0(VALU_DEP_1) | instskip(NEXT) | instid1(VALU_DEP_3)
	v_add_nc_u32_e32 v4, v14, v4
	v_mov_b32_e32 v6, v12
	s_delay_alu instid0(VALU_DEP_2) | instskip(NEXT) | instid1(VALU_DEP_2)
	v_cmp_lt_u32_e64 s1, 31, v4
	v_mad_u64_u32 v[12:13], null, 0x4e441529, v15, v[6:7]
	s_delay_alu instid0(VALU_DEP_1) | instskip(NEXT) | instid1(VALU_DEP_1)
	v_mov_b32_e32 v6, v13
	v_mad_u64_u32 v[13:14], null, 0xa2f9836e, v15, v[6:7]
	s_delay_alu instid0(VALU_DEP_4) | instskip(NEXT) | instid1(VALU_DEP_1)
	v_cndmask_b32_e64 v6, 0, 0xffffffe0, s1
	v_dual_cndmask_b32 v7, v12, v10 :: v_dual_add_nc_u32 v4, v6, v4
	s_delay_alu instid0(VALU_DEP_3) | instskip(SKIP_1) | instid1(VALU_DEP_3)
	v_dual_cndmask_b32 v13, v13, v11 :: v_dual_cndmask_b32 v12, v14, v12
	v_dual_cndmask_b32 v11, v11, v9 :: v_dual_cndmask_b32 v6, v10, v8
	v_cmp_eq_u32_e64 s2, 0, v4
	s_delay_alu instid0(VALU_DEP_3) | instskip(NEXT) | instid1(VALU_DEP_4)
	v_cndmask_b32_e64 v8, v13, v7, s0
	v_cndmask_b32_e64 v10, v12, v13, s0
	s_delay_alu instid0(VALU_DEP_4)
	v_cndmask_b32_e64 v7, v7, v11, s0
	v_sub_nc_u32_e32 v12, 32, v4
	v_cndmask_b32_e64 v11, v11, v6, s0
	v_cndmask_b32_e64 v5, v6, v5, s0
	v_cndmask_b32_e64 v10, v10, v8, s1
	v_cndmask_b32_e64 v8, v8, v7, s1
	s_delay_alu instid0(VALU_DEP_4) | instskip(NEXT) | instid1(VALU_DEP_4)
	v_cndmask_b32_e64 v7, v7, v11, s1
	v_cndmask_b32_e64 v5, v11, v5, s1
	s_delay_alu instid0(VALU_DEP_3) | instskip(NEXT) | instid1(VALU_DEP_3)
	v_alignbit_b32 v13, v10, v8, v12
	v_alignbit_b32 v14, v8, v7, v12
	s_delay_alu instid0(VALU_DEP_3) | instskip(NEXT) | instid1(VALU_DEP_3)
	v_alignbit_b32 v12, v7, v5, v12
	v_cndmask_b32_e64 v4, v13, v10, s2
	s_delay_alu instid0(VALU_DEP_3) | instskip(NEXT) | instid1(VALU_DEP_3)
	v_cndmask_b32_e64 v8, v14, v8, s2
	v_cndmask_b32_e64 v7, v12, v7, s2
	s_delay_alu instid0(VALU_DEP_3) | instskip(NEXT) | instid1(VALU_DEP_3)
	v_bfe_u32 v9, v4, 29, 1
	v_alignbit_b32 v6, v4, v8, 30
	s_delay_alu instid0(VALU_DEP_3) | instskip(SKIP_1) | instid1(VALU_DEP_4)
	v_alignbit_b32 v8, v8, v7, 30
	v_alignbit_b32 v5, v7, v5, 30
	v_sub_nc_u32_e32 v10, 0, v9
	s_delay_alu instid0(VALU_DEP_1) | instskip(SKIP_3) | instid1(VALU_DEP_4)
	v_xor_b32_e32 v11, v6, v10
	v_cmp_ne_u32_e32 vcc_lo, v6, v10
	v_xor_b32_e32 v7, v8, v10
	v_xor_b32_e32 v5, v5, v10
	v_clz_i32_u32_e32 v13, v11
	s_delay_alu instid0(VALU_DEP_1) | instskip(NEXT) | instid1(VALU_DEP_1)
	v_add_nc_u32_e32 v12, 1, v13
	v_cndmask_b32_e32 v6, 33, v12, vcc_lo
	s_delay_alu instid0(VALU_DEP_1) | instskip(NEXT) | instid1(VALU_DEP_1)
	v_sub_nc_u32_e32 v8, 32, v6
	v_alignbit_b32 v10, v11, v7, v8
	v_alignbit_b32 v5, v7, v5, v8
	v_lshrrev_b32_e32 v7, 29, v4
	v_lshrrev_b32_e32 v4, 30, v4
	s_delay_alu instid0(VALU_DEP_3) | instskip(NEXT) | instid1(VALU_DEP_3)
	v_alignbit_b32 v8, v10, v5, 9
	v_lshlrev_b32_e32 v7, 31, v7
	v_alignbit_b32 v10, v6, v10, 9
	s_delay_alu instid0(VALU_DEP_3) | instskip(NEXT) | instid1(VALU_DEP_2)
	v_clz_i32_u32_e32 v11, v8
	v_or_b32_e32 v10, v10, v7
	v_or_b32_e32 v7, 0x33800000, v7
	s_delay_alu instid0(VALU_DEP_3) | instskip(NEXT) | instid1(VALU_DEP_3)
	v_min_u32_e32 v11, 32, v11
	v_xor_b32_e32 v10, 1.0, v10
	s_delay_alu instid0(VALU_DEP_2) | instskip(SKIP_1) | instid1(VALU_DEP_3)
	v_sub_nc_u32_e32 v12, 31, v11
	v_add_lshl_u32 v6, v11, v6, 23
	v_mul_f32_e32 v11, 0x3fc90fda, v10
	s_delay_alu instid0(VALU_DEP_3) | instskip(NEXT) | instid1(VALU_DEP_3)
	v_alignbit_b32 v5, v8, v5, v12
	v_sub_nc_u32_e32 v6, v7, v6
	s_delay_alu instid0(VALU_DEP_3) | instskip(NEXT) | instid1(VALU_DEP_3)
	v_fma_f32 v7, 0x3fc90fda, v10, -v11
	v_lshrrev_b32_e32 v5, 9, v5
	s_delay_alu instid0(VALU_DEP_2) | instskip(NEXT) | instid1(VALU_DEP_2)
	v_fmamk_f32 v7, v10, 0x33a22168, v7
	v_or_b32_e32 v5, v6, v5
	s_delay_alu instid0(VALU_DEP_1) | instskip(NEXT) | instid1(VALU_DEP_1)
	v_dual_fmac_f32 v7, 0x3fc90fda, v5 :: v_dual_add_nc_u32 v6, v9, v4
	v_add_f32_e32 v5, v11, v7
                                        ; implicit-def: $vgpr7
	s_and_not1_saveexec_b32 s0, s5
	s_cbranch_execnz .LBB141_75
	s_branch .LBB141_76
.LBB141_74:
	s_and_not1_saveexec_b32 s0, s5
.LBB141_75:
	v_rndne_f32_e32 v4, v7
	s_delay_alu instid0(VALU_DEP_1) | instskip(SKIP_1) | instid1(VALU_DEP_2)
	v_fma_f32 v5, 0xbfc90fda, v4, |v1|
	v_cvt_i32_f32_e32 v6, v4
	v_fmamk_f32 v5, v4, 0xb3a22168, v5
	s_delay_alu instid0(VALU_DEP_1)
	v_fmamk_f32 v5, v4, 0xa7c234c4, v5
.LBB141_76:
	s_or_b32 exec_lo, exec_lo, s0
	s_delay_alu instid0(VALU_DEP_1) | instskip(SKIP_3) | instid1(VALU_DEP_2)
	v_dual_mul_f32 v4, v0, v0 :: v_dual_mul_f32 v7, v5, v5
	s_mov_b32 s0, 0xb94c1982
	s_mov_b32 s1, 0x37d75334
	v_and_b32_e32 v10, 1, v2
	v_dual_fmaak_f32 v8, s0, v4, 0x3c0881c4 :: v_dual_fmaak_f32 v11, s0, v7, 0x3c0881c4
	v_dual_fmaak_f32 v9, s1, v4, 0xbab64f3b :: v_dual_fmaak_f32 v12, s1, v7, 0xbab64f3b
	s_delay_alu instid0(VALU_DEP_2) | instskip(NEXT) | instid1(VALU_DEP_3)
	v_dual_fmaak_f32 v8, v4, v8, 0xbe2aaa9d :: v_dual_and_b32 v13, 1, v6
	v_fmaak_f32 v11, v7, v11, 0xbe2aaa9d
	s_delay_alu instid0(VALU_DEP_3) | instskip(SKIP_1) | instid1(VALU_DEP_3)
	v_dual_fmaak_f32 v9, v4, v9, 0x3d2aabf7 :: v_dual_lshlrev_b32 v2, 30, v2
	v_cmp_eq_u32_e32 vcc_lo, 0, v10
	v_dual_mul_f32 v8, v4, v8 :: v_dual_mul_f32 v11, v7, v11
	v_fmaak_f32 v12, v7, v12, 0x3d2aabf7
	v_lshlrev_b32_e32 v6, 30, v6
	v_and_b32_e32 v2, 0x80000000, v2
	s_delay_alu instid0(VALU_DEP_4) | instskip(NEXT) | instid1(VALU_DEP_4)
	v_dual_fmac_f32 v0, v0, v8 :: v_dual_fmac_f32 v5, v5, v11
	v_dual_fmaak_f32 v9, v4, v9, 0xbf000004 :: v_dual_fmaak_f32 v12, v7, v12, 0xbf000004
	s_delay_alu instid0(VALU_DEP_4) | instskip(NEXT) | instid1(VALU_DEP_2)
	v_and_or_b32 v3, 0x80000000, v6, v3
	v_fma_f32 v4, v4, v9, 1.0
	s_delay_alu instid0(VALU_DEP_3) | instskip(NEXT) | instid1(VALU_DEP_2)
	v_fma_f32 v7, v7, v12, 1.0
	v_cndmask_b32_e64 v0, -v0, v4, vcc_lo
	v_cmp_eq_u32_e32 vcc_lo, 0, v13
	s_delay_alu instid0(VALU_DEP_2) | instskip(NEXT) | instid1(VALU_DEP_4)
	v_xor_b32_e32 v0, v2, v0
	v_cndmask_b32_e32 v4, v7, v5, vcc_lo
	v_cmp_class_f32_e64 vcc_lo, v1, 0x1f8
	s_delay_alu instid0(VALU_DEP_2) | instskip(NEXT) | instid1(VALU_DEP_4)
	v_xor3_b32 v2, v3, v4, v1
	v_cndmask_b32_e32 v0, 0x7fc00000, v0, vcc_lo
	s_delay_alu instid0(VALU_DEP_2)
	v_cndmask_b32_e32 v1, 0x7fc00000, v2, vcc_lo
.LBB141_77:
	s_or_b32 exec_lo, exec_lo, s4
                                        ; implicit-def: $vgpr4
	s_and_not1_saveexec_b32 s0, s3
	s_cbranch_execnz .LBB141_41
.LBB141_78:
	s_or_b32 exec_lo, exec_lo, s0
	s_setpc_b64 s[30:31]
.Lfunc_end141:
	.size	_ZNK2at6native12_GLOBAL__N_113power_functorIN3c107complexIfEEEclERKS5_S8_, .Lfunc_end141-_ZNK2at6native12_GLOBAL__N_113power_functorIN3c107complexIfEEEclERKS5_S8_
                                        ; -- End function
	.section	.AMDGPU.csdata,"",@progbits
; Function info:
; codeLenInByte = 12200
; NumSgprs: 34
; NumVgprs: 23
; ScratchSize: 0
; MemoryBound: 0
	.section	.text._ZN2at6native12_GLOBAL__N_125multi_tensor_apply_kernelINS1_18TensorListMetadataILi2EEENS1_24BinaryOpListAlphaFunctorIN3c107complexIfEELi2ELi2ELi0EEEJNS1_13power_functorIS8_EES8_EEEvT_T0_DpT1_,"axG",@progbits,_ZN2at6native12_GLOBAL__N_125multi_tensor_apply_kernelINS1_18TensorListMetadataILi2EEENS1_24BinaryOpListAlphaFunctorIN3c107complexIfEELi2ELi2ELi0EEEJNS1_13power_functorIS8_EES8_EEEvT_T0_DpT1_,comdat
	.globl	_ZN2at6native12_GLOBAL__N_125multi_tensor_apply_kernelINS1_18TensorListMetadataILi2EEENS1_24BinaryOpListAlphaFunctorIN3c107complexIfEELi2ELi2ELi0EEEJNS1_13power_functorIS8_EES8_EEEvT_T0_DpT1_ ; -- Begin function _ZN2at6native12_GLOBAL__N_125multi_tensor_apply_kernelINS1_18TensorListMetadataILi2EEENS1_24BinaryOpListAlphaFunctorIN3c107complexIfEELi2ELi2ELi0EEEJNS1_13power_functorIS8_EES8_EEEvT_T0_DpT1_
	.p2align	8
	.type	_ZN2at6native12_GLOBAL__N_125multi_tensor_apply_kernelINS1_18TensorListMetadataILi2EEENS1_24BinaryOpListAlphaFunctorIN3c107complexIfEELi2ELi2ELi0EEEJNS1_13power_functorIS8_EES8_EEEvT_T0_DpT1_,@function
_ZN2at6native12_GLOBAL__N_125multi_tensor_apply_kernelINS1_18TensorListMetadataILi2EEENS1_24BinaryOpListAlphaFunctorIN3c107complexIfEELi2ELi2ELi0EEEJNS1_13power_functorIS8_EES8_EEEvT_T0_DpT1_: ; @_ZN2at6native12_GLOBAL__N_125multi_tensor_apply_kernelINS1_18TensorListMetadataILi2EEENS1_24BinaryOpListAlphaFunctorIN3c107complexIfEELi2ELi2ELi0EEEJNS1_13power_functorIS8_EES8_EEEvT_T0_DpT1_
; %bb.0:
	v_dual_mov_b32 v23, v0 :: v_dual_mov_b32 v0, s15
	s_mov_b64 s[16:17], s[0:1]
	s_mov_b32 s5, 0
	s_mov_b32 s32, 0
	;; [unrolled: 1-line block ×3, first 2 shown]
	global_load_u8 v0, v0, s[0:1] offset:1536
	s_add_u32 s0, s16, s15
	s_mul_hi_u32 s1, s15, 3
	s_mul_i32 s15, s15, 3
	s_addc_u32 s2, s17, 0
	s_add_u32 s0, s0, s15
	s_addc_u32 s1, s2, s1
	s_mov_b32 s9, s5
	s_load_b32 s0, s[0:1], 0x740
	s_waitcnt vmcnt(0)
	v_readfirstlane_b32 s1, v0
	s_delay_alu instid0(VALU_DEP_1)
	s_lshl_b32 s1, s1, 3
	s_clause 0x3
	s_load_b64 s[18:19], s[16:17], s1 offset:0x0
	s_load_b64 s[34:35], s[16:17], s1 offset:0x200
	;; [unrolled: 1-line block ×3, first 2 shown]
	s_load_b64 s[20:21], s[16:17], 0xc50
	s_waitcnt lgkmcnt(0)
	s_ashr_i32 s1, s0, 31
	s_delay_alu instid0(SALU_CYCLE_1) | instskip(NEXT) | instid1(SALU_CYCLE_1)
	s_lshl_b64 s[22:23], s[0:1], 19
	s_add_u32 s26, s18, s22
	s_addc_u32 s27, s19, s23
	s_add_u32 s28, s34, s22
	s_addc_u32 s29, s35, s23
	s_and_b32 s6, s26, 31
	s_and_b32 s8, s2, 3
	;; [unrolled: 1-line block ×3, first 2 shown]
	s_or_b64 s[6:7], s[6:7], s[8:9]
	s_lshl_b64 s[0:1], s[0:1], 16
	s_or_b64 s[4:5], s[4:5], s[6:7]
	s_sub_u32 s24, s2, s0
	s_subb_u32 s25, s3, s1
	s_cmp_eq_u64 s[4:5], 0
	s_mov_b32 s0, -1
	s_cbranch_scc0 .LBB142_5
; %bb.1:
	v_dual_mov_b32 v33, 0 :: v_dual_lshlrev_b32 v32, 2, v23
	s_mov_b32 s33, exec_lo
	s_delay_alu instid0(VALU_DEP_1)
	v_cmpx_gt_i64_e64 s[24:25], v[32:33]
	s_cbranch_execz .LBB142_4
; %bb.2:
	s_load_b32 s0, s[16:17], 0xc64
	v_lshlrev_b32_e32 v34, 5, v23
	s_mov_b32 s36, 0
	s_waitcnt lgkmcnt(0)
	s_and_b32 s0, s0, 0xffff
	s_delay_alu instid0(SALU_CYCLE_1)
	v_add_lshl_u32 v32, v23, s0, 2
	s_lshl_b32 s37, s0, 2
	s_lshl_b32 s38, s0, 5
.LBB142_3:                              ; =>This Inner Loop Header: Depth=1
	v_add_co_u32 v0, s0, s28, v34
	s_delay_alu instid0(VALU_DEP_1) | instskip(SKIP_1) | instid1(VALU_DEP_1)
	v_add_co_ci_u32_e64 v1, null, s29, 0, s0
	v_add_co_u32 v43, s0, s26, v34
	v_add_co_ci_u32_e64 v44, null, s27, 0, s0
	global_load_b128 v[35:38], v[0:1], off
	global_load_b128 v[24:27], v[43:44], off
	global_load_b128 v[39:42], v[0:1], off offset:16
	global_load_b128 v[28:31], v[43:44], off offset:16
	s_getpc_b64 s[40:41]
	s_add_u32 s40, s40, _ZNK2at6native12_GLOBAL__N_113power_functorIN3c107complexIfEEEclERKS5_S8_@rel32@lo+4
	s_addc_u32 s41, s41, _ZNK2at6native12_GLOBAL__N_113power_functorIN3c107complexIfEEEclERKS5_S8_@rel32@hi+12
	s_waitcnt vmcnt(3)
	v_mul_f32_e32 v3, s20, v36
	s_waitcnt vmcnt(2)
	v_dual_mul_f32 v0, s21, v36 :: v_dual_mov_b32 v1, v25
	s_delay_alu instid0(VALU_DEP_2) | instskip(NEXT) | instid1(VALU_DEP_2)
	v_fmac_f32_e32 v3, s21, v35
	v_fma_f32 v2, v35, s20, -v0
	v_mov_b32_e32 v0, v24
	s_swappc_b64 s[30:31], s[40:41]
	s_delay_alu instid0(VALU_DEP_1) | instskip(SKIP_2) | instid1(VALU_DEP_2)
	v_dual_mov_b32 v24, v0 :: v_dual_mov_b32 v25, v1
	v_mul_f32_e32 v3, s20, v38
	v_dual_mul_f32 v0, s21, v38 :: v_dual_mov_b32 v1, v27
	v_fmac_f32_e32 v3, s21, v37
	s_delay_alu instid0(VALU_DEP_2) | instskip(SKIP_2) | instid1(VALU_DEP_1)
	v_fma_f32 v2, v37, s20, -v0
	v_mov_b32_e32 v0, v26
	s_swappc_b64 s[30:31], s[40:41]
	v_dual_mov_b32 v26, v0 :: v_dual_mov_b32 v27, v1
	v_mul_f32_e32 v3, s20, v40
	v_dual_mul_f32 v0, s21, v40 :: v_dual_mov_b32 v1, v29
	s_delay_alu instid0(VALU_DEP_2) | instskip(NEXT) | instid1(VALU_DEP_2)
	v_fmac_f32_e32 v3, s21, v39
	v_fma_f32 v2, v39, s20, -v0
	v_mov_b32_e32 v0, v28
	s_swappc_b64 s[30:31], s[40:41]
	s_delay_alu instid0(VALU_DEP_1) | instskip(SKIP_2) | instid1(VALU_DEP_2)
	v_dual_mov_b32 v28, v0 :: v_dual_mov_b32 v29, v1
	v_mul_f32_e32 v3, s20, v42
	v_dual_mul_f32 v0, s21, v42 :: v_dual_mov_b32 v1, v31
	v_fmac_f32_e32 v3, s21, v41
	s_delay_alu instid0(VALU_DEP_2)
	v_fma_f32 v2, v41, s20, -v0
	v_mov_b32_e32 v0, v30
	s_swappc_b64 s[30:31], s[40:41]
	v_cmp_le_i64_e32 vcc_lo, s[24:25], v[32:33]
	v_cmp_lt_u64_e64 s0, 0xffff, v[32:33]
	v_add_co_u32 v32, s1, v32, s37
	s_delay_alu instid0(VALU_DEP_1) | instskip(SKIP_1) | instid1(VALU_DEP_4)
	v_add_co_ci_u32_e64 v33, s1, 0, v33, s1
	v_dual_mov_b32 v30, v0 :: v_dual_mov_b32 v31, v1
	s_or_b32 s0, vcc_lo, s0
	s_add_u32 s26, s26, s38
	s_addc_u32 s27, s27, 0
	s_add_u32 s28, s28, s38
	s_addc_u32 s29, s29, 0
	s_and_b32 s0, exec_lo, s0
	s_clause 0x1
	global_store_b128 v[43:44], v[24:27], off
	global_store_b128 v[43:44], v[28:31], off offset:16
	s_or_b32 s36, s0, s36
	s_delay_alu instid0(SALU_CYCLE_1)
	s_and_not1_b32 exec_lo, exec_lo, s36
	s_cbranch_execnz .LBB142_3
.LBB142_4:
	s_or_b32 exec_lo, exec_lo, s33
	s_mov_b32 s0, 0
.LBB142_5:
	s_delay_alu instid0(SALU_CYCLE_1)
	s_and_not1_b32 vcc_lo, exec_lo, s0
	s_cbranch_vccnz .LBB142_25
; %bb.6:
	v_cmp_lt_i64_e64 s0, s[24:25], 1
	s_delay_alu instid0(VALU_DEP_1)
	s_and_b32 vcc_lo, exec_lo, s0
	s_cbranch_vccnz .LBB142_25
; %bb.7:
	s_load_b32 s0, s[16:17], 0xc64
	v_mov_b32_e32 v24, 0
	v_lshl_or_b32 v0, v23, 3, 4
	v_cmp_gt_u64_e64 s1, 0x10000, s[24:25]
	s_mov_b32 s27, 0
	s_delay_alu instid0(VALU_DEP_3) | instskip(NEXT) | instid1(VALU_DEP_3)
	v_mov_b32_e32 v1, v24
	v_add_co_u32 v37, s2, s34, v0
	s_delay_alu instid0(VALU_DEP_1) | instskip(SKIP_1) | instid1(VALU_DEP_1)
	v_add_co_ci_u32_e64 v38, null, s35, 0, s2
	v_add_co_u32 v39, s2, s18, v0
	v_add_co_ci_u32_e64 v40, null, s19, 0, s2
	s_waitcnt lgkmcnt(0)
	s_and_b32 s33, s0, 0xffff
	s_and_b32 s0, s1, exec_lo
	v_add_lshl_u32 v4, v23, s33, 3
	v_mad_u64_u32 v[2:3], null, s33, 24, v[0:1]
	s_cselect_b32 s29, s25, 0
	s_cselect_b32 s28, s24, 0x10000
	s_delay_alu instid0(VALU_DEP_2) | instskip(NEXT) | instid1(VALU_DEP_1)
	v_add_co_u32 v41, s0, s18, v4
	v_add_co_ci_u32_e64 v42, null, s19, 0, s0
	v_add_co_u32 v45, s0, s34, v4
	s_delay_alu instid0(VALU_DEP_1)
	v_add_co_ci_u32_e64 v46, null, s35, 0, s0
	s_lshl_b32 s0, s33, 4
	v_add_co_u32 v43, vcc_lo, s34, v2
	v_add_co_u32 v0, s0, v0, s0
	v_add_co_ci_u32_e32 v44, vcc_lo, s35, v3, vcc_lo
	v_add_co_ci_u32_e64 v1, null, 0, 0, s0
	v_add_co_u32 v47, vcc_lo, s18, v2
	v_add_co_ci_u32_e32 v48, vcc_lo, s19, v3, vcc_lo
	v_add_co_u32 v49, vcc_lo, s34, v0
	s_delay_alu instid0(VALU_DEP_4)
	v_add_co_ci_u32_e32 v50, vcc_lo, s35, v1, vcc_lo
	v_add_co_u32 v51, vcc_lo, s18, v0
	v_add_co_ci_u32_e32 v52, vcc_lo, s19, v1, vcc_lo
	s_lshl_b32 s26, s33, 2
	s_lshl_b32 s36, s33, 1
	s_mul_i32 s37, s33, 3
	s_lshl_b32 s19, s33, 5
	s_mov_b64 s[34:35], s[26:27]
	s_branch .LBB142_9
.LBB142_8:                              ;   in Loop: Header=BB142_9 Depth=1
	s_or_b32 exec_lo, exec_lo, s16
	v_add_co_u32 v23, vcc_lo, v23, s26
	v_add_co_ci_u32_e32 v24, vcc_lo, 0, v24, vcc_lo
	v_add_co_u32 v37, vcc_lo, v37, s19
	v_add_co_ci_u32_e32 v38, vcc_lo, 0, v38, vcc_lo
	;; [unrolled: 2-line block ×7, first 2 shown]
	v_cmp_ge_i64_e64 s0, s[34:35], s[24:25]
	v_cmp_lt_u64_e64 s1, 0xffff, s[34:35]
	v_add_co_u32 v49, vcc_lo, v49, s19
	v_add_co_ci_u32_e32 v50, vcc_lo, 0, v50, vcc_lo
	v_add_co_u32 v51, vcc_lo, v51, s19
	v_add_co_ci_u32_e32 v52, vcc_lo, 0, v52, vcc_lo
	s_or_b32 s0, s0, s1
	s_add_u32 s34, s34, s26
	s_addc_u32 s35, s35, 0
	s_and_b32 vcc_lo, exec_lo, s0
	s_cbranch_vccnz .LBB142_25
.LBB142_9:                              ; =>This Inner Loop Header: Depth=1
	v_cmp_gt_u64_e32 vcc_lo, s[28:29], v[23:24]
	s_waitcnt vmcnt(1)
	v_dual_mov_b32 v26, 0 :: v_dual_mov_b32 v1, 0
	s_waitcnt vmcnt(0)
	v_dual_mov_b32 v0, 0 :: v_dual_mov_b32 v5, 0
	v_mov_b32_e32 v4, 0
	s_and_saveexec_b32 s1, vcc_lo
	s_cbranch_execz .LBB142_11
; %bb.10:                               ;   in Loop: Header=BB142_9 Depth=1
	v_add_co_u32 v0, s0, v39, s22
	s_delay_alu instid0(VALU_DEP_1) | instskip(SKIP_1) | instid1(VALU_DEP_1)
	v_add_co_ci_u32_e64 v1, s0, s23, v40, s0
	v_add_co_u32 v2, s0, v37, s22
	v_add_co_ci_u32_e64 v3, s0, s23, v38, s0
	global_load_b64 v[0:1], v[0:1], off offset:-4
	global_load_b64 v[4:5], v[2:3], off offset:-4
.LBB142_11:                             ;   in Loop: Header=BB142_9 Depth=1
	s_or_b32 exec_lo, exec_lo, s1
	v_add_co_u32 v2, s0, s33, v23
	s_delay_alu instid0(VALU_DEP_1) | instskip(SKIP_2) | instid1(VALU_DEP_3)
	v_add_co_ci_u32_e64 v3, s0, 0, v24, s0
	v_dual_mov_b32 v25, 0 :: v_dual_mov_b32 v32, 0
	v_mov_b32_e32 v31, 0
	v_cmp_gt_u64_e64 s16, s[28:29], v[2:3]
	s_delay_alu instid0(VALU_DEP_1)
	s_and_saveexec_b32 s1, s16
	s_cbranch_execz .LBB142_13
; %bb.12:                               ;   in Loop: Header=BB142_9 Depth=1
	v_add_co_u32 v2, s0, v41, s22
	s_delay_alu instid0(VALU_DEP_1) | instskip(SKIP_1) | instid1(VALU_DEP_1)
	v_add_co_ci_u32_e64 v3, s0, s23, v42, s0
	v_add_co_u32 v6, s0, v45, s22
	v_add_co_ci_u32_e64 v7, s0, s23, v46, s0
	global_load_b64 v[25:26], v[2:3], off
	global_load_b64 v[31:32], v[6:7], off
.LBB142_13:                             ;   in Loop: Header=BB142_9 Depth=1
	s_or_b32 exec_lo, exec_lo, s1
	v_add_co_u32 v2, s0, s36, v23
	s_delay_alu instid0(VALU_DEP_1) | instskip(SKIP_2) | instid1(VALU_DEP_3)
	v_add_co_ci_u32_e64 v3, s0, 0, v24, s0
	v_dual_mov_b32 v30, 0 :: v_dual_mov_b32 v29, 0
	v_dual_mov_b32 v28, 0 :: v_dual_mov_b32 v33, 0
	v_cmp_gt_u64_e64 s17, s[28:29], v[2:3]
	v_mov_b32_e32 v34, 0
	s_delay_alu instid0(VALU_DEP_2)
	s_and_saveexec_b32 s1, s17
	s_cbranch_execz .LBB142_15
; %bb.14:                               ;   in Loop: Header=BB142_9 Depth=1
	v_add_co_u32 v2, s0, v51, s22
	s_delay_alu instid0(VALU_DEP_1) | instskip(SKIP_1) | instid1(VALU_DEP_1)
	v_add_co_ci_u32_e64 v3, s0, s23, v52, s0
	v_add_co_u32 v6, s0, v49, s22
	v_add_co_ci_u32_e64 v7, s0, s23, v50, s0
	global_load_b64 v[29:30], v[2:3], off offset:-4
	global_load_b64 v[33:34], v[6:7], off offset:-4
.LBB142_15:                             ;   in Loop: Header=BB142_9 Depth=1
	s_or_b32 exec_lo, exec_lo, s1
	v_add_co_u32 v2, s0, s37, v23
	s_delay_alu instid0(VALU_DEP_1) | instskip(SKIP_2) | instid1(VALU_DEP_3)
	v_add_co_ci_u32_e64 v3, s0, 0, v24, s0
	v_dual_mov_b32 v27, 0 :: v_dual_mov_b32 v36, 0
	v_mov_b32_e32 v35, 0
	v_cmp_gt_u64_e64 s18, s[28:29], v[2:3]
	s_delay_alu instid0(VALU_DEP_1)
	s_and_saveexec_b32 s1, s18
	s_cbranch_execnz .LBB142_20
; %bb.16:                               ;   in Loop: Header=BB142_9 Depth=1
	s_or_b32 exec_lo, exec_lo, s1
	s_and_saveexec_b32 s27, vcc_lo
	s_cbranch_execnz .LBB142_21
.LBB142_17:                             ;   in Loop: Header=BB142_9 Depth=1
	s_or_b32 exec_lo, exec_lo, s27
	s_and_saveexec_b32 s27, s16
	s_cbranch_execnz .LBB142_22
.LBB142_18:                             ;   in Loop: Header=BB142_9 Depth=1
	s_or_b32 exec_lo, exec_lo, s27
	s_and_saveexec_b32 s16, s17
	s_cbranch_execnz .LBB142_23
.LBB142_19:                             ;   in Loop: Header=BB142_9 Depth=1
	s_or_b32 exec_lo, exec_lo, s16
	s_and_saveexec_b32 s16, s18
	s_cbranch_execz .LBB142_8
	s_branch .LBB142_24
.LBB142_20:                             ;   in Loop: Header=BB142_9 Depth=1
	v_add_co_u32 v2, s0, v47, s22
	s_delay_alu instid0(VALU_DEP_1) | instskip(SKIP_1) | instid1(VALU_DEP_1)
	v_add_co_ci_u32_e64 v3, s0, s23, v48, s0
	v_add_co_u32 v6, s0, v43, s22
	v_add_co_ci_u32_e64 v7, s0, s23, v44, s0
	global_load_b64 v[27:28], v[2:3], off offset:-4
	global_load_b64 v[35:36], v[6:7], off offset:-4
	s_or_b32 exec_lo, exec_lo, s1
	s_and_saveexec_b32 s27, vcc_lo
	s_cbranch_execz .LBB142_17
.LBB142_21:                             ;   in Loop: Header=BB142_9 Depth=1
	s_waitcnt vmcnt(0)
	v_dual_mul_f32 v2, s21, v5 :: v_dual_mul_f32 v3, s21, v4
	s_getpc_b64 s[0:1]
	s_add_u32 s0, s0, _ZNK2at6native12_GLOBAL__N_113power_functorIN3c107complexIfEEEclERKS5_S8_@rel32@lo+4
	s_addc_u32 s1, s1, _ZNK2at6native12_GLOBAL__N_113power_functorIN3c107complexIfEEEclERKS5_S8_@rel32@hi+12
	s_delay_alu instid0(VALU_DEP_1)
	v_fma_f32 v2, v4, s20, -v2
	v_fmac_f32_e32 v3, s20, v5
	s_swappc_b64 s[30:31], s[0:1]
	v_add_co_u32 v2, vcc_lo, v39, s22
	v_add_co_ci_u32_e32 v3, vcc_lo, s23, v40, vcc_lo
	global_store_b64 v[2:3], v[0:1], off offset:-4
	s_or_b32 exec_lo, exec_lo, s27
	s_and_saveexec_b32 s27, s16
	s_cbranch_execz .LBB142_18
.LBB142_22:                             ;   in Loop: Header=BB142_9 Depth=1
	s_waitcnt vmcnt(0)
	v_dual_mul_f32 v0, s21, v32 :: v_dual_mul_f32 v3, s21, v31
	v_mov_b32_e32 v1, v26
	s_getpc_b64 s[0:1]
	s_add_u32 s0, s0, _ZNK2at6native12_GLOBAL__N_113power_functorIN3c107complexIfEEEclERKS5_S8_@rel32@lo+4
	s_addc_u32 s1, s1, _ZNK2at6native12_GLOBAL__N_113power_functorIN3c107complexIfEEEclERKS5_S8_@rel32@hi+12
	v_fma_f32 v2, v31, s20, -v0
	v_dual_fmac_f32 v3, s20, v32 :: v_dual_mov_b32 v0, v25
	s_swappc_b64 s[30:31], s[0:1]
	v_add_co_u32 v2, vcc_lo, v41, s22
	v_add_co_ci_u32_e32 v3, vcc_lo, s23, v42, vcc_lo
	global_store_b64 v[2:3], v[0:1], off
	s_or_b32 exec_lo, exec_lo, s27
	s_and_saveexec_b32 s16, s17
	s_cbranch_execz .LBB142_19
.LBB142_23:                             ;   in Loop: Header=BB142_9 Depth=1
	s_waitcnt vmcnt(0)
	v_dual_mul_f32 v0, s21, v34 :: v_dual_mul_f32 v3, s21, v33
	v_mov_b32_e32 v1, v30
	s_getpc_b64 s[0:1]
	s_add_u32 s0, s0, _ZNK2at6native12_GLOBAL__N_113power_functorIN3c107complexIfEEEclERKS5_S8_@rel32@lo+4
	s_addc_u32 s1, s1, _ZNK2at6native12_GLOBAL__N_113power_functorIN3c107complexIfEEEclERKS5_S8_@rel32@hi+12
	v_fma_f32 v2, v33, s20, -v0
	v_dual_fmac_f32 v3, s20, v34 :: v_dual_mov_b32 v0, v29
	s_swappc_b64 s[30:31], s[0:1]
	v_add_co_u32 v2, vcc_lo, v51, s22
	v_add_co_ci_u32_e32 v3, vcc_lo, s23, v52, vcc_lo
	global_store_b64 v[2:3], v[0:1], off offset:-4
	s_or_b32 exec_lo, exec_lo, s16
	s_and_saveexec_b32 s16, s18
	s_cbranch_execz .LBB142_8
.LBB142_24:                             ;   in Loop: Header=BB142_9 Depth=1
	s_waitcnt vmcnt(0)
	v_dual_mul_f32 v0, s21, v36 :: v_dual_mul_f32 v3, s21, v35
	v_mov_b32_e32 v1, v28
	s_getpc_b64 s[0:1]
	s_add_u32 s0, s0, _ZNK2at6native12_GLOBAL__N_113power_functorIN3c107complexIfEEEclERKS5_S8_@rel32@lo+4
	s_addc_u32 s1, s1, _ZNK2at6native12_GLOBAL__N_113power_functorIN3c107complexIfEEEclERKS5_S8_@rel32@hi+12
	v_fma_f32 v2, v35, s20, -v0
	v_dual_fmac_f32 v3, s20, v36 :: v_dual_mov_b32 v0, v27
	s_swappc_b64 s[30:31], s[0:1]
	v_add_co_u32 v2, vcc_lo, v47, s22
	v_add_co_ci_u32_e32 v3, vcc_lo, s23, v48, vcc_lo
	global_store_b64 v[2:3], v[0:1], off offset:-4
	s_branch .LBB142_8
.LBB142_25:
	s_endpgm
	.section	.rodata,"a",@progbits
	.p2align	6, 0x0
	.amdhsa_kernel _ZN2at6native12_GLOBAL__N_125multi_tensor_apply_kernelINS1_18TensorListMetadataILi2EEENS1_24BinaryOpListAlphaFunctorIN3c107complexIfEELi2ELi2ELi0EEEJNS1_13power_functorIS8_EES8_EEEvT_T0_DpT1_
		.amdhsa_group_segment_fixed_size 0
		.amdhsa_private_segment_fixed_size 0
		.amdhsa_kernarg_size 3416
		.amdhsa_user_sgpr_count 15
		.amdhsa_user_sgpr_dispatch_ptr 0
		.amdhsa_user_sgpr_queue_ptr 0
		.amdhsa_user_sgpr_kernarg_segment_ptr 1
		.amdhsa_user_sgpr_dispatch_id 0
		.amdhsa_user_sgpr_private_segment_size 0
		.amdhsa_wavefront_size32 1
		.amdhsa_uses_dynamic_stack 0
		.amdhsa_enable_private_segment 0
		.amdhsa_system_sgpr_workgroup_id_x 1
		.amdhsa_system_sgpr_workgroup_id_y 0
		.amdhsa_system_sgpr_workgroup_id_z 0
		.amdhsa_system_sgpr_workgroup_info 0
		.amdhsa_system_vgpr_workitem_id 0
		.amdhsa_next_free_vgpr 53
		.amdhsa_next_free_sgpr 42
		.amdhsa_reserve_vcc 1
		.amdhsa_float_round_mode_32 0
		.amdhsa_float_round_mode_16_64 0
		.amdhsa_float_denorm_mode_32 3
		.amdhsa_float_denorm_mode_16_64 3
		.amdhsa_dx10_clamp 1
		.amdhsa_ieee_mode 1
		.amdhsa_fp16_overflow 0
		.amdhsa_workgroup_processor_mode 1
		.amdhsa_memory_ordered 1
		.amdhsa_forward_progress 0
		.amdhsa_shared_vgpr_count 0
		.amdhsa_exception_fp_ieee_invalid_op 0
		.amdhsa_exception_fp_denorm_src 0
		.amdhsa_exception_fp_ieee_div_zero 0
		.amdhsa_exception_fp_ieee_overflow 0
		.amdhsa_exception_fp_ieee_underflow 0
		.amdhsa_exception_fp_ieee_inexact 0
		.amdhsa_exception_int_div_zero 0
	.end_amdhsa_kernel
	.section	.text._ZN2at6native12_GLOBAL__N_125multi_tensor_apply_kernelINS1_18TensorListMetadataILi2EEENS1_24BinaryOpListAlphaFunctorIN3c107complexIfEELi2ELi2ELi0EEEJNS1_13power_functorIS8_EES8_EEEvT_T0_DpT1_,"axG",@progbits,_ZN2at6native12_GLOBAL__N_125multi_tensor_apply_kernelINS1_18TensorListMetadataILi2EEENS1_24BinaryOpListAlphaFunctorIN3c107complexIfEELi2ELi2ELi0EEEJNS1_13power_functorIS8_EES8_EEEvT_T0_DpT1_,comdat
.Lfunc_end142:
	.size	_ZN2at6native12_GLOBAL__N_125multi_tensor_apply_kernelINS1_18TensorListMetadataILi2EEENS1_24BinaryOpListAlphaFunctorIN3c107complexIfEELi2ELi2ELi0EEEJNS1_13power_functorIS8_EES8_EEEvT_T0_DpT1_, .Lfunc_end142-_ZN2at6native12_GLOBAL__N_125multi_tensor_apply_kernelINS1_18TensorListMetadataILi2EEENS1_24BinaryOpListAlphaFunctorIN3c107complexIfEELi2ELi2ELi0EEEJNS1_13power_functorIS8_EES8_EEEvT_T0_DpT1_
                                        ; -- End function
	.section	.AMDGPU.csdata,"",@progbits
; Kernel info:
; codeLenInByte = 1932
; NumSgprs: 44
; NumVgprs: 53
; ScratchSize: 0
; MemoryBound: 0
; FloatMode: 240
; IeeeMode: 1
; LDSByteSize: 0 bytes/workgroup (compile time only)
; SGPRBlocks: 5
; VGPRBlocks: 6
; NumSGPRsForWavesPerEU: 44
; NumVGPRsForWavesPerEU: 53
; Occupancy: 16
; WaveLimiterHint : 0
; COMPUTE_PGM_RSRC2:SCRATCH_EN: 0
; COMPUTE_PGM_RSRC2:USER_SGPR: 15
; COMPUTE_PGM_RSRC2:TRAP_HANDLER: 0
; COMPUTE_PGM_RSRC2:TGID_X_EN: 1
; COMPUTE_PGM_RSRC2:TGID_Y_EN: 0
; COMPUTE_PGM_RSRC2:TGID_Z_EN: 0
; COMPUTE_PGM_RSRC2:TIDIG_COMP_CNT: 0
	.section	.text._ZN2at6native12_GLOBAL__N_125multi_tensor_apply_kernelINS1_18TensorListMetadataILi2EEENS1_24BinaryOpListAlphaFunctorIN3c108BFloat16ELi2ELi2ELi0EEEJNS1_13power_functorIfEEfEEEvT_T0_DpT1_,"axG",@progbits,_ZN2at6native12_GLOBAL__N_125multi_tensor_apply_kernelINS1_18TensorListMetadataILi2EEENS1_24BinaryOpListAlphaFunctorIN3c108BFloat16ELi2ELi2ELi0EEEJNS1_13power_functorIfEEfEEEvT_T0_DpT1_,comdat
	.globl	_ZN2at6native12_GLOBAL__N_125multi_tensor_apply_kernelINS1_18TensorListMetadataILi2EEENS1_24BinaryOpListAlphaFunctorIN3c108BFloat16ELi2ELi2ELi0EEEJNS1_13power_functorIfEEfEEEvT_T0_DpT1_ ; -- Begin function _ZN2at6native12_GLOBAL__N_125multi_tensor_apply_kernelINS1_18TensorListMetadataILi2EEENS1_24BinaryOpListAlphaFunctorIN3c108BFloat16ELi2ELi2ELi0EEEJNS1_13power_functorIfEEfEEEvT_T0_DpT1_
	.p2align	8
	.type	_ZN2at6native12_GLOBAL__N_125multi_tensor_apply_kernelINS1_18TensorListMetadataILi2EEENS1_24BinaryOpListAlphaFunctorIN3c108BFloat16ELi2ELi2ELi0EEEJNS1_13power_functorIfEEfEEEvT_T0_DpT1_,@function
_ZN2at6native12_GLOBAL__N_125multi_tensor_apply_kernelINS1_18TensorListMetadataILi2EEENS1_24BinaryOpListAlphaFunctorIN3c108BFloat16ELi2ELi2ELi0EEEJNS1_13power_functorIfEEfEEEvT_T0_DpT1_: ; @_ZN2at6native12_GLOBAL__N_125multi_tensor_apply_kernelINS1_18TensorListMetadataILi2EEENS1_24BinaryOpListAlphaFunctorIN3c108BFloat16ELi2ELi2ELi0EEEJNS1_13power_functorIfEEfEEEvT_T0_DpT1_
; %bb.0:
	v_mov_b32_e32 v1, s15
	s_add_u32 s2, s0, s15
	s_mul_hi_u32 s3, s15, 3
	s_mul_i32 s15, s15, 3
	s_addc_u32 s4, s1, 0
	global_load_u8 v1, v1, s[0:1] offset:1536
	s_add_u32 s2, s2, s15
	s_addc_u32 s3, s4, s3
	s_mov_b32 s7, 0
	s_load_b32 s2, s[2:3], 0x740
	s_mov_b32 s11, s7
	s_mov_b32 s9, s7
	s_waitcnt vmcnt(0)
	v_readfirstlane_b32 s3, v1
	s_delay_alu instid0(VALU_DEP_1)
	s_lshl_b32 s3, s3, 3
	s_clause 0x3
	s_load_b64 s[36:37], s[0:1], s3 offset:0x0
	s_load_b64 s[38:39], s[0:1], s3 offset:0x200
	;; [unrolled: 1-line block ×3, first 2 shown]
	s_load_b32 s33, s[0:1], 0xc4c
	s_waitcnt lgkmcnt(0)
	s_ashr_i32 s3, s2, 31
	s_delay_alu instid0(SALU_CYCLE_1) | instskip(SKIP_4) | instid1(SALU_CYCLE_1)
	s_lshl_b64 s[30:31], s[2:3], 17
	s_lshl_b64 s[2:3], s[2:3], 16
	s_and_b32 s6, s36, 7
	s_and_b32 s8, s38, 7
	;; [unrolled: 1-line block ×3, first 2 shown]
	s_or_b64 s[6:7], s[6:7], s[10:11]
	s_delay_alu instid0(SALU_CYCLE_1)
	s_or_b64 s[6:7], s[8:9], s[6:7]
	s_sub_u32 s34, s4, s2
	s_subb_u32 s35, s5, s3
	s_cmp_eq_u64 s[6:7], 0
	s_mov_b32 s2, -1
	s_cbranch_scc0 .LBB143_5
; %bb.1:
	v_dual_mov_b32 v2, 0 :: v_dual_lshlrev_b32 v1, 2, v0
	s_mov_b32 s40, exec_lo
	s_delay_alu instid0(VALU_DEP_1)
	v_cmpx_gt_i64_e64 s[34:35], v[1:2]
	s_cbranch_execz .LBB143_4
; %bb.2:
	s_load_b32 s2, s[0:1], 0xc5c
	v_lshlrev_b32_e32 v1, 3, v0
	s_mov_b32 s41, 0
	s_mov_b32 s44, 0x3e76c4e1
	s_delay_alu instid0(VALU_DEP_1) | instskip(NEXT) | instid1(VALU_DEP_1)
	v_add_co_u32 v9, s3, s30, v1
	v_add_co_ci_u32_e64 v10, null, s31, 0, s3
	s_waitcnt lgkmcnt(0)
	s_and_b32 s2, s2, 0xffff
	s_delay_alu instid0(SALU_CYCLE_1)
	v_add_lshl_u32 v1, v0, s2, 2
	s_lshl_b32 s42, s2, 3
	s_lshl_b32 s43, s2, 2
.LBB143_3:                              ; =>This Inner Loop Header: Depth=1
	v_add_co_u32 v5, vcc_lo, s38, v9
	v_add_co_ci_u32_e32 v6, vcc_lo, s39, v10, vcc_lo
	v_add_co_u32 v3, vcc_lo, s36, v9
	v_add_co_ci_u32_e32 v4, vcc_lo, s37, v10, vcc_lo
	v_cmp_le_i64_e32 vcc_lo, s[34:35], v[1:2]
	global_load_b64 v[5:6], v[5:6], off
	global_load_b64 v[7:8], v[3:4], off
	v_cmp_lt_u64_e64 s2, 0xffff, v[1:2]
	v_add_co_u32 v9, s3, v9, s42
	s_delay_alu instid0(VALU_DEP_1) | instskip(SKIP_1) | instid1(VALU_DEP_4)
	v_add_co_ci_u32_e64 v10, s3, 0, v10, s3
	v_add_co_u32 v1, s3, v1, s43
	s_or_b32 s2, vcc_lo, s2
	v_add_co_ci_u32_e64 v2, s3, 0, v2, s3
	s_waitcnt vmcnt(1)
	v_and_b32_e32 v12, 0xffff0000, v5
	v_lshlrev_b32_e32 v11, 16, v5
	s_waitcnt vmcnt(0)
	v_and_b32_e32 v16, 0xffff0000, v7
	v_alignbit_b32 v5, v6, v5, 16
	v_and_b32_e32 v6, 0xffff0000, v6
	v_lshlrev_b32_e32 v14, 16, v7
	v_alignbit_b32 v7, v8, v7, 16
	s_delay_alu instid0(VALU_DEP_3) | instskip(NEXT) | instid1(VALU_DEP_3)
	v_mul_f32_e32 v13, s33, v6
	v_cmp_eq_f32_e64 s5, 1.0, v14
	s_delay_alu instid0(VALU_DEP_3) | instskip(SKIP_1) | instid1(VALU_DEP_1)
	v_and_b32_e32 v18, 0xffff0000, v7
	v_and_b32_e32 v7, 0xffff0000, v5
	v_dual_mul_f32 v15, s33, v7 :: v_dual_mul_f32 v12, s33, v12
	v_dual_mul_f32 v8, s33, v11 :: v_dual_and_b32 v17, 0xffff0000, v8
	s_delay_alu instid0(VALU_DEP_1) | instskip(NEXT) | instid1(VALU_DEP_2)
	v_cmp_eq_f32_e64 s6, 1.0, v17
	v_cndmask_b32_e64 v5, v8, 1.0, s5
	v_cndmask_b32_e64 v11, |v8|, 1.0, s5
	s_delay_alu instid0(VALU_DEP_3) | instskip(NEXT) | instid1(VALU_DEP_3)
	v_cndmask_b32_e64 v7, v13, 1.0, s6
	v_mul_f32_e32 v21, 0.5, v5
	v_cmp_eq_f32_e64 s4, 1.0, v16
	v_cmp_eq_f32_e64 s5, 0, v5
	v_trunc_f32_e32 v20, v5
	v_cmp_eq_f32_e64 s10, 0, v7
	v_cmp_neq_f32_e64 s9, v5, v11
	v_cndmask_b32_e64 v6, v12, 1.0, s4
	v_cndmask_b32_e64 v12, |v12|, 1.0, s4
	v_cndmask_b32_e64 v19, |v14|, 1.0, s5
	;; [unrolled: 1-line block ×4, first 2 shown]
	v_cmp_eq_f32_e64 s7, 0, v6
	v_cndmask_b32_e64 v14, v14, 1.0, s5
	v_cmp_gt_f32_e64 s12, 1.0, v19
	v_frexp_mant_f32_e32 v41, v25
	v_frexp_mant_f32_e32 v28, v19
	v_cndmask_b32_e64 v23, |v16|, 1.0, s7
	v_cmp_eq_f32_e64 s6, v20, v5
	v_trunc_f32_e32 v20, v21
	v_cmp_gt_f32_e64 s28, 0x3f2aaaab, v41
	v_trunc_f32_e32 v26, v7
	v_mul_f32_e32 v27, 0.5, v7
	v_cndmask_b32_e64 v16, v16, 1.0, s7
	s_xor_b32 s9, s9, s12
	v_cndmask_b32_e64 v45, 1.0, 2.0, s28
	v_cmp_gt_f32_e64 s15, 0, v5
	v_cmp_neq_f32_e64 s11, v6, v12
	v_cmp_gt_f32_e64 s14, 1.0, v23
	v_cmp_gt_f32_e64 s22, 0x3f2aaaab, v28
	v_mul_f32_e32 v41, v41, v45
	v_cmp_eq_f32_e64 s4, 1.0, v18
	v_cmp_neq_f32_e64 s23, v20, v21
	v_cndmask_b32_e64 v20, v11, 0, s9
	v_cmp_eq_f32_e64 s9, 0, v14
	v_cmp_gt_f32_e64 s16, 0, v6
	v_cndmask_b32_e64 v8, v15, 1.0, s4
	v_cndmask_b32_e64 v17, v17, 1.0, s10
	v_cmp_eq_f32_e64 s10, v26, v7
	v_trunc_f32_e32 v26, v27
	v_cmp_eq_f32_e64 s12, 0, v16
	v_cmp_eq_f32_e64 s18, 0, v8
	v_trunc_f32_e32 v22, v6
	v_mul_f32_e32 v24, 0.5, v6
	v_cndmask_b32_e64 v42, 1.0, 2.0, s22
	s_xor_b32 s11, s11, s14
	v_cndmask_b32_e64 v39, |v18|, 1.0, s18
	s_xor_b32 s15, s15, s9
	v_frexp_mant_f32_e32 v29, v23
	v_cmp_eq_f32_e64 s24, 1.0, v19
	v_cndmask_b32_e64 v43, v12, 0, s11
	v_frexp_mant_f32_e32 v44, v39
	v_cmp_eq_f32_e64 s27, 1.0, v23
	v_cmp_neq_f32_e64 s29, v26, v27
	v_cndmask_b32_e64 v27, 0x7f800000, 0, s15
	s_xor_b32 s15, s16, s12
	v_cmp_gt_f32_e64 s16, 0x3f2aaaab, v44
	v_cndmask_b32_e64 v15, |v15|, 1.0, s4
	v_cmp_neq_f32_e64 s13, v7, v13
	v_cmp_eq_f32_e64 s8, v22, v6
	v_trunc_f32_e32 v22, v24
	v_trunc_f32_e32 v30, v8
	v_cmp_gt_f32_e64 s21, 1.0, v25
	v_dual_mul_f32 v42, v28, v42 :: v_dual_add_f32 v51, 1.0, v41
	v_mul_f32_e32 v40, 0.5, v8
	v_cvt_f64_f32_e32 v[31:32], v19
	v_cmp_eq_f32_e64 s4, 0x7f800000, v19
	s_delay_alu instid0(VALU_DEP_4)
	v_add_f32_e32 v47, -1.0, v42
	v_cvt_f64_f32_e32 v[33:34], v23
	v_cmp_eq_f32_e64 s5, 0x7f800000, v23
	v_cmp_gt_f32_e64 s25, 0x3f2aaaab, v29
	v_cndmask_b32_e64 v19, v20, v19, s24
	v_cndmask_b32_e64 v20, v43, v23, s27
	v_cndmask_b32_e64 v23, 1.0, 2.0, s16
	v_cmp_neq_f32_e64 s19, v8, v15
	v_cndmask_b32_e64 v18, v18, 1.0, s18
	v_cmp_gt_f32_e64 s18, 1.0, v39
	v_cvt_f64_f32_e32 v[35:36], v25
	v_cmp_neq_f32_e64 s26, v22, v24
	v_cmp_eq_f32_e64 s14, v30, v8
	v_trunc_f32_e32 v30, v40
	s_xor_b32 s13, s13, s21
	v_cndmask_b32_e64 v21, 1.0, 2.0, s25
	v_cndmask_b32_e64 v26, v13, 0, s13
	v_cmp_eq_f32_e64 s21, 1.0, v25
	v_add_f32_e32 v56, -1.0, v51
	v_mul_f32_e32 v44, v44, v23
	v_cmp_gt_f32_e64 s17, 0, v7
	v_cmp_eq_f32_e64 s13, 0, v17
	v_cndmask_b32_e64 v28, 0x7f800000, 0, s15
	s_xor_b32 s15, s19, s18
	v_cmp_gt_f32_e64 s20, 0, v8
	s_and_b32 s23, s6, s23
	s_and_b32 s24, s8, s26
	v_cmp_neq_f32_e64 s26, v30, v40
	v_cndmask_b32_e64 v40, v15, 0, s15
	v_cmp_eq_f32_e64 s18, 1.0, v39
	v_cmp_eq_f32_e64 s15, 0, v18
	v_cndmask_b32_e64 v43, 0, v16, s24
	v_dual_add_f32 v48, 1.0, v42 :: v_dual_add_f32 v55, 1.0, v44
	v_mul_f32_e32 v46, v29, v21
	v_cndmask_b32_e64 v21, v26, v25, s21
	v_cndmask_b32_e64 v26, 0, v14, s23
	s_xor_b32 s17, s17, s13
	v_cvt_f64_f32_e32 v[37:38], v39
	v_cmp_eq_f32_e64 s7, 0x7f800000, v25
	v_cndmask_b32_e64 v25, 0x7f800000, 0, s17
	s_and_b32 s17, s14, s26
	v_cndmask_b32_e64 v23, v40, v39, s18
	s_xor_b32 s18, s20, s15
	v_cmp_eq_f32_e64 s11, 0x7f800000, v39
	v_cndmask_b32_e64 v39, 0x7f800000, 0, s18
	v_bfi_b32 v26, 0x7fffffff, v27, v26
	v_bfi_b32 v27, 0x7fffffff, v28, v43
	v_dual_add_f32 v43, -1.0, v48 :: v_dual_add_f32 v50, 1.0, v46
	v_cndmask_b32_e64 v28, 0, v18, s17
	v_dual_add_f32 v49, -1.0, v46 :: v_dual_add_f32 v40, -1.0, v41
	v_rcp_f32_e32 v57, v51
	v_sub_f32_e32 v41, v41, v56
	s_delay_alu instid0(VALU_DEP_3)
	v_bfi_b32 v28, 0x7fffffff, v39, v28
	v_sub_f32_e32 v39, v42, v43
	v_rcp_f32_e32 v53, v50
	v_rcp_f32_e32 v43, v55
	s_and_b32 s19, s10, s29
	v_frexp_exp_i32_f64_e32 v31, v[31:32]
	v_cndmask_b32_e64 v45, 0, v17, s19
	v_frexp_exp_i32_f64_e32 v32, v[33:34]
	v_mul_f32_e32 v58, v40, v57
	v_add_f32_e32 v54, -1.0, v44
	v_frexp_exp_i32_f64_e32 v33, v[35:36]
	v_bfi_b32 v25, 0x7fffffff, v25, v45
	v_mul_f32_e32 v56, v49, v53
	v_add_f32_e32 v52, -1.0, v50
	v_dual_mul_f32 v61, v51, v58 :: v_dual_mul_f32 v60, v54, v43
	v_rcp_f32_e32 v45, v48
	s_delay_alu instid0(VALU_DEP_3) | instskip(NEXT) | instid1(VALU_DEP_3)
	v_mul_f32_e32 v59, v50, v56
	v_sub_f32_e32 v42, v46, v52
	v_cndmask_b32_e64 v30, 1.0, v18, s17
	v_cndmask_b32_e64 v29, 1.0, v17, s19
	v_frexp_exp_i32_f64_e32 v37, v[37:38]
	v_fma_f32 v35, v56, v50, -v59
	v_add_f32_e32 v46, -1.0, v55
	v_cndmask_b32_e64 v22, 1.0, v14, s23
	v_cndmask_b32_e64 v24, 1.0, v16, s24
	s_or_b32 s5, s5, s12
	v_dual_fmac_f32 v35, v56, v42 :: v_dual_mul_f32 v36, v55, v60
	v_sub_f32_e32 v44, v44, v46
	s_or_b32 s4, s4, s9
	s_or_b32 s7, s7, s13
	s_delay_alu instid0(VALU_DEP_2) | instskip(NEXT) | instid1(VALU_DEP_1)
	v_fma_f32 v38, v60, v55, -v36
	v_fmac_f32_e32 v38, v60, v44
	s_delay_alu instid0(VALU_DEP_1) | instskip(NEXT) | instid1(VALU_DEP_1)
	v_dual_mul_f32 v52, v47, v45 :: v_dual_add_f32 v55, v36, v38
	v_mul_f32_e32 v46, v48, v52
	v_subrev_co_ci_u32_e64 v32, s17, 0, v32, s25
	v_subrev_co_ci_u32_e64 v31, s17, 0, v31, s22
	s_delay_alu instid0(VALU_DEP_3) | instskip(NEXT) | instid1(VALU_DEP_3)
	v_fma_f32 v34, v52, v48, -v46
	v_cvt_f32_i32_e32 v32, v32
	v_subrev_co_ci_u32_e64 v33, s17, 0, v33, s28
	s_delay_alu instid0(VALU_DEP_4) | instskip(NEXT) | instid1(VALU_DEP_4)
	v_cvt_f32_i32_e32 v31, v31
	v_fmac_f32_e32 v34, v52, v39
	s_delay_alu instid0(VALU_DEP_3) | instskip(NEXT) | instid1(VALU_DEP_2)
	v_cvt_f32_i32_e32 v33, v33
	v_add_f32_e32 v39, v46, v34
	v_subrev_co_ci_u32_e64 v37, s16, 0, v37, s16
	s_delay_alu instid0(VALU_DEP_2) | instskip(SKIP_1) | instid1(VALU_DEP_3)
	v_sub_f32_e32 v44, v39, v46
	v_sub_f32_e32 v46, v47, v39
	v_cvt_f32_i32_e32 v37, v37
	s_delay_alu instid0(VALU_DEP_3) | instskip(NEXT) | instid1(VALU_DEP_3)
	v_sub_f32_e32 v34, v44, v34
	v_sub_f32_e32 v47, v47, v46
	v_fma_f32 v48, v58, v51, -v61
	s_delay_alu instid0(VALU_DEP_1) | instskip(SKIP_1) | instid1(VALU_DEP_1)
	v_dual_sub_f32 v39, v47, v39 :: v_dual_fmac_f32 v48, v58, v41
	v_add_f32_e32 v41, v59, v35
	v_sub_f32_e32 v51, v49, v41
	v_sub_f32_e32 v50, v41, v59
	s_delay_alu instid0(VALU_DEP_2) | instskip(NEXT) | instid1(VALU_DEP_2)
	v_sub_f32_e32 v44, v49, v51
	v_sub_f32_e32 v35, v50, v35
	v_dual_sub_f32 v49, v54, v55 :: v_dual_sub_f32 v36, v55, v36
	s_delay_alu instid0(VALU_DEP_3) | instskip(NEXT) | instid1(VALU_DEP_1)
	v_sub_f32_e32 v41, v44, v41
	v_dual_sub_f32 v36, v36, v38 :: v_dual_add_f32 v35, v35, v41
	s_delay_alu instid0(VALU_DEP_1) | instskip(NEXT) | instid1(VALU_DEP_1)
	v_dual_add_f32 v42, v61, v48 :: v_dual_add_f32 v35, v51, v35
	v_sub_f32_e32 v59, v42, v61
	v_sub_f32_e32 v61, v40, v42
	s_delay_alu instid0(VALU_DEP_2) | instskip(NEXT) | instid1(VALU_DEP_2)
	v_dual_mul_f32 v35, v53, v35 :: v_dual_sub_f32 v48, v59, v48
	v_sub_f32_e32 v40, v40, v61
	v_add_f32_e32 v34, v34, v39
	s_delay_alu instid0(VALU_DEP_2) | instskip(NEXT) | instid1(VALU_DEP_1)
	v_sub_f32_e32 v40, v40, v42
	v_dual_mul_f32 v42, 0x3f317218, v31 :: v_dual_add_f32 v39, v48, v40
	v_add_f32_e32 v40, v56, v35
	v_sub_f32_e32 v44, v54, v49
	s_delay_alu instid0(VALU_DEP_2) | instskip(NEXT) | instid1(VALU_DEP_2)
	v_sub_f32_e32 v48, v40, v56
	v_sub_f32_e32 v38, v44, v55
	v_fma_f32 v55, 0x3f317218, v31, -v42
	s_delay_alu instid0(VALU_DEP_3) | instskip(NEXT) | instid1(VALU_DEP_2)
	v_dual_mul_f32 v44, 0x3f317218, v33 :: v_dual_sub_f32 v35, v35, v48
	v_dual_add_f32 v36, v36, v38 :: v_dual_fmac_f32 v55, 0xb102e308, v31
	v_add_f32_e32 v38, v61, v39
	s_delay_alu instid0(VALU_DEP_3) | instskip(NEXT) | instid1(VALU_DEP_3)
	v_add_f32_e32 v62, v35, v35
	v_add_f32_e32 v36, v49, v36
	v_mul_f32_e32 v49, v40, v40
	v_ldexp_f32 v63, v35, 1
	s_delay_alu instid0(VALU_DEP_3) | instskip(SKIP_1) | instid1(VALU_DEP_4)
	v_mul_f32_e32 v36, v43, v36
	v_mul_f32_e32 v43, 0x3f317218, v32
	v_fma_f32 v48, v40, v40, -v49
	s_delay_alu instid0(VALU_DEP_2) | instskip(NEXT) | instid1(VALU_DEP_2)
	v_fma_f32 v56, 0x3f317218, v32, -v43
	v_fmac_f32_e32 v48, v40, v62
	s_delay_alu instid0(VALU_DEP_1) | instskip(NEXT) | instid1(VALU_DEP_3)
	v_add_f32_e32 v69, v49, v48
	v_fmac_f32_e32 v56, 0xb102e308, v32
	v_ldexp_f32 v50, v40, 1
	s_delay_alu instid0(VALU_DEP_3) | instskip(NEXT) | instid1(VALU_DEP_3)
	v_sub_f32_e32 v49, v69, v49
	v_dual_add_f32 v67, v43, v56 :: v_dual_mul_f32 v70, v40, v69
	s_delay_alu instid0(VALU_DEP_1) | instskip(NEXT) | instid1(VALU_DEP_2)
	v_dual_sub_f32 v48, v48, v49 :: v_dual_sub_f32 v43, v67, v43
	v_fma_f32 v49, v69, v40, -v70
	s_delay_alu instid0(VALU_DEP_2) | instskip(SKIP_1) | instid1(VALU_DEP_3)
	v_sub_f32_e32 v43, v56, v43
	v_dual_add_f32 v51, v60, v36 :: v_dual_add_f32 v34, v46, v34
	v_fmac_f32_e32 v49, v69, v35
	s_delay_alu instid0(VALU_DEP_2) | instskip(NEXT) | instid1(VALU_DEP_2)
	v_dual_sub_f32 v59, v51, v60 :: v_dual_mul_f32 v34, v45, v34
	v_dual_mul_f32 v60, v51, v51 :: v_dual_fmac_f32 v49, v48, v40
	v_ldexp_f32 v61, v51, 1
	s_delay_alu instid0(VALU_DEP_3) | instskip(NEXT) | instid1(VALU_DEP_4)
	v_sub_f32_e32 v36, v36, v59
	v_add_f32_e32 v39, v52, v34
	s_delay_alu instid0(VALU_DEP_4) | instskip(NEXT) | instid1(VALU_DEP_2)
	v_fma_f32 v59, v51, v51, -v60
	v_sub_f32_e32 v45, v39, v52
	v_mul_f32_e32 v46, v39, v39
	v_ldexp_f32 v47, v39, 1
	s_delay_alu instid0(VALU_DEP_3) | instskip(NEXT) | instid1(VALU_DEP_3)
	v_sub_f32_e32 v34, v34, v45
	v_fma_f32 v45, v39, v39, -v46
	s_delay_alu instid0(VALU_DEP_2) | instskip(NEXT) | instid1(VALU_DEP_1)
	v_add_f32_e32 v32, v34, v34
	v_fmac_f32_e32 v45, v39, v32
	v_add_f32_e32 v32, v36, v36
	v_dual_mul_f32 v38, v57, v38 :: v_dual_mul_f32 v57, 0x3f317218, v37
	s_delay_alu instid0(VALU_DEP_2) | instskip(NEXT) | instid1(VALU_DEP_2)
	v_dual_add_f32 v68, v46, v45 :: v_dual_fmac_f32 v59, v51, v32
	v_add_f32_e32 v41, v58, v38
	s_delay_alu instid0(VALU_DEP_3) | instskip(NEXT) | instid1(VALU_DEP_3)
	v_fma_f32 v31, 0x3f317218, v37, -v57
	v_sub_f32_e32 v46, v68, v46
	s_delay_alu instid0(VALU_DEP_3) | instskip(SKIP_1) | instid1(VALU_DEP_4)
	v_dual_add_f32 v71, v60, v59 :: v_dual_sub_f32 v52, v41, v58
	v_mul_f32_e32 v53, v41, v41
	v_fmac_f32_e32 v31, 0xb102e308, v37
	s_delay_alu instid0(VALU_DEP_3) | instskip(NEXT) | instid1(VALU_DEP_4)
	v_dual_sub_f32 v45, v45, v46 :: v_dual_mul_f32 v74, v51, v71
	v_sub_f32_e32 v38, v38, v52
	s_delay_alu instid0(VALU_DEP_4) | instskip(SKIP_1) | instid1(VALU_DEP_3)
	v_fma_f32 v52, v41, v41, -v53
	v_ldexp_f32 v54, v41, 1
	v_add_f32_e32 v64, v38, v38
	v_ldexp_f32 v65, v38, 1
	s_delay_alu instid0(VALU_DEP_2) | instskip(SKIP_1) | instid1(VALU_DEP_2)
	v_fmac_f32_e32 v52, v41, v64
	v_add_f32_e32 v64, v57, v31
	v_add_f32_e32 v32, v53, v52
	s_delay_alu instid0(VALU_DEP_1) | instskip(SKIP_2) | instid1(VALU_DEP_3)
	v_sub_f32_e32 v53, v32, v53
	v_mul_f32_e32 v73, v41, v32
	v_sub_f32_e32 v60, v71, v60
	v_sub_f32_e32 v52, v52, v53
	s_delay_alu instid0(VALU_DEP_3) | instskip(NEXT) | instid1(VALU_DEP_3)
	v_fma_f32 v53, v32, v41, -v73
	v_sub_f32_e32 v59, v59, v60
	v_fma_f32 v60, v71, v51, -v74
	v_ldexp_f32 v62, v36, 1
	s_delay_alu instid0(VALU_DEP_4) | instskip(NEXT) | instid1(VALU_DEP_1)
	v_dual_fmac_f32 v53, v32, v38 :: v_dual_add_f32 v66, v42, v55
	v_dual_fmac_f32 v60, v71, v36 :: v_dual_fmac_f32 v53, v52, v41
	s_delay_alu instid0(VALU_DEP_2) | instskip(SKIP_1) | instid1(VALU_DEP_3)
	v_sub_f32_e32 v42, v66, v42
	v_fmaak_f32 v56, s44, v68, 0x3e91f4c4
	v_dual_fmac_f32 v60, v59, v51 :: v_dual_add_f32 v51, v73, v53
	s_delay_alu instid0(VALU_DEP_3) | instskip(SKIP_2) | instid1(VALU_DEP_3)
	v_dual_sub_f32 v42, v55, v42 :: v_dual_sub_f32 v55, v64, v57
	v_mul_f32_e32 v57, v39, v68
	v_fma_f32 v58, 0x3f317218, v33, -v44
	v_sub_f32_e32 v31, v31, v55
	v_fmaak_f32 v55, v68, v56, 0x3ecccdef
	s_delay_alu instid0(VALU_DEP_4) | instskip(NEXT) | instid1(VALU_DEP_4)
	v_fma_f32 v46, v68, v39, -v57
	v_fmac_f32_e32 v58, 0xb102e308, v33
	v_ldexp_f32 v33, v34, 1
	s_delay_alu instid0(VALU_DEP_3) | instskip(SKIP_1) | instid1(VALU_DEP_2)
	v_fmac_f32_e32 v46, v68, v34
	v_mul_f32_e32 v34, v68, v55
	v_dual_add_f32 v37, v44, v58 :: v_dual_fmac_f32 v46, v45, v39
	s_delay_alu instid0(VALU_DEP_2) | instskip(NEXT) | instid1(VALU_DEP_2)
	v_fma_f32 v39, v68, v55, -v34
	v_dual_add_f32 v68, v74, v60 :: v_dual_add_f32 v41, v57, v46
	s_delay_alu instid0(VALU_DEP_2) | instskip(NEXT) | instid1(VALU_DEP_1)
	v_fmac_f32_e32 v39, v45, v55
	v_dual_sub_f32 v44, v37, v44 :: v_dual_add_f32 v55, v34, v39
	s_delay_alu instid0(VALU_DEP_1) | instskip(SKIP_1) | instid1(VALU_DEP_3)
	v_sub_f32_e32 v44, v58, v44
	v_fmaak_f32 v58, s44, v69, 0x3e91f4c4
	v_sub_f32_e32 v34, v55, v34
	s_delay_alu instid0(VALU_DEP_2) | instskip(SKIP_1) | instid1(VALU_DEP_2)
	v_fmaak_f32 v56, v69, v58, 0x3ecccdef
	v_fmaak_f32 v58, s44, v71, 0x3e91f4c4
	v_dual_sub_f32 v34, v39, v34 :: v_dual_mul_f32 v35, v69, v56
	s_delay_alu instid0(VALU_DEP_1) | instskip(NEXT) | instid1(VALU_DEP_2)
	v_add_f32_e32 v34, 0x31739010, v34
	v_fma_f32 v40, v69, v56, -v35
	v_dual_sub_f32 v69, v68, v74 :: v_dual_fmaak_f32 v72, s44, v32, 0x3e91f4c4
	s_delay_alu instid0(VALU_DEP_2) | instskip(NEXT) | instid1(VALU_DEP_2)
	v_fmac_f32_e32 v40, v48, v56
	v_sub_f32_e32 v60, v60, v69
	s_delay_alu instid0(VALU_DEP_3) | instskip(NEXT) | instid1(VALU_DEP_1)
	v_fmaak_f32 v72, v32, v72, 0x3ecccdef
	v_mul_f32_e32 v38, v32, v72
	s_delay_alu instid0(VALU_DEP_1) | instskip(NEXT) | instid1(VALU_DEP_1)
	v_fma_f32 v32, v32, v72, -v38
	v_fmac_f32_e32 v32, v52, v72
	v_dual_sub_f32 v52, v41, v57 :: v_dual_add_f32 v57, v35, v40
	s_delay_alu instid0(VALU_DEP_1) | instskip(SKIP_1) | instid1(VALU_DEP_3)
	v_sub_f32_e32 v46, v46, v52
	v_add_f32_e32 v52, 0x3f2aaaaa, v55
	v_sub_f32_e32 v35, v57, v35
	s_delay_alu instid0(VALU_DEP_2) | instskip(NEXT) | instid1(VALU_DEP_2)
	v_add_f32_e32 v39, 0xbf2aaaaa, v52
	v_sub_f32_e32 v35, v40, v35
	s_delay_alu instid0(VALU_DEP_2) | instskip(SKIP_1) | instid1(VALU_DEP_3)
	v_sub_f32_e32 v39, v55, v39
	v_add_f32_e32 v45, v70, v49
	v_add_f32_e32 v35, 0x31739010, v35
	s_delay_alu instid0(VALU_DEP_3) | instskip(NEXT) | instid1(VALU_DEP_3)
	v_add_f32_e32 v34, v34, v39
	v_sub_f32_e32 v56, v45, v70
	s_delay_alu instid0(VALU_DEP_1) | instskip(NEXT) | instid1(VALU_DEP_1)
	v_dual_sub_f32 v49, v49, v56 :: v_dual_add_f32 v56, 0x3f2aaaaa, v57
	v_add_f32_e32 v40, 0xbf2aaaaa, v56
	s_delay_alu instid0(VALU_DEP_1) | instskip(NEXT) | instid1(VALU_DEP_1)
	v_sub_f32_e32 v40, v57, v40
	v_add_f32_e32 v35, v35, v40
	s_delay_alu instid0(VALU_DEP_1) | instskip(NEXT) | instid1(VALU_DEP_1)
	v_add_f32_e32 v40, v56, v35
	v_dual_fmaak_f32 v58, v71, v58, 0x3ecccdef :: v_dual_sub_f32 v55, v56, v40
	s_delay_alu instid0(VALU_DEP_1) | instskip(NEXT) | instid1(VALU_DEP_2)
	v_mul_f32_e32 v36, v71, v58
	v_dual_mul_f32 v56, v45, v40 :: v_dual_add_f32 v35, v35, v55
	s_delay_alu instid0(VALU_DEP_2) | instskip(NEXT) | instid1(VALU_DEP_2)
	v_fma_f32 v48, v71, v58, -v36
	v_fma_f32 v55, v45, v40, -v56
	s_delay_alu instid0(VALU_DEP_2) | instskip(NEXT) | instid1(VALU_DEP_2)
	v_fmac_f32_e32 v48, v59, v58
	v_dual_sub_f32 v58, v51, v73 :: v_dual_fmac_f32 v55, v45, v35
	v_add_f32_e32 v59, v38, v32
	s_delay_alu instid0(VALU_DEP_2) | instskip(NEXT) | instid1(VALU_DEP_2)
	v_dual_add_f32 v70, v36, v48 :: v_dual_sub_f32 v53, v53, v58
	v_dual_fmac_f32 v55, v49, v40 :: v_dual_add_f32 v58, 0x3f2aaaaa, v59
	v_sub_f32_e32 v38, v59, v38
	s_delay_alu instid0(VALU_DEP_3) | instskip(NEXT) | instid1(VALU_DEP_2)
	v_dual_add_f32 v69, 0x3f2aaaaa, v70 :: v_dual_sub_f32 v36, v70, v36
	v_sub_f32_e32 v32, v32, v38
	s_delay_alu instid0(VALU_DEP_4) | instskip(NEXT) | instid1(VALU_DEP_3)
	v_add_f32_e32 v38, 0xbf2aaaaa, v58
	v_sub_f32_e32 v36, v48, v36
	s_delay_alu instid0(VALU_DEP_4) | instskip(NEXT) | instid1(VALU_DEP_4)
	v_add_f32_e32 v48, 0xbf2aaaaa, v69
	v_add_f32_e32 v32, 0x31739010, v32
	s_delay_alu instid0(VALU_DEP_4) | instskip(NEXT) | instid1(VALU_DEP_4)
	v_sub_f32_e32 v38, v59, v38
	v_add_f32_e32 v36, 0x31739010, v36
	s_delay_alu instid0(VALU_DEP_2) | instskip(SKIP_1) | instid1(VALU_DEP_2)
	v_dual_sub_f32 v39, v70, v48 :: v_dual_add_f32 v32, v32, v38
	v_add_f32_e32 v38, v52, v34
	v_dual_add_f32 v36, v36, v39 :: v_dual_add_f32 v39, v58, v32
	s_delay_alu instid0(VALU_DEP_2) | instskip(SKIP_1) | instid1(VALU_DEP_3)
	v_sub_f32_e32 v48, v52, v38
	v_mul_f32_e32 v52, v41, v38
	v_dual_add_f32 v57, v69, v36 :: v_dual_sub_f32 v58, v58, v39
	s_delay_alu instid0(VALU_DEP_3) | instskip(NEXT) | instid1(VALU_DEP_3)
	v_add_f32_e32 v34, v34, v48
	v_fma_f32 v48, v41, v38, -v52
	s_delay_alu instid0(VALU_DEP_3) | instskip(SKIP_2) | instid1(VALU_DEP_4)
	v_sub_f32_e32 v69, v69, v57
	v_dual_mul_f32 v70, v68, v57 :: v_dual_mul_f32 v59, v51, v39
	v_add_f32_e32 v32, v32, v58
	v_fmac_f32_e32 v48, v41, v34
	s_delay_alu instid0(VALU_DEP_4) | instskip(NEXT) | instid1(VALU_DEP_4)
	v_add_f32_e32 v34, v36, v69
	v_fma_f32 v35, v68, v57, -v70
	v_fma_f32 v58, v51, v39, -v59
	s_delay_alu instid0(VALU_DEP_4) | instskip(NEXT) | instid1(VALU_DEP_2)
	v_fmac_f32_e32 v48, v46, v38
	v_dual_fmac_f32 v35, v68, v34 :: v_dual_fmac_f32 v58, v51, v32
	v_add_f32_e32 v34, v56, v55
	s_delay_alu instid0(VALU_DEP_3) | instskip(NEXT) | instid1(VALU_DEP_3)
	v_add_f32_e32 v32, v52, v48
	v_dual_fmac_f32 v35, v60, v57 :: v_dual_fmac_f32 v58, v53, v39
	s_delay_alu instid0(VALU_DEP_3) | instskip(NEXT) | instid1(VALU_DEP_3)
	v_sub_f32_e32 v40, v34, v56
	v_sub_f32_e32 v38, v32, v52
	v_add_f32_e32 v39, v47, v32
	v_add_f32_e32 v41, v50, v34
	s_delay_alu instid0(VALU_DEP_4) | instskip(NEXT) | instid1(VALU_DEP_3)
	v_dual_add_f32 v45, v70, v35 :: v_dual_sub_f32 v40, v55, v40
	v_dual_sub_f32 v38, v48, v38 :: v_dual_sub_f32 v47, v39, v47
	s_delay_alu instid0(VALU_DEP_3) | instskip(NEXT) | instid1(VALU_DEP_3)
	v_sub_f32_e32 v48, v41, v50
	v_sub_f32_e32 v50, v45, v70
	v_add_f32_e32 v51, v61, v45
	s_delay_alu instid0(VALU_DEP_4) | instskip(NEXT) | instid1(VALU_DEP_4)
	v_dual_add_f32 v33, v33, v38 :: v_dual_sub_f32 v32, v32, v47
	v_sub_f32_e32 v34, v34, v48
	v_add_f32_e32 v38, v63, v40
	v_sub_f32_e32 v35, v35, v50
	v_sub_f32_e32 v40, v51, v61
	s_delay_alu instid0(VALU_DEP_3) | instskip(NEXT) | instid1(VALU_DEP_2)
	v_dual_add_f32 v32, v33, v32 :: v_dual_add_f32 v33, v38, v34
	v_dual_add_f32 v35, v62, v35 :: v_dual_sub_f32 v34, v45, v40
	s_delay_alu instid0(VALU_DEP_2) | instskip(NEXT) | instid1(VALU_DEP_3)
	v_add_f32_e32 v38, v39, v32
	v_add_f32_e32 v40, v41, v33
	s_delay_alu instid0(VALU_DEP_2) | instskip(SKIP_1) | instid1(VALU_DEP_3)
	v_dual_add_f32 v34, v35, v34 :: v_dual_sub_f32 v39, v38, v39
	v_add_f32_e32 v45, v66, v38
	v_sub_f32_e32 v41, v40, v41
	s_delay_alu instid0(VALU_DEP_3) | instskip(NEXT) | instid1(VALU_DEP_3)
	v_dual_add_f32 v47, v51, v34 :: v_dual_sub_f32 v32, v32, v39
	v_sub_f32_e32 v39, v45, v66
	s_delay_alu instid0(VALU_DEP_2) | instskip(SKIP_1) | instid1(VALU_DEP_3)
	v_dual_sub_f32 v33, v33, v41 :: v_dual_sub_f32 v50, v47, v51
	v_dual_add_f32 v51, v64, v47 :: v_dual_add_f32 v36, v59, v58
	v_sub_f32_e32 v38, v38, v39
	s_delay_alu instid0(VALU_DEP_3) | instskip(NEXT) | instid1(VALU_DEP_3)
	v_sub_f32_e32 v34, v34, v50
	v_sub_f32_e32 v50, v51, v64
	s_delay_alu instid0(VALU_DEP_4) | instskip(NEXT) | instid1(VALU_DEP_2)
	v_dual_sub_f32 v46, v36, v59 :: v_dual_add_f32 v49, v54, v36
	v_sub_f32_e32 v57, v51, v50
	s_delay_alu instid0(VALU_DEP_2) | instskip(NEXT) | instid1(VALU_DEP_3)
	v_sub_f32_e32 v46, v58, v46
	v_sub_f32_e32 v52, v49, v54
	;; [unrolled: 1-line block ×3, first 2 shown]
	v_add_f32_e32 v50, v31, v34
	s_delay_alu instid0(VALU_DEP_4) | instskip(NEXT) | instid1(VALU_DEP_4)
	v_add_f32_e32 v46, v65, v46
	v_sub_f32_e32 v36, v36, v52
	v_dual_sub_f32 v52, v45, v39 :: v_dual_add_f32 v39, v42, v32
	s_delay_alu instid0(VALU_DEP_2) | instskip(SKIP_1) | instid1(VALU_DEP_3)
	v_add_f32_e32 v36, v46, v36
	v_add_f32_e32 v46, v67, v40
	v_dual_sub_f32 v52, v66, v52 :: v_dual_sub_f32 v55, v39, v42
	s_delay_alu instid0(VALU_DEP_3) | instskip(NEXT) | instid1(VALU_DEP_3)
	v_add_f32_e32 v35, v49, v36
	v_sub_f32_e32 v41, v46, v67
	s_delay_alu instid0(VALU_DEP_3) | instskip(NEXT) | instid1(VALU_DEP_4)
	v_add_f32_e32 v38, v38, v52
	v_sub_f32_e32 v52, v39, v55
	v_sub_f32_e32 v32, v32, v55
	v_dual_sub_f32 v48, v35, v49 :: v_dual_add_f32 v49, v37, v35
	v_sub_f32_e32 v53, v46, v41
	v_sub_f32_e32 v40, v40, v41
	s_delay_alu instid0(VALU_DEP_3) | instskip(NEXT) | instid1(VALU_DEP_4)
	v_dual_add_f32 v41, v43, v33 :: v_dual_sub_f32 v36, v36, v48
	v_sub_f32_e32 v48, v49, v37
	s_delay_alu instid0(VALU_DEP_4) | instskip(NEXT) | instid1(VALU_DEP_3)
	v_sub_f32_e32 v53, v67, v53
	v_dual_sub_f32 v55, v64, v57 :: v_dual_sub_f32 v56, v41, v43
	v_sub_f32_e32 v42, v42, v52
	s_delay_alu instid0(VALU_DEP_4) | instskip(SKIP_3) | instid1(VALU_DEP_4)
	v_sub_f32_e32 v54, v49, v48
	v_sub_f32_e32 v35, v35, v48
	v_add_f32_e32 v48, v44, v36
	v_dual_add_f32 v40, v40, v53 :: v_dual_sub_f32 v53, v41, v56
	v_sub_f32_e32 v37, v37, v54
	v_sub_f32_e32 v33, v33, v56
	s_delay_alu instid0(VALU_DEP_4)
	v_sub_f32_e32 v54, v48, v44
	v_sub_f32_e32 v56, v50, v31
	v_add_f32_e32 v38, v39, v38
	v_add_f32_e32 v35, v35, v37
	v_sub_f32_e32 v39, v43, v53
	v_dual_sub_f32 v37, v48, v54 :: v_dual_add_f32 v40, v41, v40
	v_dual_sub_f32 v36, v36, v54 :: v_dual_add_f32 v41, v47, v55
	v_sub_f32_e32 v43, v50, v56
	s_delay_alu instid0(VALU_DEP_3)
	v_sub_f32_e32 v37, v44, v37
	v_add_f32_e32 v35, v48, v35
	v_add_f32_e32 v32, v32, v42
	;; [unrolled: 1-line block ×5, first 2 shown]
	v_dual_sub_f32 v34, v34, v56 :: v_dual_sub_f32 v31, v31, v43
	v_add_f32_e32 v41, v50, v41
	v_dual_add_f32 v36, v36, v37 :: v_dual_add_f32 v37, v49, v35
	s_delay_alu instid0(VALU_DEP_4) | instskip(NEXT) | instid1(VALU_DEP_3)
	v_dual_sub_f32 v43, v42, v45 :: v_dual_sub_f32 v44, v39, v46
	v_dual_add_f32 v31, v34, v31 :: v_dual_add_f32 v34, v51, v41
	s_delay_alu instid0(VALU_DEP_2) | instskip(NEXT) | instid1(VALU_DEP_2)
	v_dual_sub_f32 v45, v37, v49 :: v_dual_sub_f32 v38, v38, v43
	v_dual_sub_f32 v40, v40, v44 :: v_dual_sub_f32 v43, v34, v51
	s_delay_alu instid0(VALU_DEP_2) | instskip(NEXT) | instid1(VALU_DEP_2)
	v_dual_sub_f32 v35, v35, v45 :: v_dual_add_f32 v32, v32, v38
	v_add_f32_e32 v33, v33, v40
	s_delay_alu instid0(VALU_DEP_3) | instskip(NEXT) | instid1(VALU_DEP_3)
	v_sub_f32_e32 v38, v41, v43
	v_dual_add_f32 v35, v36, v35 :: v_dual_add_f32 v36, v42, v32
	s_delay_alu instid0(VALU_DEP_3) | instskip(NEXT) | instid1(VALU_DEP_2)
	v_add_f32_e32 v40, v39, v33
	v_dual_add_f32 v31, v31, v38 :: v_dual_add_f32 v38, v37, v35
	s_delay_alu instid0(VALU_DEP_3) | instskip(NEXT) | instid1(VALU_DEP_3)
	v_dual_sub_f32 v41, v36, v42 :: v_dual_mul_f32 v42, v5, v36
	v_sub_f32_e32 v39, v40, v39
	v_mul_f32_e32 v43, v6, v40
	s_delay_alu instid0(VALU_DEP_4)
	v_add_f32_e32 v44, v34, v31
	v_sub_f32_e32 v37, v38, v37
	v_dual_mul_f32 v45, v7, v38 :: v_dual_sub_f32 v32, v32, v41
	v_fma_f32 v36, v5, v36, -v42
	v_sub_f32_e32 v33, v33, v39
	v_fma_f32 v39, v6, v40, -v43
	v_sub_f32_e32 v34, v44, v34
	v_dual_mul_f32 v40, v8, v44 :: v_dual_sub_f32 v35, v35, v37
	v_fma_f32 v37, v7, v38, -v45
	s_delay_alu instid0(VALU_DEP_4) | instskip(NEXT) | instid1(VALU_DEP_4)
	v_dual_fmac_f32 v36, v5, v32 :: v_dual_fmac_f32 v39, v6, v33
	v_sub_f32_e32 v31, v31, v34
	s_delay_alu instid0(VALU_DEP_4) | instskip(NEXT) | instid1(VALU_DEP_4)
	v_fma_f32 v32, v8, v44, -v40
	v_fmac_f32_e32 v37, v7, v35
	s_delay_alu instid0(VALU_DEP_4) | instskip(SKIP_2) | instid1(VALU_DEP_4)
	v_dual_add_f32 v33, v42, v36 :: v_dual_add_f32 v34, v43, v39
	v_cmp_class_f32_e64 s16, v43, 0x204
	v_cmp_class_f32_e64 s18, v42, 0x204
	v_dual_fmac_f32 v32, v8, v31 :: v_dual_add_f32 v31, v45, v37
	v_cmp_class_f32_e64 s17, v45, 0x204
	v_sub_f32_e32 v35, v33, v42
	s_delay_alu instid0(VALU_DEP_4)
	v_cndmask_b32_e64 v33, v33, v42, s18
	v_sub_f32_e32 v38, v34, v43
	v_cndmask_b32_e64 v34, v34, v43, s16
	v_add_f32_e32 v41, v40, v32
	v_cmp_class_f32_e64 s16, v40, 0x204
	v_sub_f32_e32 v42, v31, v45
	v_cndmask_b32_e64 v31, v31, v45, s17
	v_cmp_eq_f32_e64 s17, 0x42b17218, v33
	v_cmp_eq_f32_e64 s18, 0x42b17218, v34
	v_dual_sub_f32 v35, v36, v35 :: v_dual_sub_f32 v38, v39, v38
	v_sub_f32_e32 v43, v41, v40
	s_delay_alu instid0(VALU_DEP_4)
	v_cndmask_b32_e64 v36, 0, 0x37000000, s17
	v_cmp_neq_f32_e64 s17, 0x7f800000, |v34|
	v_cndmask_b32_e64 v39, 0, 0x37000000, s18
	v_cndmask_b32_e64 v40, v41, v40, s16
	v_cmp_eq_f32_e64 s18, 0x42b17218, v31
	v_sub_f32_e32 v37, v37, v42
	v_cmp_neq_f32_e64 s16, 0x7f800000, |v31|
	v_cndmask_b32_e64 v38, 0, v38, s17
	v_cmp_eq_f32_e64 s17, 0x42b17218, v40
	v_cndmask_b32_e64 v41, 0, 0x37000000, s18
	v_cmp_neq_f32_e64 s18, 0x7f800000, |v33|
	v_dual_sub_f32 v33, v33, v36 :: v_dual_sub_f32 v34, v34, v39
	v_sub_f32_e32 v32, v32, v43
	v_cndmask_b32_e64 v42, 0, 0x37000000, s17
	s_delay_alu instid0(VALU_DEP_4) | instskip(SKIP_3) | instid1(VALU_DEP_4)
	v_cndmask_b32_e64 v35, 0, v35, s18
	v_cndmask_b32_e64 v37, 0, v37, s16
	v_sub_f32_e32 v31, v31, v41
	v_cmp_neq_f32_e64 s16, 0x7f800000, |v40|
	v_dual_add_f32 v38, v39, v38 :: v_dual_add_f32 v35, v36, v35
	v_dual_mul_f32 v36, 0x3fb8aa3b, v33 :: v_dual_mul_f32 v39, 0x3fb8aa3b, v34
	s_delay_alu instid0(VALU_DEP_3) | instskip(SKIP_2) | instid1(VALU_DEP_4)
	v_cndmask_b32_e64 v32, 0, v32, s16
	v_dual_sub_f32 v40, v40, v42 :: v_dual_add_f32 v37, v41, v37
	v_mul_f32_e32 v41, 0x3fb8aa3b, v31
	v_fma_f32 v43, 0x3fb8aa3b, v33, -v36
	v_rndne_f32_e32 v44, v36
	v_fma_f32 v45, 0x3fb8aa3b, v34, -v39
	v_rndne_f32_e32 v46, v39
	v_add_f32_e32 v32, v42, v32
	v_mul_f32_e32 v42, 0x3fb8aa3b, v40
	v_fma_f32 v47, 0x3fb8aa3b, v31, -v41
	v_rndne_f32_e32 v48, v41
	v_dual_fmac_f32 v43, 0x32a5705f, v33 :: v_dual_sub_f32 v36, v36, v44
	v_fmac_f32_e32 v45, 0x32a5705f, v34
	v_sub_f32_e32 v39, v39, v46
	v_fma_f32 v49, 0x3fb8aa3b, v40, -v42
	v_rndne_f32_e32 v50, v42
	v_fmac_f32_e32 v47, 0x32a5705f, v31
	v_dual_sub_f32 v41, v41, v48 :: v_dual_add_f32 v36, v36, v43
	v_add_f32_e32 v39, v39, v45
	s_delay_alu instid0(VALU_DEP_4) | instskip(NEXT) | instid1(VALU_DEP_3)
	v_dual_fmac_f32 v49, 0x32a5705f, v40 :: v_dual_sub_f32 v42, v42, v50
	v_add_f32_e32 v41, v41, v47
	s_delay_alu instid0(VALU_DEP_4) | instskip(NEXT) | instid1(VALU_DEP_3)
	v_exp_f32_e32 v36, v36
	v_exp_f32_e32 v39, v39
	v_cvt_i32_f32_e32 v44, v44
	v_add_f32_e32 v42, v42, v49
	v_exp_f32_e32 v41, v41
	v_cvt_i32_f32_e32 v46, v46
	v_cvt_i32_f32_e32 v48, v48
	;; [unrolled: 1-line block ×3, first 2 shown]
	v_exp_f32_e32 v42, v42
	v_cmp_ngt_f32_e64 s16, 0xc2ce8ed0, v34
	v_ldexp_f32 v36, v36, v44
	v_ldexp_f32 v39, v39, v46
	v_cmp_ngt_f32_e64 s17, 0xc2ce8ed0, v31
	v_cmp_ngt_f32_e64 s18, 0xc2ce8ed0, v33
	v_ldexp_f32 v41, v41, v48
	v_cmp_nlt_f32_e64 s19, 0x42b17218, v33
	v_cndmask_b32_e64 v39, 0, v39, s16
	v_cmp_nlt_f32_e64 s16, 0x42b17218, v34
	v_cndmask_b32_e64 v36, 0, v36, s18
	v_ldexp_f32 v34, v42, v43
	v_cmp_ngt_f32_e64 s18, 0xc2ce8ed0, v40
	v_cndmask_b32_e64 v41, 0, v41, s17
	v_cmp_nlt_f32_e64 s17, 0x42b17218, v31
	v_cndmask_b32_e64 v31, 0x7f800000, v36, s19
	v_cndmask_b32_e64 v33, 0x7f800000, v39, s16
	;; [unrolled: 1-line block ×3, first 2 shown]
	v_cmp_nlt_f32_e64 s16, 0x42b17218, v40
	v_cndmask_b32_e64 v36, 0x7f800000, v41, s17
	v_fma_f32 v35, v31, v35, v31
	v_fma_f32 v38, v33, v38, v33
	v_cmp_class_f32_e64 s17, v33, 0x204
	v_cndmask_b32_e64 v34, 0x7f800000, v34, s16
	v_fma_f32 v37, v36, v37, v36
	v_cmp_class_f32_e64 s16, v36, 0x204
	v_cmp_class_f32_e64 s18, v31, 0x204
	v_cndmask_b32_e64 v33, v38, v33, s17
	v_fma_f32 v32, v34, v32, v34
	s_delay_alu instid0(VALU_DEP_3) | instskip(SKIP_3) | instid1(VALU_DEP_4)
	v_cndmask_b32_e64 v31, v35, v31, s18
	v_cndmask_b32_e64 v35, v37, v36, s16
	v_cmp_class_f32_e64 s16, v34, 0x204
	v_bfi_b32 v24, 0x7fffffff, v33, v24
	v_bfi_b32 v22, 0x7fffffff, v31, v22
	s_delay_alu instid0(VALU_DEP_4) | instskip(NEXT) | instid1(VALU_DEP_4)
	v_bfi_b32 v29, 0x7fffffff, v35, v29
	v_cndmask_b32_e64 v31, v32, v34, s16
	s_delay_alu instid0(VALU_DEP_4)
	v_cndmask_b32_e64 v33, 0x7fc00000, v24, s8
	v_cmp_gt_f32_e64 s8, 0, v17
	v_cndmask_b32_e64 v32, 0x7fc00000, v22, s6
	v_cmp_gt_f32_e64 s6, 0, v16
	v_bfi_b32 v30, 0x7fffffff, v31, v30
	v_cndmask_b32_e64 v31, 0x7fc00000, v29, s10
	v_cmp_gt_f32_e64 s10, 0, v14
	s_delay_alu instid0(VALU_DEP_4) | instskip(SKIP_2) | instid1(VALU_DEP_4)
	v_cndmask_b32_e64 v24, v24, v33, s6
	v_cmp_eq_f32_e64 s6, 0x7f800000, v12
	v_cndmask_b32_e64 v12, 0x7fc00000, v30, s14
	v_cndmask_b32_e64 v22, v22, v32, s10
	v_cmp_eq_f32_e64 s14, 0x7f800000, v11
	v_cmp_gt_f32_e64 s10, 0, v18
	v_cndmask_b32_e64 v29, v29, v31, s8
	v_cmp_eq_f32_e64 s8, 0x7f800000, v13
	v_cndmask_b32_e64 v13, v24, v20, s6
	v_cndmask_b32_e64 v11, v22, v19, s14
	;; [unrolled: 1-line block ×3, first 2 shown]
	v_cmp_eq_f32_e64 s6, 0x7f800000, v15
	v_cndmask_b32_e64 v15, v29, v21, s8
	v_cndmask_b32_e64 v13, v13, v27, s5
	;; [unrolled: 1-line block ×3, first 2 shown]
	v_cmp_o_f32_e64 s4, v16, v6
	v_cndmask_b32_e64 v6, v12, v23, s6
	v_cndmask_b32_e64 v12, v15, v25, s7
	v_cmp_o_f32_e64 s6, v17, v7
	v_cmp_o_f32_e64 s7, v14, v5
	v_cndmask_b32_e64 v7, 0x7fc00000, v13, s4
	s_or_b32 s5, s11, s15
	v_cmp_o_f32_e64 s4, v18, v8
	v_cndmask_b32_e64 v6, v6, v28, s5
	v_cndmask_b32_e64 v5, 0x7fc00000, v11, s7
	;; [unrolled: 1-line block ×3, first 2 shown]
	v_bfe_u32 v12, v7, 16, 1
	s_and_b32 s2, exec_lo, s2
	v_cndmask_b32_e64 v6, 0x7fc00000, v6, s4
	v_bfe_u32 v8, v5, 16, 1
	v_bfe_u32 v13, v11, 16, 1
	v_add3_u32 v12, v7, v12, 0x7fff
	v_cmp_o_f32_e64 s4, v7, v7
	v_bfe_u32 v14, v6, 16, 1
	v_add3_u32 v8, v5, v8, 0x7fff
	v_add3_u32 v13, v11, v13, 0x7fff
	v_and_b32_e32 v12, 0xffff0000, v12
	v_cmp_o_f32_e64 s5, v5, v5
	v_add3_u32 v14, v6, v14, 0x7fff
	v_lshrrev_b32_e32 v8, 16, v8
	v_and_b32_e32 v7, 0xffff0000, v13
	v_cndmask_b32_e64 v12, 0x7fc00000, v12, s4
	v_cmp_o_f32_e64 s4, v11, v11
	s_or_b32 s41, s2, s41
	v_cndmask_b32_e64 v5, 0x7fc0, v8, s5
	v_lshrrev_b32_e32 v8, 16, v14
	s_delay_alu instid0(VALU_DEP_3) | instskip(SKIP_1) | instid1(VALU_DEP_4)
	v_cndmask_b32_e64 v7, 0x7fc00000, v7, s4
	v_cmp_o_f32_e64 s4, v6, v6
	v_or_b32_e32 v5, v5, v12
	s_delay_alu instid0(VALU_DEP_2) | instskip(NEXT) | instid1(VALU_DEP_2)
	v_cndmask_b32_e64 v6, 0x7fc0, v8, s4
	v_or3_b32 v5, v5, 0, 0
	s_delay_alu instid0(VALU_DEP_2)
	v_or3_b32 v6, 0, v6, v7
	global_store_b64 v[3:4], v[5:6], off
	s_and_not1_b32 exec_lo, exec_lo, s41
	s_cbranch_execnz .LBB143_3
.LBB143_4:
	s_or_b32 exec_lo, exec_lo, s40
	s_mov_b32 s2, 0
.LBB143_5:
	s_delay_alu instid0(SALU_CYCLE_1)
	s_and_not1_b32 vcc_lo, exec_lo, s2
	s_cbranch_vccnz .LBB143_25
; %bb.6:
	v_cmp_lt_i64_e64 s2, s[34:35], 1
	s_delay_alu instid0(VALU_DEP_1)
	s_and_b32 vcc_lo, exec_lo, s2
	s_cbranch_vccnz .LBB143_25
; %bb.7:
	s_load_b32 s0, s[0:1], 0xc5c
	v_dual_mov_b32 v2, 0 :: v_dual_lshlrev_b32 v1, 1, v0
	v_cmp_gt_u64_e64 s1, 0x10000, s[34:35]
	s_mov_b32 s7, 0
	s_mov_b64 s[10:11], 0
	s_delay_alu instid0(VALU_DEP_2) | instskip(NEXT) | instid1(VALU_DEP_1)
	v_add_co_u32 v3, s2, s36, v1
	v_add_co_ci_u32_e64 v4, null, s37, 0, s2
	v_add_co_u32 v5, s2, s38, v1
	s_delay_alu instid0(VALU_DEP_1)
	v_add_co_ci_u32_e64 v6, null, s39, 0, s2
	s_mov_b32 s14, 0x3e76c4e1
	s_waitcnt lgkmcnt(0)
	s_and_b32 s0, s0, 0xffff
	s_and_b32 s1, s1, exec_lo
	v_mad_u64_u32 v[9:10], null, s0, 6, v[1:2]
	s_cselect_b32 s9, s35, 0
	s_cselect_b32 s8, s34, 0x10000
	s_lshl_b32 s12, s0, 2
	s_mul_i32 s2, s0, 3
	v_add_co_u32 v1, s3, s12, v1
	s_delay_alu instid0(VALU_DEP_2) | instskip(NEXT) | instid1(VALU_DEP_3)
	v_add_co_u32 v7, vcc_lo, s36, v9
	v_add_co_ci_u32_e32 v8, vcc_lo, s37, v10, vcc_lo
	v_add_co_u32 v11, s2, s2, v0
	v_add_co_u32 v9, vcc_lo, s38, v9
	v_add_co_ci_u32_e64 v2, null, 0, 0, s3
	v_add_co_ci_u32_e64 v12, null, 0, 0, s2
	v_add_co_u32 v15, s2, v0, s0
	v_add_co_ci_u32_e32 v10, vcc_lo, s39, v10, vcc_lo
	v_add_co_u32 v13, vcc_lo, s36, v1
	v_add_co_ci_u32_e32 v14, vcc_lo, s37, v2, vcc_lo
	v_add_co_u32 v16, vcc_lo, s38, v1
	v_lshlrev_b32_e32 v1, 1, v15
	s_lshl_b32 s1, s0, 1
	v_add_co_ci_u32_e32 v17, vcc_lo, s39, v2, vcc_lo
	v_add_co_u32 v19, s1, s1, v0
	s_delay_alu instid0(VALU_DEP_1) | instskip(SKIP_1) | instid1(VALU_DEP_1)
	v_add_co_ci_u32_e64 v20, null, 0, 0, s1
	v_add_co_u32 v21, s1, s36, v1
	v_add_co_ci_u32_e64 v22, null, s37, 0, s1
	v_add_co_u32 v23, s1, s38, v1
	v_add_co_ci_u32_e64 v18, null, 0, 0, s2
	v_add_co_ci_u32_e64 v24, null, s39, 0, s1
	s_lshl_b32 s13, s0, 3
	s_branch .LBB143_9
.LBB143_8:                              ;   in Loop: Header=BB143_9 Depth=1
	s_or_b32 exec_lo, exec_lo, s4
	v_add_co_u32 v3, vcc_lo, v3, s13
	v_add_co_ci_u32_e32 v4, vcc_lo, 0, v4, vcc_lo
	v_add_co_u32 v5, vcc_lo, v5, s13
	v_add_co_ci_u32_e32 v6, vcc_lo, 0, v6, vcc_lo
	;; [unrolled: 2-line block ×5, first 2 shown]
	s_add_u32 s10, s10, s12
	v_add_co_u32 v16, vcc_lo, v16, s13
	s_addc_u32 s11, s11, 0
	v_add_co_ci_u32_e32 v17, vcc_lo, 0, v17, vcc_lo
	v_cmp_ge_i64_e64 s0, s[10:11], s[34:35]
	v_cmp_lt_u64_e64 s1, 0xffff, s[10:11]
	v_add_co_u32 v21, vcc_lo, v21, s13
	v_add_co_ci_u32_e32 v22, vcc_lo, 0, v22, vcc_lo
	v_add_co_u32 v23, vcc_lo, v23, s13
	v_add_co_ci_u32_e32 v24, vcc_lo, 0, v24, vcc_lo
	s_or_b32 s0, s0, s1
	s_delay_alu instid0(SALU_CYCLE_1)
	s_and_b32 vcc_lo, exec_lo, s0
	s_cbranch_vccnz .LBB143_25
.LBB143_9:                              ; =>This Inner Loop Header: Depth=1
	v_add_co_u32 v1, s0, v0, s10
	s_delay_alu instid0(VALU_DEP_1) | instskip(SKIP_2) | instid1(VALU_DEP_2)
	v_add_co_ci_u32_e64 v2, null, 0, s11, s0
	s_waitcnt vmcnt(0)
	v_mov_b32_e32 v28, 0
	v_cmp_gt_u64_e64 s2, s[8:9], v[1:2]
	v_mov_b32_e32 v1, 0
	v_mov_b32_e32 v2, 0
	s_delay_alu instid0(VALU_DEP_3)
	s_and_saveexec_b32 s0, s2
	s_cbranch_execz .LBB143_11
; %bb.10:                               ;   in Loop: Header=BB143_9 Depth=1
	v_add_co_u32 v1, vcc_lo, v3, s30
	v_add_co_ci_u32_e32 v2, vcc_lo, s31, v4, vcc_lo
	global_load_u16 v25, v[1:2], off
	v_add_co_u32 v1, vcc_lo, v5, s30
	v_add_co_ci_u32_e32 v2, vcc_lo, s31, v6, vcc_lo
	global_load_u16 v28, v[1:2], off
	s_waitcnt vmcnt(1)
	v_dual_mov_b32 v2, s7 :: v_dual_and_b32 v1, 0xffff, v25
.LBB143_11:                             ;   in Loop: Header=BB143_9 Depth=1
	s_or_b32 exec_lo, exec_lo, s0
	v_add_co_u32 v25, vcc_lo, v15, s10
	v_add_co_ci_u32_e32 v26, vcc_lo, s11, v18, vcc_lo
	v_mov_b32_e32 v27, 0
	s_delay_alu instid0(VALU_DEP_2) | instskip(SKIP_1) | instid1(VALU_DEP_2)
	v_cmp_gt_u64_e64 s1, s[8:9], v[25:26]
	v_mov_b32_e32 v26, 0
	s_and_saveexec_b32 s0, s1
	s_cbranch_execz .LBB143_13
; %bb.12:                               ;   in Loop: Header=BB143_9 Depth=1
	v_add_co_u32 v29, vcc_lo, v21, s30
	v_add_co_ci_u32_e32 v30, vcc_lo, s31, v22, vcc_lo
	global_load_u16 v25, v[29:30], off
	v_add_co_u32 v29, vcc_lo, v23, s30
	v_add_co_ci_u32_e32 v30, vcc_lo, s31, v24, vcc_lo
	global_load_u16 v27, v[29:30], off
	s_waitcnt vmcnt(1)
	v_lshl_or_b32 v1, v25, 16, v1
.LBB143_13:                             ;   in Loop: Header=BB143_9 Depth=1
	s_or_b32 exec_lo, exec_lo, s0
	v_add_co_u32 v29, vcc_lo, v19, s10
	v_add_co_ci_u32_e32 v30, vcc_lo, s11, v20, vcc_lo
	s_delay_alu instid0(VALU_DEP_1) | instskip(NEXT) | instid1(VALU_DEP_1)
	v_cmp_gt_u64_e64 s0, s[8:9], v[29:30]
	s_and_saveexec_b32 s3, s0
	s_cbranch_execz .LBB143_15
; %bb.14:                               ;   in Loop: Header=BB143_9 Depth=1
	v_add_co_u32 v25, vcc_lo, v13, s30
	v_add_co_ci_u32_e32 v26, vcc_lo, s31, v14, vcc_lo
	global_load_u16 v29, v[25:26], off
	v_add_co_u32 v25, vcc_lo, v16, s30
	v_add_co_ci_u32_e32 v26, vcc_lo, s31, v17, vcc_lo
	global_load_u16 v26, v[25:26], off
	s_waitcnt vmcnt(1)
	v_or_b32_e32 v2, v29, v2
.LBB143_15:                             ;   in Loop: Header=BB143_9 Depth=1
	s_or_b32 exec_lo, exec_lo, s3
	v_add_co_u32 v29, vcc_lo, v11, s10
	v_add_co_ci_u32_e32 v30, vcc_lo, s11, v12, vcc_lo
	v_mov_b32_e32 v25, 0
	s_delay_alu instid0(VALU_DEP_2)
	v_cmp_gt_u64_e32 vcc_lo, s[8:9], v[29:30]
	s_and_saveexec_b32 s4, vcc_lo
	s_cbranch_execnz .LBB143_20
; %bb.16:                               ;   in Loop: Header=BB143_9 Depth=1
	s_or_b32 exec_lo, exec_lo, s4
	s_and_saveexec_b32 s15, s2
	s_cbranch_execnz .LBB143_21
.LBB143_17:                             ;   in Loop: Header=BB143_9 Depth=1
	s_or_b32 exec_lo, exec_lo, s15
	s_and_saveexec_b32 s6, s1
	s_cbranch_execnz .LBB143_22
.LBB143_18:                             ;   in Loop: Header=BB143_9 Depth=1
	s_or_b32 exec_lo, exec_lo, s6
	s_and_saveexec_b32 s5, s0
	s_cbranch_execnz .LBB143_23
.LBB143_19:                             ;   in Loop: Header=BB143_9 Depth=1
	s_or_b32 exec_lo, exec_lo, s5
	s_and_saveexec_b32 s4, vcc_lo
	s_cbranch_execz .LBB143_8
	s_branch .LBB143_24
.LBB143_20:                             ;   in Loop: Header=BB143_9 Depth=1
	v_add_co_u32 v29, s3, v7, s30
	s_delay_alu instid0(VALU_DEP_1) | instskip(SKIP_3) | instid1(VALU_DEP_1)
	v_add_co_ci_u32_e64 v30, s3, s31, v8, s3
	v_mov_b32_e32 v31, 0
	global_load_d16_hi_b16 v31, v[29:30], off
	v_add_co_u32 v29, s3, v9, s30
	v_add_co_ci_u32_e64 v30, s3, s31, v10, s3
	global_load_u16 v25, v[29:30], off
	s_waitcnt vmcnt(1)
	v_or_b32_e32 v2, v31, v2
	s_or_b32 exec_lo, exec_lo, s4
	s_and_saveexec_b32 s15, s2
	s_cbranch_execz .LBB143_17
.LBB143_21:                             ;   in Loop: Header=BB143_9 Depth=1
	s_waitcnt vmcnt(0)
	v_lshlrev_b32_e32 v28, 16, v28
	s_delay_alu instid0(VALU_DEP_1) | instskip(NEXT) | instid1(VALU_DEP_1)
	v_dual_mul_f32 v30, s33, v28 :: v_dual_lshlrev_b32 v29, 16, v1
	v_cmp_eq_f32_e64 s2, 1.0, v29
	s_delay_alu instid0(VALU_DEP_1) | instskip(SKIP_1) | instid1(VALU_DEP_2)
	v_cndmask_b32_e64 v31, v30, 1.0, s2
	v_cndmask_b32_e64 v30, |v30|, 1.0, s2
	v_cmp_eq_f32_e64 s3, 0, v31
	v_cmp_gt_f32_e64 s5, 0, v31
	s_delay_alu instid0(VALU_DEP_2) | instskip(SKIP_1) | instid1(VALU_DEP_2)
	v_cndmask_b32_e64 v33, |v29|, 1.0, s3
	v_cndmask_b32_e64 v32, v29, 1.0, s3
	v_cvt_f64_f32_e32 v[28:29], v33
	s_delay_alu instid0(VALU_DEP_2) | instskip(NEXT) | instid1(VALU_DEP_2)
	v_cmp_eq_f32_e64 s6, 0, v32
	v_frexp_exp_i32_f64_e32 v28, v[28:29]
	v_frexp_mant_f32_e32 v29, v33
	s_delay_alu instid0(VALU_DEP_1) | instskip(NEXT) | instid1(VALU_DEP_1)
	v_cmp_gt_f32_e64 s3, 0x3f2aaaab, v29
	v_cndmask_b32_e64 v34, 1.0, 2.0, s3
	s_delay_alu instid0(VALU_DEP_1) | instskip(NEXT) | instid1(VALU_DEP_1)
	v_mul_f32_e32 v29, v29, v34
	v_add_f32_e32 v36, -1.0, v29
	v_add_f32_e32 v34, 1.0, v29
	s_delay_alu instid0(VALU_DEP_1) | instskip(SKIP_3) | instid1(VALU_DEP_2)
	v_rcp_f32_e32 v35, v34
	s_waitcnt_depctr 0xfff
	v_dual_mul_f32 v37, v36, v35 :: v_dual_add_f32 v38, -1.0, v34
	v_subrev_co_ci_u32_e64 v28, s4, 0, v28, s3
	v_mul_f32_e32 v39, v34, v37
	s_delay_alu instid0(VALU_DEP_3) | instskip(NEXT) | instid1(VALU_DEP_3)
	v_sub_f32_e32 v29, v29, v38
	v_cvt_f32_i32_e32 v28, v28
	s_delay_alu instid0(VALU_DEP_3) | instskip(NEXT) | instid1(VALU_DEP_1)
	v_fma_f32 v34, v37, v34, -v39
	v_fmac_f32_e32 v34, v37, v29
	s_delay_alu instid0(VALU_DEP_1) | instskip(NEXT) | instid1(VALU_DEP_1)
	v_add_f32_e32 v29, v39, v34
	v_dual_sub_f32 v38, v36, v29 :: v_dual_sub_f32 v39, v29, v39
	s_delay_alu instid0(VALU_DEP_1) | instskip(NEXT) | instid1(VALU_DEP_2)
	v_sub_f32_e32 v34, v39, v34
	v_sub_f32_e32 v36, v36, v38
	s_delay_alu instid0(VALU_DEP_1) | instskip(NEXT) | instid1(VALU_DEP_1)
	v_sub_f32_e32 v29, v36, v29
	v_add_f32_e32 v29, v34, v29
	s_delay_alu instid0(VALU_DEP_1) | instskip(NEXT) | instid1(VALU_DEP_1)
	v_add_f32_e32 v29, v38, v29
	v_mul_f32_e32 v29, v35, v29
	s_delay_alu instid0(VALU_DEP_1) | instskip(NEXT) | instid1(VALU_DEP_1)
	v_add_f32_e32 v34, v37, v29
	v_mul_f32_e32 v36, v34, v34
	v_sub_f32_e32 v35, v34, v37
	s_delay_alu instid0(VALU_DEP_1) | instskip(NEXT) | instid1(VALU_DEP_3)
	v_sub_f32_e32 v29, v29, v35
	v_fma_f32 v35, v34, v34, -v36
	s_delay_alu instid0(VALU_DEP_2) | instskip(NEXT) | instid1(VALU_DEP_1)
	v_add_f32_e32 v37, v29, v29
	v_fmac_f32_e32 v35, v34, v37
	s_delay_alu instid0(VALU_DEP_1) | instskip(NEXT) | instid1(VALU_DEP_1)
	v_add_f32_e32 v37, v36, v35
	v_fmaak_f32 v38, s14, v37, 0x3e91f4c4
	v_sub_f32_e32 v36, v37, v36
	s_delay_alu instid0(VALU_DEP_1) | instskip(NEXT) | instid1(VALU_DEP_1)
	v_dual_fmaak_f32 v38, v37, v38, 0x3ecccdef :: v_dual_sub_f32 v35, v35, v36
	v_mul_f32_e32 v39, v37, v38
	s_delay_alu instid0(VALU_DEP_1) | instskip(NEXT) | instid1(VALU_DEP_1)
	v_fma_f32 v36, v37, v38, -v39
	v_dual_fmac_f32 v36, v35, v38 :: v_dual_mul_f32 v41, v34, v37
	s_delay_alu instid0(VALU_DEP_1) | instskip(NEXT) | instid1(VALU_DEP_2)
	v_add_f32_e32 v38, v39, v36
	v_fma_f32 v42, v37, v34, -v41
	s_delay_alu instid0(VALU_DEP_1) | instskip(SKIP_2) | instid1(VALU_DEP_3)
	v_dual_sub_f32 v39, v38, v39 :: v_dual_fmac_f32 v42, v37, v29
	v_add_f32_e32 v40, 0x3f2aaaaa, v38
	v_ldexp_f32 v29, v29, 1
	v_sub_f32_e32 v36, v36, v39
	s_delay_alu instid0(VALU_DEP_4) | instskip(SKIP_1) | instid1(VALU_DEP_3)
	v_fmac_f32_e32 v42, v35, v34
	v_ldexp_f32 v34, v34, 1
	v_add_f32_e32 v36, 0x31739010, v36
	v_add_f32_e32 v39, 0xbf2aaaaa, v40
	s_delay_alu instid0(VALU_DEP_1) | instskip(NEXT) | instid1(VALU_DEP_1)
	v_sub_f32_e32 v38, v38, v39
	v_add_f32_e32 v36, v36, v38
	s_delay_alu instid0(VALU_DEP_1) | instskip(NEXT) | instid1(VALU_DEP_1)
	v_add_f32_e32 v35, v40, v36
	v_dual_add_f32 v37, v41, v42 :: v_dual_sub_f32 v38, v40, v35
	s_delay_alu instid0(VALU_DEP_1) | instskip(SKIP_1) | instid1(VALU_DEP_3)
	v_mul_f32_e32 v39, v37, v35
	v_sub_f32_e32 v40, v37, v41
	v_add_f32_e32 v36, v36, v38
	s_delay_alu instid0(VALU_DEP_3) | instskip(NEXT) | instid1(VALU_DEP_3)
	v_fma_f32 v38, v37, v35, -v39
	v_sub_f32_e32 v40, v42, v40
	s_delay_alu instid0(VALU_DEP_2) | instskip(NEXT) | instid1(VALU_DEP_1)
	v_fmac_f32_e32 v38, v37, v36
	v_fmac_f32_e32 v38, v40, v35
	s_delay_alu instid0(VALU_DEP_1) | instskip(NEXT) | instid1(VALU_DEP_1)
	v_add_f32_e32 v35, v39, v38
	v_sub_f32_e32 v36, v35, v39
	v_add_f32_e32 v37, v34, v35
	v_mul_f32_e32 v39, 0x3f317218, v28
	s_delay_alu instid0(VALU_DEP_3) | instskip(NEXT) | instid1(VALU_DEP_3)
	v_sub_f32_e32 v36, v38, v36
	v_sub_f32_e32 v34, v37, v34
	s_delay_alu instid0(VALU_DEP_3) | instskip(NEXT) | instid1(VALU_DEP_2)
	v_fma_f32 v38, 0x3f317218, v28, -v39
	v_dual_add_f32 v29, v29, v36 :: v_dual_sub_f32 v34, v35, v34
	s_delay_alu instid0(VALU_DEP_2) | instskip(NEXT) | instid1(VALU_DEP_2)
	v_fmac_f32_e32 v38, 0xb102e308, v28
	v_add_f32_e32 v28, v29, v34
	s_delay_alu instid0(VALU_DEP_1) | instskip(NEXT) | instid1(VALU_DEP_1)
	v_dual_add_f32 v29, v39, v38 :: v_dual_add_f32 v34, v37, v28
	v_sub_f32_e32 v39, v29, v39
	s_delay_alu instid0(VALU_DEP_2) | instskip(SKIP_1) | instid1(VALU_DEP_2)
	v_add_f32_e32 v35, v29, v34
	v_sub_f32_e32 v37, v34, v37
	v_sub_f32_e32 v36, v35, v29
	s_delay_alu instid0(VALU_DEP_2) | instskip(NEXT) | instid1(VALU_DEP_2)
	v_sub_f32_e32 v28, v28, v37
	v_sub_f32_e32 v40, v35, v36
	s_delay_alu instid0(VALU_DEP_1) | instskip(SKIP_1) | instid1(VALU_DEP_1)
	v_sub_f32_e32 v29, v29, v40
	v_sub_f32_e32 v34, v34, v36
	v_add_f32_e32 v29, v34, v29
	v_sub_f32_e32 v38, v38, v39
	s_delay_alu instid0(VALU_DEP_1) | instskip(NEXT) | instid1(VALU_DEP_1)
	v_add_f32_e32 v36, v38, v28
	v_add_f32_e32 v29, v36, v29
	s_delay_alu instid0(VALU_DEP_1) | instskip(NEXT) | instid1(VALU_DEP_1)
	v_dual_sub_f32 v34, v36, v38 :: v_dual_add_f32 v37, v35, v29
	v_dual_sub_f32 v36, v36, v34 :: v_dual_sub_f32 v35, v37, v35
	s_delay_alu instid0(VALU_DEP_1) | instskip(NEXT) | instid1(VALU_DEP_2)
	v_dual_sub_f32 v29, v29, v35 :: v_dual_sub_f32 v28, v28, v34
	v_sub_f32_e32 v34, v38, v36
	s_delay_alu instid0(VALU_DEP_1) | instskip(NEXT) | instid1(VALU_DEP_1)
	v_add_f32_e32 v28, v28, v34
	v_add_f32_e32 v28, v28, v29
	s_delay_alu instid0(VALU_DEP_1) | instskip(NEXT) | instid1(VALU_DEP_1)
	v_add_f32_e32 v29, v37, v28
	v_sub_f32_e32 v34, v29, v37
	s_delay_alu instid0(VALU_DEP_1) | instskip(NEXT) | instid1(VALU_DEP_1)
	v_dual_mul_f32 v35, v31, v29 :: v_dual_sub_f32 v28, v28, v34
	v_fma_f32 v29, v31, v29, -v35
	v_cmp_class_f32_e64 s3, v35, 0x204
	s_delay_alu instid0(VALU_DEP_2) | instskip(NEXT) | instid1(VALU_DEP_1)
	v_fmac_f32_e32 v29, v31, v28
	v_add_f32_e32 v28, v35, v29
	s_delay_alu instid0(VALU_DEP_1) | instskip(SKIP_1) | instid1(VALU_DEP_2)
	v_cndmask_b32_e64 v34, v28, v35, s3
	v_sub_f32_e32 v28, v28, v35
	v_cmp_eq_f32_e64 s3, 0x42b17218, v34
	s_delay_alu instid0(VALU_DEP_2) | instskip(SKIP_1) | instid1(VALU_DEP_3)
	v_sub_f32_e32 v28, v29, v28
	v_trunc_f32_e32 v29, v31
	v_cndmask_b32_e64 v36, 0, 0x37000000, s3
	v_cmp_neq_f32_e64 s3, 0x7f800000, |v34|
	s_delay_alu instid0(VALU_DEP_2) | instskip(NEXT) | instid1(VALU_DEP_2)
	v_sub_f32_e32 v37, v34, v36
	v_cndmask_b32_e64 v28, 0, v28, s3
	s_delay_alu instid0(VALU_DEP_2) | instskip(SKIP_2) | instid1(VALU_DEP_4)
	v_mul_f32_e32 v38, 0x3fb8aa3b, v37
	v_cmp_ngt_f32_e64 s3, 0xc2ce8ed0, v37
	v_cmp_nlt_f32_e64 s4, 0x42b17218, v37
	v_add_f32_e32 v28, v36, v28
	s_delay_alu instid0(VALU_DEP_4) | instskip(SKIP_1) | instid1(VALU_DEP_1)
	v_fma_f32 v39, 0x3fb8aa3b, v37, -v38
	v_rndne_f32_e32 v40, v38
	v_dual_fmac_f32 v39, 0x32a5705f, v37 :: v_dual_sub_f32 v38, v38, v40
	v_cvt_i32_f32_e32 v35, v40
	s_delay_alu instid0(VALU_DEP_2) | instskip(NEXT) | instid1(VALU_DEP_1)
	v_add_f32_e32 v38, v38, v39
	v_exp_f32_e32 v38, v38
	s_waitcnt_depctr 0xfff
	v_ldexp_f32 v35, v38, v35
	v_mul_f32_e32 v38, 0.5, v31
	s_delay_alu instid0(VALU_DEP_2) | instskip(NEXT) | instid1(VALU_DEP_2)
	v_cndmask_b32_e64 v34, 0, v35, s3
	v_trunc_f32_e32 v35, v38
	v_cmp_eq_f32_e64 s3, v29, v31
	s_delay_alu instid0(VALU_DEP_3) | instskip(NEXT) | instid1(VALU_DEP_3)
	v_cndmask_b32_e64 v29, 0x7f800000, v34, s4
	v_cmp_neq_f32_e64 s4, v35, v38
	s_delay_alu instid0(VALU_DEP_2) | instskip(NEXT) | instid1(VALU_DEP_2)
	v_fma_f32 v28, v29, v28, v29
	s_and_b32 s2, s3, s4
	v_cmp_gt_f32_e64 s4, 1.0, v33
	v_cndmask_b32_e64 v34, 0, v32, s2
	v_cndmask_b32_e64 v35, 1.0, v32, s2
	v_cmp_class_f32_e64 s2, v29, 0x204
	s_delay_alu instid0(VALU_DEP_1) | instskip(SKIP_1) | instid1(VALU_DEP_2)
	v_cndmask_b32_e64 v28, v28, v29, s2
	v_cmp_neq_f32_e64 s2, v31, v30
	v_bfi_b32 v28, 0x7fffffff, v28, v35
	s_delay_alu instid0(VALU_DEP_2) | instskip(NEXT) | instid1(SALU_CYCLE_1)
	s_xor_b32 s2, s2, s4
	v_cndmask_b32_e64 v29, v30, 0, s2
	s_xor_b32 s2, s5, s6
	s_delay_alu instid0(VALU_DEP_2) | instskip(SKIP_3) | instid1(VALU_DEP_2)
	v_cndmask_b32_e64 v35, 0x7fc00000, v28, s3
	v_cndmask_b32_e64 v36, 0x7f800000, 0, s2
	v_cmp_eq_f32_e64 s2, 1.0, v33
	v_cmp_eq_f32_e64 s3, 0x7f800000, v30
	v_cndmask_b32_e64 v29, v29, v33, s2
	v_cmp_gt_f32_e64 s2, 0, v32
	s_delay_alu instid0(VALU_DEP_1) | instskip(SKIP_2) | instid1(VALU_DEP_3)
	v_cndmask_b32_e64 v28, v28, v35, s2
	v_cmp_eq_f32_e64 s2, 0x7f800000, v33
	v_bfi_b32 v33, 0x7fffffff, v36, v34
	v_cndmask_b32_e64 v28, v28, v29, s3
	s_delay_alu instid0(VALU_DEP_3)
	s_or_b32 s2, s2, s6
	s_delay_alu instid0(VALU_DEP_1) | instid1(SALU_CYCLE_1)
	v_cndmask_b32_e64 v28, v28, v33, s2
	v_cmp_o_f32_e64 s2, v32, v31
	s_delay_alu instid0(VALU_DEP_1) | instskip(NEXT) | instid1(VALU_DEP_1)
	v_cndmask_b32_e64 v30, 0x7fc00000, v28, s2
	v_bfe_u32 v28, v30, 16, 1
	s_delay_alu instid0(VALU_DEP_1) | instskip(NEXT) | instid1(VALU_DEP_1)
	v_add3_u32 v28, v30, v28, 0x7fff
	v_lshrrev_b32_e32 v31, 16, v28
	v_add_co_u32 v28, s2, v3, s30
	s_delay_alu instid0(VALU_DEP_1) | instskip(SKIP_1) | instid1(VALU_DEP_1)
	v_add_co_ci_u32_e64 v29, s2, s31, v4, s2
	v_cmp_o_f32_e64 s2, v30, v30
	v_cndmask_b32_e64 v30, 0x7fc0, v31, s2
	global_store_b16 v[28:29], v30, off
	s_or_b32 exec_lo, exec_lo, s15
	s_and_saveexec_b32 s6, s1
	s_cbranch_execz .LBB143_18
.LBB143_22:                             ;   in Loop: Header=BB143_9 Depth=1
	s_waitcnt vmcnt(0)
	v_lshlrev_b32_e32 v27, 16, v27
	s_delay_alu instid0(VALU_DEP_1) | instskip(NEXT) | instid1(VALU_DEP_1)
	v_dual_mul_f32 v30, s33, v27 :: v_dual_and_b32 v29, 0xffff0000, v1
	v_cmp_eq_f32_e64 s2, 1.0, v29
	s_delay_alu instid0(VALU_DEP_1) | instskip(NEXT) | instid1(VALU_DEP_1)
	v_cndmask_b32_e64 v31, v30, 1.0, s2
	v_cmp_eq_f32_e64 s1, 0, v31
	s_delay_alu instid0(VALU_DEP_1) | instskip(SKIP_1) | instid1(VALU_DEP_2)
	v_cndmask_b32_e64 v32, |v29|, 1.0, s1
	v_cndmask_b32_e64 v29, v29, 1.0, s1
	v_frexp_mant_f32_e32 v27, v32
	v_cmp_gt_f32_e64 s4, 1.0, v32
	s_delay_alu instid0(VALU_DEP_2) | instskip(NEXT) | instid1(VALU_DEP_1)
	v_cmp_gt_f32_e64 s3, 0x3f2aaaab, v27
	v_cndmask_b32_e64 v28, 1.0, 2.0, s3
	s_delay_alu instid0(VALU_DEP_1) | instskip(NEXT) | instid1(VALU_DEP_1)
	v_mul_f32_e32 v27, v27, v28
	v_add_f32_e32 v34, -1.0, v27
	v_add_f32_e32 v28, 1.0, v27
	s_delay_alu instid0(VALU_DEP_1) | instskip(SKIP_2) | instid1(VALU_DEP_1)
	v_rcp_f32_e32 v33, v28
	s_waitcnt_depctr 0xfff
	v_dual_mul_f32 v35, v34, v33 :: v_dual_add_f32 v36, -1.0, v28
	v_sub_f32_e32 v27, v27, v36
	s_delay_alu instid0(VALU_DEP_2) | instskip(NEXT) | instid1(VALU_DEP_1)
	v_mul_f32_e32 v37, v28, v35
	v_fma_f32 v28, v35, v28, -v37
	s_delay_alu instid0(VALU_DEP_1) | instskip(NEXT) | instid1(VALU_DEP_1)
	v_fmac_f32_e32 v28, v35, v27
	v_add_f32_e32 v27, v37, v28
	s_delay_alu instid0(VALU_DEP_1) | instskip(NEXT) | instid1(VALU_DEP_1)
	v_sub_f32_e32 v36, v34, v27
	v_dual_sub_f32 v34, v34, v36 :: v_dual_sub_f32 v37, v27, v37
	s_delay_alu instid0(VALU_DEP_1) | instskip(NEXT) | instid1(VALU_DEP_1)
	v_dual_sub_f32 v27, v34, v27 :: v_dual_sub_f32 v28, v37, v28
	v_add_f32_e32 v27, v28, v27
	s_delay_alu instid0(VALU_DEP_1) | instskip(NEXT) | instid1(VALU_DEP_1)
	v_add_f32_e32 v27, v36, v27
	v_mul_f32_e32 v27, v33, v27
	s_delay_alu instid0(VALU_DEP_1) | instskip(NEXT) | instid1(VALU_DEP_1)
	v_add_f32_e32 v33, v35, v27
	v_sub_f32_e32 v28, v33, v35
	v_mul_f32_e32 v34, v33, v33
	s_delay_alu instid0(VALU_DEP_1) | instskip(NEXT) | instid1(VALU_DEP_3)
	v_fma_f32 v36, v33, v33, -v34
	v_sub_f32_e32 v35, v27, v28
	s_delay_alu instid0(VALU_DEP_1) | instskip(NEXT) | instid1(VALU_DEP_1)
	v_add_f32_e32 v27, v35, v35
	v_fmac_f32_e32 v36, v33, v27
	v_cvt_f64_f32_e32 v[27:28], v32
	s_delay_alu instid0(VALU_DEP_2) | instskip(NEXT) | instid1(VALU_DEP_1)
	v_add_f32_e32 v37, v34, v36
	v_fmaak_f32 v38, s14, v37, 0x3e91f4c4
	v_sub_f32_e32 v34, v37, v34
	v_mul_f32_e32 v41, v33, v37
	s_delay_alu instid0(VALU_DEP_3) | instskip(NEXT) | instid1(VALU_DEP_3)
	v_fmaak_f32 v38, v37, v38, 0x3ecccdef
	v_sub_f32_e32 v34, v36, v34
	s_delay_alu instid0(VALU_DEP_2) | instskip(NEXT) | instid1(VALU_DEP_1)
	v_mul_f32_e32 v39, v37, v38
	v_fma_f32 v36, v37, v38, -v39
	s_delay_alu instid0(VALU_DEP_1) | instskip(NEXT) | instid1(VALU_DEP_1)
	v_fmac_f32_e32 v36, v34, v38
	v_add_f32_e32 v38, v39, v36
	v_frexp_exp_i32_f64_e32 v27, v[27:28]
	s_delay_alu instid0(VALU_DEP_2) | instskip(NEXT) | instid1(VALU_DEP_1)
	v_dual_sub_f32 v39, v38, v39 :: v_dual_add_f32 v40, 0x3f2aaaaa, v38
	v_sub_f32_e32 v28, v36, v39
	s_delay_alu instid0(VALU_DEP_2) | instskip(SKIP_1) | instid1(VALU_DEP_1)
	v_add_f32_e32 v36, 0xbf2aaaaa, v40
	v_fma_f32 v39, v37, v33, -v41
	v_dual_sub_f32 v36, v38, v36 :: v_dual_fmac_f32 v39, v37, v35
	v_ldexp_f32 v35, v35, 1
	s_delay_alu instid0(VALU_DEP_2) | instskip(NEXT) | instid1(VALU_DEP_1)
	v_dual_fmac_f32 v39, v34, v33 :: v_dual_add_f32 v28, 0x31739010, v28
	v_add_f32_e32 v28, v28, v36
	s_delay_alu instid0(VALU_DEP_2) | instskip(NEXT) | instid1(VALU_DEP_2)
	v_add_f32_e32 v36, v41, v39
	v_add_f32_e32 v34, v40, v28
	s_delay_alu instid0(VALU_DEP_1) | instskip(SKIP_1) | instid1(VALU_DEP_2)
	v_sub_f32_e32 v37, v40, v34
	v_subrev_co_ci_u32_e64 v27, s3, 0, v27, s3
	v_add_f32_e32 v28, v28, v37
	s_delay_alu instid0(VALU_DEP_2) | instskip(SKIP_1) | instid1(VALU_DEP_1)
	v_cvt_f32_i32_e32 v27, v27
	v_sub_f32_e32 v40, v36, v41
	v_dual_sub_f32 v39, v39, v40 :: v_dual_mul_f32 v38, v36, v34
	s_delay_alu instid0(VALU_DEP_1) | instskip(NEXT) | instid1(VALU_DEP_1)
	v_fma_f32 v37, v36, v34, -v38
	v_fmac_f32_e32 v37, v36, v28
	v_ldexp_f32 v28, v33, 1
	s_delay_alu instid0(VALU_DEP_2) | instskip(NEXT) | instid1(VALU_DEP_1)
	v_fmac_f32_e32 v37, v39, v34
	v_add_f32_e32 v33, v38, v37
	s_delay_alu instid0(VALU_DEP_1) | instskip(SKIP_2) | instid1(VALU_DEP_3)
	v_sub_f32_e32 v36, v33, v38
	v_mul_f32_e32 v38, 0x3f317218, v27
	v_add_f32_e32 v34, v28, v33
	v_sub_f32_e32 v36, v37, v36
	s_delay_alu instid0(VALU_DEP_3) | instskip(NEXT) | instid1(VALU_DEP_1)
	v_fma_f32 v37, 0x3f317218, v27, -v38
	v_dual_fmac_f32 v37, 0xb102e308, v27 :: v_dual_sub_f32 v28, v34, v28
	s_delay_alu instid0(VALU_DEP_1) | instskip(NEXT) | instid1(VALU_DEP_4)
	v_sub_f32_e32 v28, v33, v28
	v_add_f32_e32 v33, v35, v36
	s_delay_alu instid0(VALU_DEP_1) | instskip(NEXT) | instid1(VALU_DEP_1)
	v_dual_add_f32 v27, v33, v28 :: v_dual_add_f32 v28, v38, v37
	v_add_f32_e32 v33, v34, v27
	s_delay_alu instid0(VALU_DEP_1) | instskip(NEXT) | instid1(VALU_DEP_1)
	v_dual_add_f32 v35, v28, v33 :: v_dual_sub_f32 v34, v33, v34
	v_sub_f32_e32 v36, v35, v28
	s_delay_alu instid0(VALU_DEP_2) | instskip(NEXT) | instid1(VALU_DEP_2)
	v_sub_f32_e32 v27, v27, v34
	v_dual_sub_f32 v39, v35, v36 :: v_dual_sub_f32 v38, v28, v38
	s_delay_alu instid0(VALU_DEP_1) | instskip(NEXT) | instid1(VALU_DEP_2)
	v_dual_sub_f32 v33, v33, v36 :: v_dual_sub_f32 v28, v28, v39
	v_sub_f32_e32 v37, v37, v38
	s_delay_alu instid0(VALU_DEP_2) | instskip(NEXT) | instid1(VALU_DEP_2)
	v_add_f32_e32 v28, v33, v28
	v_add_f32_e32 v34, v37, v27
	s_delay_alu instid0(VALU_DEP_1) | instskip(NEXT) | instid1(VALU_DEP_1)
	v_sub_f32_e32 v33, v34, v37
	v_dual_add_f32 v28, v34, v28 :: v_dual_sub_f32 v27, v27, v33
	s_delay_alu instid0(VALU_DEP_1) | instskip(SKIP_1) | instid1(VALU_DEP_1)
	v_add_f32_e32 v36, v35, v28
	v_sub_f32_e32 v34, v34, v33
	v_dual_sub_f32 v33, v37, v34 :: v_dual_sub_f32 v34, v36, v35
	s_delay_alu instid0(VALU_DEP_1) | instskip(NEXT) | instid1(VALU_DEP_1)
	v_dual_add_f32 v27, v27, v33 :: v_dual_sub_f32 v28, v28, v34
	v_add_f32_e32 v27, v27, v28
	s_delay_alu instid0(VALU_DEP_1) | instskip(NEXT) | instid1(VALU_DEP_1)
	v_add_f32_e32 v28, v36, v27
	v_sub_f32_e32 v33, v28, v36
	v_mul_f32_e32 v34, v31, v28
	s_delay_alu instid0(VALU_DEP_2) | instskip(NEXT) | instid1(VALU_DEP_2)
	v_sub_f32_e32 v27, v27, v33
	v_fma_f32 v28, v31, v28, -v34
	v_cmp_class_f32_e64 s3, v34, 0x204
	s_delay_alu instid0(VALU_DEP_2) | instskip(NEXT) | instid1(VALU_DEP_1)
	v_fmac_f32_e32 v28, v31, v27
	v_add_f32_e32 v27, v34, v28
	s_delay_alu instid0(VALU_DEP_1) | instskip(NEXT) | instid1(VALU_DEP_1)
	v_cndmask_b32_e64 v33, v27, v34, s3
	v_cmp_eq_f32_e64 s3, 0x42b17218, v33
	s_delay_alu instid0(VALU_DEP_1) | instskip(NEXT) | instid1(VALU_DEP_1)
	v_cndmask_b32_e64 v35, 0, 0x37000000, s3
	v_dual_sub_f32 v36, v33, v35 :: v_dual_sub_f32 v27, v27, v34
	s_delay_alu instid0(VALU_DEP_1) | instskip(NEXT) | instid1(VALU_DEP_2)
	v_mul_f32_e32 v37, 0x3fb8aa3b, v36
	v_sub_f32_e32 v27, v28, v27
	v_cndmask_b32_e64 v28, |v30|, 1.0, s2
	v_cmp_neq_f32_e64 s2, 0x7f800000, |v33|
	v_trunc_f32_e32 v33, v31
	v_fma_f32 v38, 0x3fb8aa3b, v36, -v37
	v_rndne_f32_e32 v39, v37
	v_cmp_neq_f32_e64 s1, v31, v28
	v_cndmask_b32_e64 v27, 0, v27, s2
	v_cmp_ngt_f32_e64 s2, 0xc2ce8ed0, v36
	s_delay_alu instid0(VALU_DEP_4) | instskip(SKIP_1) | instid1(VALU_DEP_4)
	v_dual_fmac_f32 v38, 0x32a5705f, v36 :: v_dual_sub_f32 v37, v37, v39
	v_cvt_i32_f32_e32 v34, v39
	v_add_f32_e32 v27, v35, v27
	s_xor_b32 s1, s1, s4
	v_cmp_eq_f32_e64 s4, 1.0, v32
	v_add_f32_e32 v37, v37, v38
	s_delay_alu instid0(VALU_DEP_1) | instskip(SKIP_3) | instid1(VALU_DEP_2)
	v_exp_f32_e32 v37, v37
	s_waitcnt_depctr 0xfff
	v_ldexp_f32 v30, v37, v34
	v_mul_f32_e32 v34, 0.5, v31
	v_cndmask_b32_e64 v30, 0, v30, s2
	v_cmp_nlt_f32_e64 s2, 0x42b17218, v36
	s_delay_alu instid0(VALU_DEP_3) | instskip(NEXT) | instid1(VALU_DEP_2)
	v_trunc_f32_e32 v37, v34
	v_cndmask_b32_e64 v30, 0x7f800000, v30, s2
	v_cmp_eq_f32_e64 s2, v33, v31
	s_delay_alu instid0(VALU_DEP_3) | instskip(NEXT) | instid1(VALU_DEP_3)
	v_cmp_neq_f32_e64 s3, v37, v34
	v_fma_f32 v27, v30, v27, v30
	v_cmp_class_f32_e64 s5, v30, 0x204
	s_delay_alu instid0(VALU_DEP_3) | instskip(NEXT) | instid1(SALU_CYCLE_1)
	s_and_b32 s3, s2, s3
	v_cndmask_b32_e64 v33, 1.0, v29, s3
	v_cndmask_b32_e64 v35, 0, v29, s3
	s_delay_alu instid0(VALU_DEP_3)
	v_cndmask_b32_e64 v27, v27, v30, s5
	v_cmp_gt_f32_e64 s5, 0, v31
	v_cndmask_b32_e64 v30, v28, 0, s1
	v_cmp_eq_f32_e64 s1, 0, v29
	v_cmp_eq_f32_e64 s3, 0x7f800000, v28
	v_bfi_b32 v27, 0x7fffffff, v27, v33
	s_delay_alu instid0(VALU_DEP_4) | instskip(NEXT) | instid1(VALU_DEP_2)
	v_cndmask_b32_e64 v30, v30, v32, s4
	v_cndmask_b32_e64 v33, 0x7fc00000, v27, s2
	s_xor_b32 s2, s5, s1
	s_delay_alu instid0(SALU_CYCLE_1) | instskip(SKIP_1) | instid1(VALU_DEP_1)
	v_cndmask_b32_e64 v34, 0x7f800000, 0, s2
	v_cmp_gt_f32_e64 s2, 0, v29
	v_cndmask_b32_e64 v27, v27, v33, s2
	v_cmp_eq_f32_e64 s2, 0x7f800000, v32
	s_delay_alu instid0(VALU_DEP_4) | instskip(NEXT) | instid1(VALU_DEP_3)
	v_bfi_b32 v32, 0x7fffffff, v34, v35
	v_cndmask_b32_e64 v27, v27, v30, s3
	s_delay_alu instid0(VALU_DEP_3)
	s_or_b32 s1, s2, s1
	s_delay_alu instid0(VALU_DEP_1) | instid1(SALU_CYCLE_1)
	v_cndmask_b32_e64 v27, v27, v32, s1
	v_cmp_o_f32_e64 s1, v29, v31
	s_delay_alu instid0(VALU_DEP_1) | instskip(NEXT) | instid1(VALU_DEP_1)
	v_cndmask_b32_e64 v27, 0x7fc00000, v27, s1
	v_bfe_u32 v28, v27, 16, 1
	v_cmp_o_f32_e64 s1, v27, v27
	s_delay_alu instid0(VALU_DEP_2) | instskip(NEXT) | instid1(VALU_DEP_1)
	v_add3_u32 v28, v27, v28, 0x7fff
	v_lshrrev_b32_e32 v28, 16, v28
	s_delay_alu instid0(VALU_DEP_1) | instskip(SKIP_1) | instid1(VALU_DEP_1)
	v_cndmask_b32_e64 v29, 0x7fc0, v28, s1
	v_add_co_u32 v27, s1, v21, s30
	v_add_co_ci_u32_e64 v28, s1, s31, v22, s1
	global_store_b16 v[27:28], v29, off
	s_or_b32 exec_lo, exec_lo, s6
	s_and_saveexec_b32 s5, s0
	s_cbranch_execz .LBB143_19
.LBB143_23:                             ;   in Loop: Header=BB143_9 Depth=1
	v_alignbit_b32 v1, v2, v1, 16
	s_waitcnt vmcnt(0)
	v_lshlrev_b32_e32 v26, 16, v26
	s_delay_alu instid0(VALU_DEP_1) | instskip(NEXT) | instid1(VALU_DEP_1)
	v_dual_mul_f32 v28, s33, v26 :: v_dual_and_b32 v1, 0xffff0000, v1
	v_cmp_eq_f32_e64 s1, 1.0, v1
	s_delay_alu instid0(VALU_DEP_1) | instskip(SKIP_1) | instid1(VALU_DEP_2)
	v_cndmask_b32_e64 v29, v28, 1.0, s1
	v_cndmask_b32_e64 v28, |v28|, 1.0, s1
	v_cmp_eq_f32_e64 s0, 0, v29
	s_delay_alu instid0(VALU_DEP_1) | instskip(SKIP_1) | instid1(VALU_DEP_4)
	v_cndmask_b32_e64 v30, |v1|, 1.0, s0
	v_cndmask_b32_e64 v1, v1, 1.0, s0
	v_cmp_neq_f32_e64 s0, v29, v28
	s_delay_alu instid0(VALU_DEP_3) | instskip(SKIP_1) | instid1(VALU_DEP_2)
	v_frexp_mant_f32_e32 v26, v30
	v_cmp_gt_f32_e64 s3, 1.0, v30
	v_cmp_gt_f32_e64 s2, 0x3f2aaaab, v26
	s_delay_alu instid0(VALU_DEP_2) | instskip(SKIP_1) | instid1(VALU_DEP_2)
	s_xor_b32 s0, s0, s3
	v_cmp_eq_f32_e64 s3, 1.0, v30
	v_cndmask_b32_e64 v27, 1.0, 2.0, s2
	s_delay_alu instid0(VALU_DEP_1) | instskip(NEXT) | instid1(VALU_DEP_1)
	v_mul_f32_e32 v26, v26, v27
	v_add_f32_e32 v27, 1.0, v26
	v_add_f32_e32 v32, -1.0, v26
	s_delay_alu instid0(VALU_DEP_2) | instskip(SKIP_2) | instid1(VALU_DEP_1)
	v_rcp_f32_e32 v31, v27
	s_waitcnt_depctr 0xfff
	v_mul_f32_e32 v33, v32, v31
	v_dual_add_f32 v34, -1.0, v27 :: v_dual_mul_f32 v35, v27, v33
	s_delay_alu instid0(VALU_DEP_1) | instskip(NEXT) | instid1(VALU_DEP_2)
	v_sub_f32_e32 v26, v26, v34
	v_fma_f32 v27, v33, v27, -v35
	s_delay_alu instid0(VALU_DEP_1) | instskip(NEXT) | instid1(VALU_DEP_1)
	v_fmac_f32_e32 v27, v33, v26
	v_add_f32_e32 v26, v35, v27
	s_delay_alu instid0(VALU_DEP_1) | instskip(NEXT) | instid1(VALU_DEP_1)
	v_dual_sub_f32 v35, v26, v35 :: v_dual_sub_f32 v34, v32, v26
	v_dual_sub_f32 v27, v35, v27 :: v_dual_sub_f32 v32, v32, v34
	s_delay_alu instid0(VALU_DEP_1) | instskip(NEXT) | instid1(VALU_DEP_1)
	v_sub_f32_e32 v26, v32, v26
	v_add_f32_e32 v26, v27, v26
	s_delay_alu instid0(VALU_DEP_1) | instskip(NEXT) | instid1(VALU_DEP_1)
	v_add_f32_e32 v26, v34, v26
	v_mul_f32_e32 v26, v31, v26
	s_delay_alu instid0(VALU_DEP_1) | instskip(NEXT) | instid1(VALU_DEP_1)
	v_add_f32_e32 v31, v33, v26
	v_sub_f32_e32 v27, v31, v33
	v_mul_f32_e32 v32, v31, v31
	s_delay_alu instid0(VALU_DEP_2) | instskip(NEXT) | instid1(VALU_DEP_2)
	v_sub_f32_e32 v33, v26, v27
	v_fma_f32 v34, v31, v31, -v32
	s_delay_alu instid0(VALU_DEP_2) | instskip(NEXT) | instid1(VALU_DEP_1)
	v_add_f32_e32 v26, v33, v33
	v_fmac_f32_e32 v34, v31, v26
	v_cvt_f64_f32_e32 v[26:27], v30
	s_delay_alu instid0(VALU_DEP_2) | instskip(NEXT) | instid1(VALU_DEP_1)
	v_add_f32_e32 v35, v32, v34
	v_fmaak_f32 v36, s14, v35, 0x3e91f4c4
	v_sub_f32_e32 v32, v35, v32
	v_mul_f32_e32 v39, v31, v35
	s_delay_alu instid0(VALU_DEP_3) | instskip(NEXT) | instid1(VALU_DEP_3)
	v_fmaak_f32 v36, v35, v36, 0x3ecccdef
	v_sub_f32_e32 v32, v34, v32
	s_delay_alu instid0(VALU_DEP_2) | instskip(NEXT) | instid1(VALU_DEP_1)
	v_mul_f32_e32 v37, v35, v36
	v_fma_f32 v34, v35, v36, -v37
	s_delay_alu instid0(VALU_DEP_1) | instskip(NEXT) | instid1(VALU_DEP_1)
	v_fmac_f32_e32 v34, v32, v36
	v_add_f32_e32 v36, v37, v34
	v_frexp_exp_i32_f64_e32 v26, v[26:27]
	s_delay_alu instid0(VALU_DEP_2) | instskip(NEXT) | instid1(VALU_DEP_1)
	v_sub_f32_e32 v37, v36, v37
	v_sub_f32_e32 v27, v34, v37
	v_fma_f32 v37, v35, v31, -v39
	s_delay_alu instid0(VALU_DEP_2) | instskip(NEXT) | instid1(VALU_DEP_2)
	v_add_f32_e32 v27, 0x31739010, v27
	v_dual_add_f32 v38, 0x3f2aaaaa, v36 :: v_dual_fmac_f32 v37, v35, v33
	v_ldexp_f32 v33, v33, 1
	s_delay_alu instid0(VALU_DEP_2) | instskip(NEXT) | instid1(VALU_DEP_1)
	v_dual_add_f32 v34, 0xbf2aaaaa, v38 :: v_dual_fmac_f32 v37, v32, v31
	v_sub_f32_e32 v34, v36, v34
	s_delay_alu instid0(VALU_DEP_1) | instskip(NEXT) | instid1(VALU_DEP_3)
	v_add_f32_e32 v27, v27, v34
	v_add_f32_e32 v34, v39, v37
	s_delay_alu instid0(VALU_DEP_2) | instskip(NEXT) | instid1(VALU_DEP_1)
	v_add_f32_e32 v32, v38, v27
	v_sub_f32_e32 v35, v38, v32
	s_delay_alu instid0(VALU_DEP_3) | instskip(SKIP_1) | instid1(VALU_DEP_3)
	v_mul_f32_e32 v36, v34, v32
	v_subrev_co_ci_u32_e64 v26, s2, 0, v26, s2
	v_add_f32_e32 v27, v27, v35
	s_delay_alu instid0(VALU_DEP_3) | instskip(NEXT) | instid1(VALU_DEP_3)
	v_fma_f32 v35, v34, v32, -v36
	v_cvt_f32_i32_e32 v26, v26
	v_sub_f32_e32 v38, v34, v39
	s_delay_alu instid0(VALU_DEP_3) | instskip(SKIP_1) | instid1(VALU_DEP_3)
	v_fmac_f32_e32 v35, v34, v27
	v_ldexp_f32 v27, v31, 1
	v_sub_f32_e32 v37, v37, v38
	s_delay_alu instid0(VALU_DEP_1) | instskip(NEXT) | instid1(VALU_DEP_1)
	v_fmac_f32_e32 v35, v37, v32
	v_add_f32_e32 v31, v36, v35
	s_delay_alu instid0(VALU_DEP_1) | instskip(NEXT) | instid1(VALU_DEP_1)
	v_add_f32_e32 v32, v27, v31
	v_dual_sub_f32 v27, v32, v27 :: v_dual_sub_f32 v34, v31, v36
	s_delay_alu instid0(VALU_DEP_1) | instskip(NEXT) | instid1(VALU_DEP_2)
	v_dual_mul_f32 v36, 0x3f317218, v26 :: v_dual_sub_f32 v27, v31, v27
	v_sub_f32_e32 v34, v35, v34
	s_delay_alu instid0(VALU_DEP_2) | instskip(NEXT) | instid1(VALU_DEP_2)
	v_fma_f32 v35, 0x3f317218, v26, -v36
	v_add_f32_e32 v31, v33, v34
	s_delay_alu instid0(VALU_DEP_1) | instskip(NEXT) | instid1(VALU_DEP_1)
	v_dual_fmac_f32 v35, 0xb102e308, v26 :: v_dual_add_f32 v26, v31, v27
	v_add_f32_e32 v27, v36, v35
	s_delay_alu instid0(VALU_DEP_2) | instskip(NEXT) | instid1(VALU_DEP_1)
	v_add_f32_e32 v31, v32, v26
	v_add_f32_e32 v33, v27, v31
	v_sub_f32_e32 v36, v27, v36
	s_delay_alu instid0(VALU_DEP_1) | instskip(NEXT) | instid1(VALU_DEP_1)
	v_dual_sub_f32 v34, v33, v27 :: v_dual_sub_f32 v35, v35, v36
	v_dual_sub_f32 v37, v33, v34 :: v_dual_sub_f32 v32, v31, v32
	s_delay_alu instid0(VALU_DEP_1) | instskip(NEXT) | instid1(VALU_DEP_2)
	v_dual_sub_f32 v31, v31, v34 :: v_dual_sub_f32 v26, v26, v32
	v_sub_f32_e32 v27, v27, v37
	s_delay_alu instid0(VALU_DEP_2) | instskip(NEXT) | instid1(VALU_DEP_2)
	v_add_f32_e32 v32, v35, v26
	v_add_f32_e32 v27, v31, v27
	s_delay_alu instid0(VALU_DEP_2) | instskip(NEXT) | instid1(VALU_DEP_2)
	v_sub_f32_e32 v31, v32, v35
	v_add_f32_e32 v27, v32, v27
	s_delay_alu instid0(VALU_DEP_2) | instskip(NEXT) | instid1(VALU_DEP_2)
	v_sub_f32_e32 v32, v32, v31
	v_add_f32_e32 v34, v33, v27
	s_delay_alu instid0(VALU_DEP_2) | instskip(NEXT) | instid1(VALU_DEP_2)
	v_dual_sub_f32 v26, v26, v31 :: v_dual_sub_f32 v31, v35, v32
	v_sub_f32_e32 v32, v34, v33
	s_delay_alu instid0(VALU_DEP_1) | instskip(NEXT) | instid1(VALU_DEP_1)
	v_dual_add_f32 v26, v26, v31 :: v_dual_sub_f32 v27, v27, v32
	v_add_f32_e32 v26, v26, v27
	s_delay_alu instid0(VALU_DEP_1) | instskip(NEXT) | instid1(VALU_DEP_1)
	v_add_f32_e32 v27, v34, v26
	v_dual_sub_f32 v31, v27, v34 :: v_dual_mul_f32 v32, v29, v27
	s_delay_alu instid0(VALU_DEP_1) | instskip(NEXT) | instid1(VALU_DEP_2)
	v_sub_f32_e32 v26, v26, v31
	v_fma_f32 v27, v29, v27, -v32
	v_cmp_class_f32_e64 s2, v32, 0x204
	s_delay_alu instid0(VALU_DEP_2) | instskip(NEXT) | instid1(VALU_DEP_1)
	v_fmac_f32_e32 v27, v29, v26
	v_add_f32_e32 v26, v32, v27
	s_delay_alu instid0(VALU_DEP_1) | instskip(NEXT) | instid1(VALU_DEP_1)
	v_cndmask_b32_e64 v31, v26, v32, s2
	v_cmp_eq_f32_e64 s2, 0x42b17218, v31
	s_delay_alu instid0(VALU_DEP_1) | instskip(SKIP_1) | instid1(VALU_DEP_2)
	v_cndmask_b32_e64 v33, 0, 0x37000000, s2
	v_cmp_neq_f32_e64 s2, 0x7f800000, |v31|
	v_sub_f32_e32 v34, v31, v33
	s_delay_alu instid0(VALU_DEP_1) | instskip(SKIP_1) | instid1(VALU_DEP_2)
	v_mul_f32_e32 v35, 0x3fb8aa3b, v34
	v_cmp_nlt_f32_e64 s1, 0x42b17218, v34
	v_fma_f32 v36, 0x3fb8aa3b, v34, -v35
	v_rndne_f32_e32 v37, v35
	s_delay_alu instid0(VALU_DEP_1) | instskip(SKIP_2) | instid1(VALU_DEP_3)
	v_dual_fmac_f32 v36, 0x32a5705f, v34 :: v_dual_sub_f32 v35, v35, v37
	v_sub_f32_e32 v26, v26, v32
	v_cvt_i32_f32_e32 v32, v37
	v_add_f32_e32 v35, v35, v36
	s_delay_alu instid0(VALU_DEP_3) | instskip(SKIP_1) | instid1(VALU_DEP_3)
	v_sub_f32_e32 v26, v27, v26
	v_trunc_f32_e32 v27, v29
	v_exp_f32_e32 v35, v35
	s_delay_alu instid0(VALU_DEP_2) | instskip(SKIP_1) | instid1(VALU_DEP_2)
	v_cndmask_b32_e64 v26, 0, v26, s2
	v_cmp_ngt_f32_e64 s2, 0xc2ce8ed0, v34
	v_add_f32_e32 v26, v33, v26
	s_waitcnt_depctr 0xfff
	v_ldexp_f32 v32, v35, v32
	v_mul_f32_e32 v35, 0.5, v29
	s_delay_alu instid0(VALU_DEP_2) | instskip(NEXT) | instid1(VALU_DEP_2)
	v_cndmask_b32_e64 v31, 0, v32, s2
	v_trunc_f32_e32 v32, v35
	s_delay_alu instid0(VALU_DEP_2) | instskip(SKIP_1) | instid1(VALU_DEP_3)
	v_cndmask_b32_e64 v31, 0x7f800000, v31, s1
	v_cmp_eq_f32_e64 s1, v27, v29
	v_cmp_neq_f32_e64 s2, v32, v35
	s_delay_alu instid0(VALU_DEP_3) | instskip(SKIP_1) | instid1(VALU_DEP_3)
	v_fma_f32 v26, v31, v26, v31
	v_cmp_class_f32_e64 s4, v31, 0x204
	s_and_b32 s2, s1, s2
	s_delay_alu instid0(SALU_CYCLE_1) | instskip(SKIP_1) | instid1(VALU_DEP_3)
	v_cndmask_b32_e64 v27, 1.0, v1, s2
	v_cndmask_b32_e64 v33, 0, v1, s2
	v_cndmask_b32_e64 v26, v26, v31, s4
	v_cmp_gt_f32_e64 s4, 0, v29
	v_cndmask_b32_e64 v31, v28, 0, s0
	v_cmp_eq_f32_e64 s0, 0, v1
	v_cmp_eq_f32_e64 s2, 0x7f800000, v28
	v_bfi_b32 v26, 0x7fffffff, v26, v27
	s_delay_alu instid0(VALU_DEP_4) | instskip(NEXT) | instid1(VALU_DEP_2)
	v_cndmask_b32_e64 v27, v31, v30, s3
	v_cndmask_b32_e64 v31, 0x7fc00000, v26, s1
	s_xor_b32 s1, s4, s0
	s_delay_alu instid0(SALU_CYCLE_1) | instskip(SKIP_1) | instid1(VALU_DEP_1)
	v_cndmask_b32_e64 v32, 0x7f800000, 0, s1
	v_cmp_gt_f32_e64 s1, 0, v1
	v_cndmask_b32_e64 v26, v26, v31, s1
	v_cmp_eq_f32_e64 s1, 0x7f800000, v30
	s_delay_alu instid0(VALU_DEP_4) | instskip(NEXT) | instid1(VALU_DEP_3)
	v_bfi_b32 v30, 0x7fffffff, v32, v33
	v_cndmask_b32_e64 v26, v26, v27, s2
	s_delay_alu instid0(VALU_DEP_3)
	s_or_b32 s0, s1, s0
	s_delay_alu instid0(VALU_DEP_1) | instid1(SALU_CYCLE_1)
	v_cndmask_b32_e64 v26, v26, v30, s0
	v_cmp_o_f32_e64 s0, v1, v29
	s_delay_alu instid0(VALU_DEP_1) | instskip(NEXT) | instid1(VALU_DEP_1)
	v_cndmask_b32_e64 v1, 0x7fc00000, v26, s0
	v_bfe_u32 v26, v1, 16, 1
	v_cmp_o_f32_e64 s0, v1, v1
	s_delay_alu instid0(VALU_DEP_2) | instskip(NEXT) | instid1(VALU_DEP_1)
	v_add3_u32 v26, v1, v26, 0x7fff
	v_lshrrev_b32_e32 v26, 16, v26
	s_delay_alu instid0(VALU_DEP_1) | instskip(SKIP_1) | instid1(VALU_DEP_1)
	v_cndmask_b32_e64 v1, 0x7fc0, v26, s0
	v_add_co_u32 v26, s0, v13, s30
	v_add_co_ci_u32_e64 v27, s0, s31, v14, s0
	global_store_b16 v[26:27], v1, off
	s_or_b32 exec_lo, exec_lo, s5
	s_and_saveexec_b32 s4, vcc_lo
	s_cbranch_execz .LBB143_8
.LBB143_24:                             ;   in Loop: Header=BB143_9 Depth=1
	s_waitcnt vmcnt(0)
	v_lshlrev_b32_e32 v1, 16, v25
	s_delay_alu instid0(VALU_DEP_1) | instskip(NEXT) | instid1(VALU_DEP_1)
	v_dual_mul_f32 v26, s33, v1 :: v_dual_and_b32 v25, 0xffff0000, v2
	v_cmp_eq_f32_e64 s0, 1.0, v25
	s_delay_alu instid0(VALU_DEP_1) | instskip(NEXT) | instid1(VALU_DEP_1)
	v_cndmask_b32_e64 v27, v26, 1.0, s0
	v_cmp_eq_f32_e32 vcc_lo, 0, v27
	v_cndmask_b32_e64 v28, |v25|, 1.0, vcc_lo
	v_cndmask_b32_e64 v25, v25, 1.0, vcc_lo
	s_delay_alu instid0(VALU_DEP_2) | instskip(SKIP_1) | instid1(VALU_DEP_2)
	v_frexp_mant_f32_e32 v1, v28
	v_cmp_gt_f32_e64 s2, 1.0, v28
	v_cmp_gt_f32_e64 s1, 0x3f2aaaab, v1
	s_delay_alu instid0(VALU_DEP_1) | instskip(NEXT) | instid1(VALU_DEP_1)
	v_cndmask_b32_e64 v2, 1.0, 2.0, s1
	v_mul_f32_e32 v1, v1, v2
	s_delay_alu instid0(VALU_DEP_1) | instskip(SKIP_1) | instid1(VALU_DEP_2)
	v_add_f32_e32 v2, 1.0, v1
	v_add_f32_e32 v30, -1.0, v1
	v_add_f32_e32 v32, -1.0, v2
	s_delay_alu instid0(VALU_DEP_1) | instskip(SKIP_3) | instid1(VALU_DEP_1)
	v_sub_f32_e32 v1, v1, v32
	v_rcp_f32_e32 v29, v2
	s_waitcnt_depctr 0xfff
	v_mul_f32_e32 v31, v30, v29
	v_mul_f32_e32 v33, v2, v31
	s_delay_alu instid0(VALU_DEP_1) | instskip(NEXT) | instid1(VALU_DEP_1)
	v_fma_f32 v2, v31, v2, -v33
	v_fmac_f32_e32 v2, v31, v1
	s_delay_alu instid0(VALU_DEP_1) | instskip(NEXT) | instid1(VALU_DEP_1)
	v_add_f32_e32 v1, v33, v2
	v_sub_f32_e32 v32, v30, v1
	s_delay_alu instid0(VALU_DEP_1) | instskip(NEXT) | instid1(VALU_DEP_1)
	v_dual_sub_f32 v33, v1, v33 :: v_dual_sub_f32 v30, v30, v32
	v_dual_sub_f32 v2, v33, v2 :: v_dual_sub_f32 v1, v30, v1
	s_delay_alu instid0(VALU_DEP_1) | instskip(NEXT) | instid1(VALU_DEP_1)
	v_add_f32_e32 v1, v2, v1
	v_add_f32_e32 v1, v32, v1
	s_delay_alu instid0(VALU_DEP_1) | instskip(NEXT) | instid1(VALU_DEP_1)
	v_mul_f32_e32 v1, v29, v1
	v_add_f32_e32 v29, v31, v1
	s_delay_alu instid0(VALU_DEP_1) | instskip(NEXT) | instid1(VALU_DEP_1)
	v_sub_f32_e32 v2, v29, v31
	v_sub_f32_e32 v31, v1, v2
	s_delay_alu instid0(VALU_DEP_1) | instskip(NEXT) | instid1(VALU_DEP_1)
	v_dual_mul_f32 v30, v29, v29 :: v_dual_add_f32 v1, v31, v31
	v_fma_f32 v32, v29, v29, -v30
	s_delay_alu instid0(VALU_DEP_1) | instskip(SKIP_1) | instid1(VALU_DEP_2)
	v_fmac_f32_e32 v32, v29, v1
	v_cvt_f64_f32_e32 v[1:2], v28
	v_add_f32_e32 v33, v30, v32
	s_delay_alu instid0(VALU_DEP_1) | instskip(SKIP_1) | instid1(VALU_DEP_2)
	v_fmaak_f32 v34, s14, v33, 0x3e91f4c4
	v_sub_f32_e32 v30, v33, v30
	v_fmaak_f32 v34, v33, v34, 0x3ecccdef
	s_delay_alu instid0(VALU_DEP_2) | instskip(NEXT) | instid1(VALU_DEP_2)
	v_sub_f32_e32 v30, v32, v30
	v_mul_f32_e32 v35, v33, v34
	s_delay_alu instid0(VALU_DEP_1) | instskip(NEXT) | instid1(VALU_DEP_1)
	v_fma_f32 v32, v33, v34, -v35
	v_fmac_f32_e32 v32, v30, v34
	s_delay_alu instid0(VALU_DEP_1) | instskip(SKIP_1) | instid1(VALU_DEP_2)
	v_add_f32_e32 v34, v35, v32
	v_frexp_exp_i32_f64_e32 v1, v[1:2]
	v_dual_add_f32 v36, 0x3f2aaaaa, v34 :: v_dual_mul_f32 v37, v29, v33
	v_sub_f32_e32 v35, v34, v35
	s_delay_alu instid0(VALU_DEP_1) | instskip(NEXT) | instid1(VALU_DEP_3)
	v_sub_f32_e32 v2, v32, v35
	v_add_f32_e32 v32, 0xbf2aaaaa, v36
	s_delay_alu instid0(VALU_DEP_4) | instskip(NEXT) | instid1(VALU_DEP_1)
	v_fma_f32 v35, v33, v29, -v37
	v_dual_sub_f32 v32, v34, v32 :: v_dual_fmac_f32 v35, v33, v31
	v_ldexp_f32 v31, v31, 1
	s_delay_alu instid0(VALU_DEP_2) | instskip(NEXT) | instid1(VALU_DEP_1)
	v_dual_fmac_f32 v35, v30, v29 :: v_dual_add_f32 v2, 0x31739010, v2
	v_add_f32_e32 v2, v2, v32
	s_delay_alu instid0(VALU_DEP_1) | instskip(NEXT) | instid1(VALU_DEP_1)
	v_add_f32_e32 v30, v36, v2
	v_dual_add_f32 v32, v37, v35 :: v_dual_sub_f32 v33, v36, v30
	s_delay_alu instid0(VALU_DEP_1) | instskip(SKIP_2) | instid1(VALU_DEP_4)
	v_mul_f32_e32 v34, v32, v30
	v_sub_f32_e32 v36, v32, v37
	v_subrev_co_ci_u32_e64 v1, s1, 0, v1, s1
	v_add_f32_e32 v2, v2, v33
	s_delay_alu instid0(VALU_DEP_4) | instskip(NEXT) | instid1(VALU_DEP_4)
	v_fma_f32 v33, v32, v30, -v34
	v_sub_f32_e32 v35, v35, v36
	s_delay_alu instid0(VALU_DEP_4) | instskip(NEXT) | instid1(VALU_DEP_3)
	v_cvt_f32_i32_e32 v1, v1
	v_fmac_f32_e32 v33, v32, v2
	v_ldexp_f32 v2, v29, 1
	s_delay_alu instid0(VALU_DEP_2) | instskip(NEXT) | instid1(VALU_DEP_1)
	v_fmac_f32_e32 v33, v35, v30
	v_add_f32_e32 v29, v34, v33
	s_delay_alu instid0(VALU_DEP_1) | instskip(SKIP_2) | instid1(VALU_DEP_3)
	v_add_f32_e32 v30, v2, v29
	v_sub_f32_e32 v32, v29, v34
	v_mul_f32_e32 v34, 0x3f317218, v1
	v_sub_f32_e32 v2, v30, v2
	s_delay_alu instid0(VALU_DEP_3) | instskip(NEXT) | instid1(VALU_DEP_3)
	v_sub_f32_e32 v32, v33, v32
	v_fma_f32 v33, 0x3f317218, v1, -v34
	s_delay_alu instid0(VALU_DEP_2) | instskip(NEXT) | instid1(VALU_DEP_2)
	v_dual_sub_f32 v2, v29, v2 :: v_dual_add_f32 v29, v31, v32
	v_fmac_f32_e32 v33, 0xb102e308, v1
	s_delay_alu instid0(VALU_DEP_2) | instskip(NEXT) | instid1(VALU_DEP_1)
	v_add_f32_e32 v1, v29, v2
	v_add_f32_e32 v29, v30, v1
	s_delay_alu instid0(VALU_DEP_1) | instskip(NEXT) | instid1(VALU_DEP_1)
	v_sub_f32_e32 v30, v29, v30
	v_dual_sub_f32 v1, v1, v30 :: v_dual_add_f32 v2, v34, v33
	s_delay_alu instid0(VALU_DEP_1) | instskip(NEXT) | instid1(VALU_DEP_1)
	v_sub_f32_e32 v34, v2, v34
	v_sub_f32_e32 v33, v33, v34
	v_add_f32_e32 v31, v2, v29
	s_delay_alu instid0(VALU_DEP_2) | instskip(NEXT) | instid1(VALU_DEP_2)
	v_add_f32_e32 v30, v33, v1
	v_sub_f32_e32 v32, v31, v2
	s_delay_alu instid0(VALU_DEP_1) | instskip(NEXT) | instid1(VALU_DEP_1)
	v_sub_f32_e32 v35, v31, v32
	v_dual_sub_f32 v29, v29, v32 :: v_dual_sub_f32 v2, v2, v35
	s_delay_alu instid0(VALU_DEP_1) | instskip(NEXT) | instid1(VALU_DEP_1)
	v_dual_add_f32 v2, v29, v2 :: v_dual_sub_f32 v29, v30, v33
	v_add_f32_e32 v2, v30, v2
	s_delay_alu instid0(VALU_DEP_2) | instskip(NEXT) | instid1(VALU_DEP_2)
	v_sub_f32_e32 v30, v30, v29
	v_dual_sub_f32 v1, v1, v29 :: v_dual_add_f32 v32, v31, v2
	s_delay_alu instid0(VALU_DEP_1) | instskip(NEXT) | instid1(VALU_DEP_1)
	v_dual_sub_f32 v29, v33, v30 :: v_dual_sub_f32 v30, v32, v31
	v_dual_add_f32 v1, v1, v29 :: v_dual_sub_f32 v2, v2, v30
	s_delay_alu instid0(VALU_DEP_1) | instskip(NEXT) | instid1(VALU_DEP_1)
	v_add_f32_e32 v1, v1, v2
	v_add_f32_e32 v2, v32, v1
	s_delay_alu instid0(VALU_DEP_1) | instskip(NEXT) | instid1(VALU_DEP_1)
	v_dual_sub_f32 v29, v2, v32 :: v_dual_mul_f32 v30, v27, v2
	v_sub_f32_e32 v1, v1, v29
	s_delay_alu instid0(VALU_DEP_2) | instskip(SKIP_1) | instid1(VALU_DEP_2)
	v_fma_f32 v2, v27, v2, -v30
	v_cmp_class_f32_e64 s1, v30, 0x204
	v_fmac_f32_e32 v2, v27, v1
	s_delay_alu instid0(VALU_DEP_1) | instskip(NEXT) | instid1(VALU_DEP_1)
	v_add_f32_e32 v1, v30, v2
	v_cndmask_b32_e64 v29, v1, v30, s1
	s_delay_alu instid0(VALU_DEP_1) | instskip(NEXT) | instid1(VALU_DEP_1)
	v_cmp_eq_f32_e64 s1, 0x42b17218, v29
	v_cndmask_b32_e64 v31, 0, 0x37000000, s1
	s_delay_alu instid0(VALU_DEP_1) | instskip(SKIP_1) | instid1(VALU_DEP_2)
	v_sub_f32_e32 v32, v29, v31
	v_sub_f32_e32 v1, v1, v30
	v_mul_f32_e32 v33, 0x3fb8aa3b, v32
	s_delay_alu instid0(VALU_DEP_2)
	v_sub_f32_e32 v1, v2, v1
	v_cndmask_b32_e64 v2, |v26|, 1.0, s0
	v_cmp_neq_f32_e64 s0, 0x7f800000, |v29|
	v_trunc_f32_e32 v29, v27
	v_fma_f32 v34, 0x3fb8aa3b, v32, -v33
	v_rndne_f32_e32 v35, v33
	v_cmp_neq_f32_e32 vcc_lo, v27, v2
	v_cndmask_b32_e64 v1, 0, v1, s0
	v_cmp_ngt_f32_e64 s0, 0xc2ce8ed0, v32
	s_delay_alu instid0(VALU_DEP_4) | instskip(SKIP_1) | instid1(VALU_DEP_4)
	v_dual_fmac_f32 v34, 0x32a5705f, v32 :: v_dual_sub_f32 v33, v33, v35
	v_cvt_i32_f32_e32 v30, v35
	v_add_f32_e32 v1, v31, v1
	s_xor_b32 s2, vcc_lo, s2
	v_cmp_eq_f32_e32 vcc_lo, 0, v25
	v_add_f32_e32 v33, v33, v34
	s_delay_alu instid0(VALU_DEP_1) | instskip(SKIP_3) | instid1(VALU_DEP_2)
	v_exp_f32_e32 v33, v33
	s_waitcnt_depctr 0xfff
	v_ldexp_f32 v26, v33, v30
	v_mul_f32_e32 v30, 0.5, v27
	v_cndmask_b32_e64 v26, 0, v26, s0
	v_cmp_nlt_f32_e64 s0, 0x42b17218, v32
	s_delay_alu instid0(VALU_DEP_3) | instskip(NEXT) | instid1(VALU_DEP_2)
	v_trunc_f32_e32 v33, v30
	v_cndmask_b32_e64 v26, 0x7f800000, v26, s0
	v_cmp_eq_f32_e64 s0, v29, v27
	s_delay_alu instid0(VALU_DEP_3) | instskip(NEXT) | instid1(VALU_DEP_3)
	v_cmp_neq_f32_e64 s1, v33, v30
	v_fma_f32 v1, v26, v1, v26
	v_cmp_class_f32_e64 s3, v26, 0x204
	s_delay_alu instid0(VALU_DEP_3) | instskip(NEXT) | instid1(SALU_CYCLE_1)
	s_and_b32 s1, s0, s1
	v_cndmask_b32_e64 v29, 1.0, v25, s1
	v_cndmask_b32_e64 v31, 0, v25, s1
	s_delay_alu instid0(VALU_DEP_3)
	v_cndmask_b32_e64 v1, v1, v26, s3
	v_cmp_gt_f32_e64 s3, 0, v27
	v_cndmask_b32_e64 v26, v2, 0, s2
	v_cmp_eq_f32_e64 s2, 1.0, v28
	v_cmp_eq_f32_e64 s1, 0x7f800000, v2
	v_bfi_b32 v1, 0x7fffffff, v1, v29
	s_delay_alu instid0(VALU_DEP_3) | instskip(NEXT) | instid1(VALU_DEP_2)
	v_cndmask_b32_e64 v26, v26, v28, s2
	v_cndmask_b32_e64 v29, 0x7fc00000, v1, s0
	s_xor_b32 s0, s3, vcc_lo
	s_delay_alu instid0(SALU_CYCLE_1) | instskip(SKIP_1) | instid1(VALU_DEP_1)
	v_cndmask_b32_e64 v30, 0x7f800000, 0, s0
	v_cmp_gt_f32_e64 s0, 0, v25
	v_cndmask_b32_e64 v1, v1, v29, s0
	v_cmp_eq_f32_e64 s0, 0x7f800000, v28
	s_delay_alu instid0(VALU_DEP_4) | instskip(NEXT) | instid1(VALU_DEP_3)
	v_bfi_b32 v28, 0x7fffffff, v30, v31
	v_cndmask_b32_e64 v1, v1, v26, s1
	s_delay_alu instid0(VALU_DEP_3) | instskip(NEXT) | instid1(VALU_DEP_1)
	s_or_b32 vcc_lo, s0, vcc_lo
	v_cndmask_b32_e32 v1, v1, v28, vcc_lo
	v_cmp_o_f32_e32 vcc_lo, v25, v27
	s_delay_alu instid0(VALU_DEP_2) | instskip(NEXT) | instid1(VALU_DEP_1)
	v_cndmask_b32_e32 v1, 0x7fc00000, v1, vcc_lo
	v_bfe_u32 v2, v1, 16, 1
	v_cmp_o_f32_e32 vcc_lo, v1, v1
	s_delay_alu instid0(VALU_DEP_2) | instskip(NEXT) | instid1(VALU_DEP_1)
	v_add3_u32 v2, v1, v2, 0x7fff
	v_lshrrev_b32_e32 v2, 16, v2
	s_delay_alu instid0(VALU_DEP_1)
	v_cndmask_b32_e32 v25, 0x7fc0, v2, vcc_lo
	v_add_co_u32 v1, vcc_lo, v7, s30
	v_add_co_ci_u32_e32 v2, vcc_lo, s31, v8, vcc_lo
	global_store_b16 v[1:2], v25, off
	s_branch .LBB143_8
.LBB143_25:
	s_nop 0
	s_sendmsg sendmsg(MSG_DEALLOC_VGPRS)
	s_endpgm
	.section	.rodata,"a",@progbits
	.p2align	6, 0x0
	.amdhsa_kernel _ZN2at6native12_GLOBAL__N_125multi_tensor_apply_kernelINS1_18TensorListMetadataILi2EEENS1_24BinaryOpListAlphaFunctorIN3c108BFloat16ELi2ELi2ELi0EEEJNS1_13power_functorIfEEfEEEvT_T0_DpT1_
		.amdhsa_group_segment_fixed_size 0
		.amdhsa_private_segment_fixed_size 0
		.amdhsa_kernarg_size 3408
		.amdhsa_user_sgpr_count 15
		.amdhsa_user_sgpr_dispatch_ptr 0
		.amdhsa_user_sgpr_queue_ptr 0
		.amdhsa_user_sgpr_kernarg_segment_ptr 1
		.amdhsa_user_sgpr_dispatch_id 0
		.amdhsa_user_sgpr_private_segment_size 0
		.amdhsa_wavefront_size32 1
		.amdhsa_uses_dynamic_stack 0
		.amdhsa_enable_private_segment 0
		.amdhsa_system_sgpr_workgroup_id_x 1
		.amdhsa_system_sgpr_workgroup_id_y 0
		.amdhsa_system_sgpr_workgroup_id_z 0
		.amdhsa_system_sgpr_workgroup_info 0
		.amdhsa_system_vgpr_workitem_id 0
		.amdhsa_next_free_vgpr 75
		.amdhsa_next_free_sgpr 45
		.amdhsa_reserve_vcc 1
		.amdhsa_float_round_mode_32 0
		.amdhsa_float_round_mode_16_64 0
		.amdhsa_float_denorm_mode_32 3
		.amdhsa_float_denorm_mode_16_64 3
		.amdhsa_dx10_clamp 1
		.amdhsa_ieee_mode 1
		.amdhsa_fp16_overflow 0
		.amdhsa_workgroup_processor_mode 1
		.amdhsa_memory_ordered 1
		.amdhsa_forward_progress 0
		.amdhsa_shared_vgpr_count 0
		.amdhsa_exception_fp_ieee_invalid_op 0
		.amdhsa_exception_fp_denorm_src 0
		.amdhsa_exception_fp_ieee_div_zero 0
		.amdhsa_exception_fp_ieee_overflow 0
		.amdhsa_exception_fp_ieee_underflow 0
		.amdhsa_exception_fp_ieee_inexact 0
		.amdhsa_exception_int_div_zero 0
	.end_amdhsa_kernel
	.section	.text._ZN2at6native12_GLOBAL__N_125multi_tensor_apply_kernelINS1_18TensorListMetadataILi2EEENS1_24BinaryOpListAlphaFunctorIN3c108BFloat16ELi2ELi2ELi0EEEJNS1_13power_functorIfEEfEEEvT_T0_DpT1_,"axG",@progbits,_ZN2at6native12_GLOBAL__N_125multi_tensor_apply_kernelINS1_18TensorListMetadataILi2EEENS1_24BinaryOpListAlphaFunctorIN3c108BFloat16ELi2ELi2ELi0EEEJNS1_13power_functorIfEEfEEEvT_T0_DpT1_,comdat
.Lfunc_end143:
	.size	_ZN2at6native12_GLOBAL__N_125multi_tensor_apply_kernelINS1_18TensorListMetadataILi2EEENS1_24BinaryOpListAlphaFunctorIN3c108BFloat16ELi2ELi2ELi0EEEJNS1_13power_functorIfEEfEEEvT_T0_DpT1_, .Lfunc_end143-_ZN2at6native12_GLOBAL__N_125multi_tensor_apply_kernelINS1_18TensorListMetadataILi2EEENS1_24BinaryOpListAlphaFunctorIN3c108BFloat16ELi2ELi2ELi0EEEJNS1_13power_functorIfEEfEEEvT_T0_DpT1_
                                        ; -- End function
	.section	.AMDGPU.csdata,"",@progbits
; Kernel info:
; codeLenInByte = 11488
; NumSgprs: 47
; NumVgprs: 75
; ScratchSize: 0
; MemoryBound: 0
; FloatMode: 240
; IeeeMode: 1
; LDSByteSize: 0 bytes/workgroup (compile time only)
; SGPRBlocks: 5
; VGPRBlocks: 9
; NumSGPRsForWavesPerEU: 47
; NumVGPRsForWavesPerEU: 75
; Occupancy: 16
; WaveLimiterHint : 0
; COMPUTE_PGM_RSRC2:SCRATCH_EN: 0
; COMPUTE_PGM_RSRC2:USER_SGPR: 15
; COMPUTE_PGM_RSRC2:TRAP_HANDLER: 0
; COMPUTE_PGM_RSRC2:TGID_X_EN: 1
; COMPUTE_PGM_RSRC2:TGID_Y_EN: 0
; COMPUTE_PGM_RSRC2:TGID_Z_EN: 0
; COMPUTE_PGM_RSRC2:TIDIG_COMP_CNT: 0
	.section	.text._ZN2at6native12_GLOBAL__N_125multi_tensor_apply_kernelINS1_18TensorListMetadataILi2EEENS1_24BinaryOpListAlphaFunctorIN3c104HalfELi2ELi2ELi0EEEJNS1_13power_functorIfEEfEEEvT_T0_DpT1_,"axG",@progbits,_ZN2at6native12_GLOBAL__N_125multi_tensor_apply_kernelINS1_18TensorListMetadataILi2EEENS1_24BinaryOpListAlphaFunctorIN3c104HalfELi2ELi2ELi0EEEJNS1_13power_functorIfEEfEEEvT_T0_DpT1_,comdat
	.globl	_ZN2at6native12_GLOBAL__N_125multi_tensor_apply_kernelINS1_18TensorListMetadataILi2EEENS1_24BinaryOpListAlphaFunctorIN3c104HalfELi2ELi2ELi0EEEJNS1_13power_functorIfEEfEEEvT_T0_DpT1_ ; -- Begin function _ZN2at6native12_GLOBAL__N_125multi_tensor_apply_kernelINS1_18TensorListMetadataILi2EEENS1_24BinaryOpListAlphaFunctorIN3c104HalfELi2ELi2ELi0EEEJNS1_13power_functorIfEEfEEEvT_T0_DpT1_
	.p2align	8
	.type	_ZN2at6native12_GLOBAL__N_125multi_tensor_apply_kernelINS1_18TensorListMetadataILi2EEENS1_24BinaryOpListAlphaFunctorIN3c104HalfELi2ELi2ELi0EEEJNS1_13power_functorIfEEfEEEvT_T0_DpT1_,@function
_ZN2at6native12_GLOBAL__N_125multi_tensor_apply_kernelINS1_18TensorListMetadataILi2EEENS1_24BinaryOpListAlphaFunctorIN3c104HalfELi2ELi2ELi0EEEJNS1_13power_functorIfEEfEEEvT_T0_DpT1_: ; @_ZN2at6native12_GLOBAL__N_125multi_tensor_apply_kernelINS1_18TensorListMetadataILi2EEENS1_24BinaryOpListAlphaFunctorIN3c104HalfELi2ELi2ELi0EEEJNS1_13power_functorIfEEfEEEvT_T0_DpT1_
; %bb.0:
	v_mov_b32_e32 v1, s15
	s_add_u32 s2, s0, s15
	s_mul_hi_u32 s3, s15, 3
	s_mul_i32 s15, s15, 3
	s_addc_u32 s4, s1, 0
	global_load_u8 v1, v1, s[0:1] offset:1536
	s_add_u32 s2, s2, s15
	s_addc_u32 s3, s4, s3
	s_mov_b32 s7, 0
	s_load_b32 s2, s[2:3], 0x740
	s_mov_b32 s9, s7
	s_mov_b32 s11, s7
	s_waitcnt vmcnt(0)
	v_readfirstlane_b32 s3, v1
	s_delay_alu instid0(VALU_DEP_1)
	s_lshl_b32 s3, s3, 3
	s_clause 0x3
	s_load_b64 s[30:31], s[0:1], s3 offset:0x0
	s_load_b64 s[34:35], s[0:1], s3 offset:0x200
	s_load_b64 s[4:5], s[0:1], s3 offset:0x400
	s_load_b32 s33, s[0:1], 0xc4c
	s_waitcnt lgkmcnt(0)
	s_ashr_i32 s3, s2, 31
	s_delay_alu instid0(SALU_CYCLE_1) | instskip(NEXT) | instid1(SALU_CYCLE_1)
	s_lshl_b64 s[26:27], s[2:3], 17
	s_add_u32 s36, s30, s26
	s_addc_u32 s37, s31, s27
	s_and_b32 s6, s36, 7
	s_add_u32 s38, s34, s26
	s_addc_u32 s39, s35, s27
	s_and_b32 s8, s4, 3
	s_and_b32 s10, s38, 7
	s_or_b64 s[6:7], s[6:7], s[8:9]
	s_lshl_b64 s[2:3], s[2:3], 16
	s_or_b64 s[6:7], s[10:11], s[6:7]
	s_sub_u32 s28, s4, s2
	s_subb_u32 s29, s5, s3
	s_cmp_eq_u64 s[6:7], 0
	s_mov_b32 s2, -1
	s_cbranch_scc0 .LBB144_5
; %bb.1:
	v_dual_mov_b32 v2, 0 :: v_dual_lshlrev_b32 v1, 2, v0
	s_mov_b32 s40, exec_lo
	s_delay_alu instid0(VALU_DEP_1)
	v_cmpx_gt_i64_e64 s[28:29], v[1:2]
	s_cbranch_execz .LBB144_4
; %bb.2:
	s_load_b32 s2, s[0:1], 0xc5c
	v_lshlrev_b32_e32 v9, 3, v0
	s_mov_b32 s41, 0
	s_mov_b32 s44, 0x3e76c4e1
	s_waitcnt lgkmcnt(0)
	s_and_b32 s2, s2, 0xffff
	s_delay_alu instid0(SALU_CYCLE_1)
	v_add_lshl_u32 v1, v0, s2, 2
	s_lshl_b32 s42, s2, 2
	s_lshl_b32 s43, s2, 3
.LBB144_3:                              ; =>This Inner Loop Header: Depth=1
	v_add_co_u32 v5, s2, s38, v9
	s_delay_alu instid0(VALU_DEP_1) | instskip(SKIP_1) | instid1(VALU_DEP_1)
	v_add_co_ci_u32_e64 v6, null, s39, 0, s2
	v_add_co_u32 v3, s2, s36, v9
	v_add_co_ci_u32_e64 v4, null, s37, 0, s2
	global_load_b64 v[7:8], v[5:6], off
	global_load_b64 v[5:6], v[3:4], off
	v_cmp_le_i64_e32 vcc_lo, s[28:29], v[1:2]
	v_cmp_lt_u64_e64 s2, 0xffff, v[1:2]
	v_add_co_u32 v1, s3, v1, s42
	s_delay_alu instid0(VALU_DEP_1) | instskip(NEXT) | instid1(VALU_DEP_3)
	v_add_co_ci_u32_e64 v2, s3, 0, v2, s3
	s_or_b32 s45, vcc_lo, s2
	s_waitcnt vmcnt(1)
	v_lshrrev_b32_e32 v10, 16, v7
	v_cvt_f32_f16_e32 v7, v7
	v_lshrrev_b32_e32 v13, 16, v8
	v_cvt_f32_f16_e32 v8, v8
	s_waitcnt vmcnt(0)
	v_cmp_eq_f16_e32 vcc_lo, 1.0, v5
	v_cmp_eq_f16_e64 s2, 1.0, v6
	v_mul_f32_e32 v7, s33, v7
	v_lshrrev_b32_e32 v11, 16, v5
	v_mul_f32_e32 v8, s33, v8
	v_lshrrev_b32_e32 v12, 16, v6
	v_cvt_f32_f16_e32 v14, v10
	v_cvt_f32_f16_e32 v13, v13
	;; [unrolled: 1-line block ×3, first 2 shown]
	v_cndmask_b32_e64 v5, v7, 1.0, vcc_lo
	v_cvt_f32_f16_e32 v16, v6
	v_cndmask_b32_e64 v6, v8, 1.0, s2
	v_cvt_f32_f16_e32 v17, v11
	v_cndmask_b32_e64 v10, |v7|, 1.0, vcc_lo
	v_dual_mul_f32 v14, s33, v14 :: v_dual_mul_f32 v19, s33, v13
	v_cmp_eq_f16_e32 vcc_lo, 1.0, v11
	v_cndmask_b32_e64 v11, |v8|, 1.0, s2
	v_cmp_eq_f16_e64 s2, 1.0, v12
	v_cmp_eq_f32_e64 s3, 0, v5
	v_cmp_eq_f32_e64 s5, 0, v6
	v_cndmask_b32_e64 v7, v14, 1.0, vcc_lo
	v_trunc_f32_e32 v20, v5
	v_cndmask_b32_e64 v8, v19, 1.0, s2
	v_cndmask_b32_e64 v21, |v15|, 1.0, s3
	v_dual_mul_f32 v22, 0.5, v5 :: v_dual_mul_f32 v25, 0.5, v6
	v_cndmask_b32_e64 v24, |v16|, 1.0, s5
	v_cvt_f32_f16_e32 v18, v12
	v_trunc_f32_e32 v23, v6
	v_cmp_eq_f32_e64 s8, 0, v7
	v_cmp_eq_f32_e64 s15, 0, v8
	v_cmp_neq_f32_e64 s4, v5, v10
	v_cmp_gt_f32_e64 s6, 1.0, v21
	v_cndmask_b32_e64 v13, |v14|, 1.0, vcc_lo
	v_cndmask_b32_e64 v14, |v19|, 1.0, s2
	v_frexp_mant_f32_e32 v19, v21
	v_cndmask_b32_e64 v12, v15, 1.0, s3
	v_cmp_eq_f32_e64 s3, v20, v5
	v_trunc_f32_e32 v20, v22
	v_frexp_mant_f32_e32 v29, v24
	v_cndmask_b32_e64 v26, |v17|, 1.0, s8
	v_cndmask_b32_e64 v15, v16, 1.0, s5
	v_cmp_eq_f32_e64 s5, v23, v6
	v_trunc_f32_e32 v23, v25
	v_cndmask_b32_e64 v38, |v18|, 1.0, s15
	s_xor_b32 s4, s4, s6
	v_cmp_gt_f32_e64 s11, 0, v5
	v_cmp_neq_f32_e64 s7, v6, v11
	v_cmp_gt_f32_e64 s10, 1.0, v24
	v_cmp_gt_f32_e64 s18, 0x3f2aaaab, v19
	v_cmp_neq_f32_e64 s19, v20, v22
	v_cndmask_b32_e64 v22, v10, 0, s4
	v_cmp_eq_f32_e64 s4, 0, v12
	v_cmp_gt_f32_e64 s22, 0x3f2aaaab, v29
	v_cmp_neq_f32_e64 s13, v7, v13
	v_cmp_eq_f32_e64 s20, 1.0, v21
	v_frexp_mant_f32_e32 v42, v26
	v_cmp_gt_f32_e64 s21, 1.0, v26
	v_cmp_neq_f32_e64 s23, v23, v25
	v_frexp_mant_f32_e32 v44, v38
	v_trunc_f32_e32 v27, v7
	v_trunc_f32_e32 v39, v8
	v_cndmask_b32_e64 v41, 1.0, 2.0, s18
	v_mul_f32_e32 v28, 0.5, v7
	v_cndmask_b32_e64 v43, 1.0, 2.0, s22
	v_mul_f32_e32 v40, 0.5, v8
	s_xor_b32 s7, s7, s10
	s_xor_b32 s11, s11, s4
	v_cmp_gt_f32_e64 s12, 0, v6
	v_mul_f32_e32 v43, v29, v43
	v_cndmask_b32_e64 v16, v17, 1.0, s8
	v_cmp_eq_f32_e64 s8, 0, v15
	v_cndmask_b32_e64 v25, v11, 0, s7
	v_cmp_eq_f32_e64 s24, 1.0, v24
	v_cndmask_b32_e64 v17, v18, 1.0, s15
	v_cndmask_b32_e64 v18, v22, v21, s20
	v_cndmask_b32_e64 v45, 0x7f800000, 0, s11
	v_cmp_gt_f32_e64 s20, 0x3f2aaaab, v42
	s_xor_b32 s11, s13, s21
	s_and_b32 s21, s5, s23
	v_cmp_gt_f32_e64 s23, 0x3f2aaaab, v44
	v_cmp_neq_f32_e64 s16, v8, v14
	v_cmp_gt_f32_e64 s15, 1.0, v38
	v_cmp_eq_f32_e64 s9, v27, v7
	v_cmp_eq_f32_e64 s10, v39, v8
	v_trunc_f32_e32 v39, v40
	v_mul_f32_e32 v41, v19, v41
	v_trunc_f32_e32 v27, v28
	s_xor_b32 s12, s12, s8
	v_cvt_f64_f32_e32 v[30:31], v21
	v_cmp_eq_f32_e32 vcc_lo, 0x7f800000, v21
	v_cndmask_b32_e64 v21, 1.0, 2.0, s20
	v_cndmask_b32_e64 v19, v25, v24, s24
	v_cndmask_b32_e64 v25, 1.0, 2.0, s23
	v_cmp_gt_f32_e64 s14, 0, v7
	v_cvt_f64_f32_e32 v[32:33], v24
	v_cmp_eq_f32_e64 s2, 0x7f800000, v24
	v_cndmask_b32_e64 v22, v13, 0, s11
	v_cmp_eq_f32_e64 s13, 1.0, v26
	v_cmp_eq_f32_e64 s11, 0, v16
	v_cndmask_b32_e64 v24, 0x7f800000, 0, s12
	s_xor_b32 s12, s16, s15
	v_cmp_gt_f32_e64 s17, 0, v8
	s_and_b32 s19, s3, s19
	v_cmp_neq_f32_e64 s25, v27, v28
	v_cmp_neq_f32_e64 s24, v39, v40
	v_cndmask_b32_e64 v27, v14, 0, s12
	v_cmp_eq_f32_e64 s12, 0, v17
	v_cmp_eq_f32_e64 s15, 1.0, v38
	v_cndmask_b32_e64 v39, 0, v12, s19
	v_mul_f32_e32 v44, v44, v25
	v_mul_f32_e32 v42, v42, v21
	v_cndmask_b32_e64 v21, v22, v26, s13
	s_xor_b32 s13, s14, s11
	v_cvt_f64_f32_e32 v[34:35], v26
	v_add_f32_e32 v55, 1.0, v44
	v_cmp_eq_f32_e64 s6, 0x7f800000, v26
	v_cndmask_b32_e64 v26, 0x7f800000, 0, s13
	s_and_b32 s13, s10, s24
	s_xor_b32 s14, s17, s12
	v_dual_add_f32 v46, -1.0, v41 :: v_dual_add_f32 v49, 1.0, v43
	v_cndmask_b32_e64 v22, v27, v38, s15
	v_cndmask_b32_e64 v27, 0x7f800000, 0, s14
	v_bfi_b32 v25, 0x7fffffff, v45, v39
	v_cndmask_b32_e64 v39, 0, v17, s13
	v_add_f32_e32 v51, 1.0, v42
	v_cvt_f64_f32_e32 v[36:37], v38
	v_cndmask_b32_e64 v40, 0, v15, s21
	v_dual_add_f32 v47, 1.0, v41 :: v_dual_add_f32 v48, -1.0, v43
	v_add_f32_e32 v50, -1.0, v42
	v_rcp_f32_e32 v53, v49
	v_bfi_b32 v27, 0x7fffffff, v27, v39
	v_add_f32_e32 v39, -1.0, v51
	s_and_b32 s16, s9, s25
	v_cmp_eq_f32_e64 s7, 0x7f800000, v38
	v_cndmask_b32_e64 v38, 0, v16, s16
	v_bfi_b32 v24, 0x7fffffff, v24, v40
	v_dual_add_f32 v52, -1.0, v49 :: v_dual_sub_f32 v39, v42, v39
	v_add_f32_e32 v40, -1.0, v47
	v_rcp_f32_e32 v45, v47
	v_dual_add_f32 v54, -1.0, v44 :: v_dual_mul_f32 v57, v48, v53
	v_bfi_b32 v26, 0x7fffffff, v26, v38
	s_delay_alu instid0(VALU_DEP_3)
	v_sub_f32_e32 v38, v41, v40
	v_rcp_f32_e32 v40, v51
	v_sub_f32_e32 v41, v43, v52
	v_rcp_f32_e32 v43, v55
	v_add_f32_e32 v52, -1.0, v55
	v_mul_f32_e32 v58, v49, v57
	v_frexp_exp_i32_f64_e32 v30, v[30:31]
	v_frexp_exp_i32_f64_e32 v31, v[32:33]
	;; [unrolled: 1-line block ×3, first 2 shown]
	v_cndmask_b32_e64 v29, 1.0, v17, s13
	v_cndmask_b32_e64 v28, 1.0, v16, s16
	;; [unrolled: 1-line block ×4, first 2 shown]
	v_dual_mul_f32 v59, v54, v43 :: v_dual_sub_f32 v42, v44, v52
	v_mul_f32_e32 v52, v50, v40
	v_mul_f32_e32 v56, v46, v45
	s_or_b32 s2, s2, s8
	s_or_b32 vcc_lo, vcc_lo, s4
	v_frexp_exp_i32_f64_e32 v35, v[36:37]
	v_mul_f32_e32 v33, v51, v52
	v_mul_f32_e32 v44, v47, v56
	v_cmp_o_f32_e64 s4, v12, v5
	s_delay_alu instid0(VALU_DEP_2) | instskip(SKIP_1) | instid1(VALU_DEP_2)
	v_fma_f32 v32, v56, v47, -v44
	v_fma_f32 v47, v57, v49, -v58
	v_dual_mul_f32 v49, v55, v59 :: v_dual_fmac_f32 v32, v56, v38
	s_delay_alu instid0(VALU_DEP_2) | instskip(NEXT) | instid1(VALU_DEP_2)
	v_fmac_f32_e32 v47, v57, v41
	v_fma_f32 v37, v59, v55, -v49
	s_delay_alu instid0(VALU_DEP_1) | instskip(SKIP_1) | instid1(VALU_DEP_1)
	v_fmac_f32_e32 v37, v59, v42
	v_fma_f32 v36, v52, v51, -v33
	v_fmac_f32_e32 v36, v52, v39
	v_dual_add_f32 v39, v58, v47 :: v_dual_add_f32 v38, v44, v32
	v_subrev_co_ci_u32_e64 v31, s13, 0, v31, s22
	v_subrev_co_ci_u32_e64 v30, s13, 0, v30, s18
	s_delay_alu instid0(VALU_DEP_3) | instskip(NEXT) | instid1(VALU_DEP_4)
	v_sub_f32_e32 v41, v38, v44
	v_dual_sub_f32 v51, v39, v58 :: v_dual_add_f32 v58, v49, v37
	v_dual_sub_f32 v42, v46, v38 :: v_dual_sub_f32 v55, v48, v39
	s_delay_alu instid0(VALU_DEP_2) | instskip(NEXT) | instid1(VALU_DEP_3)
	v_dual_sub_f32 v32, v41, v32 :: v_dual_sub_f32 v47, v51, v47
	v_sub_f32_e32 v51, v54, v58
	v_dual_sub_f32 v49, v58, v49 :: v_dual_add_f32 v44, v33, v36
	s_delay_alu instid0(VALU_DEP_4) | instskip(SKIP_2) | instid1(VALU_DEP_4)
	v_sub_f32_e32 v46, v46, v42
	v_cvt_f32_i32_e32 v31, v31
	v_cvt_f32_i32_e32 v30, v30
	v_sub_f32_e32 v37, v49, v37
	v_sub_f32_e32 v33, v44, v33
	v_dual_sub_f32 v41, v50, v44 :: v_dual_sub_f32 v48, v48, v55
	v_sub_f32_e32 v38, v46, v38
	v_subrev_co_ci_u32_e64 v34, s13, 0, v34, s20
	s_delay_alu instid0(VALU_DEP_3) | instskip(SKIP_4) | instid1(VALU_DEP_4)
	v_dual_sub_f32 v33, v33, v36 :: v_dual_sub_f32 v36, v48, v39
	v_sub_f32_e32 v39, v54, v51
	v_sub_f32_e32 v46, v50, v41
	v_subrev_co_ci_u32_e64 v35, s13, 0, v35, s23
	v_cvt_f32_i32_e32 v34, v34
	v_sub_f32_e32 v39, v39, v58
	v_add_f32_e32 v32, v32, v38
	v_sub_f32_e32 v38, v46, v44
	v_cvt_f32_i32_e32 v35, v35
	s_delay_alu instid0(VALU_DEP_3) | instskip(NEXT) | instid1(VALU_DEP_2)
	v_dual_add_f32 v37, v37, v39 :: v_dual_add_f32 v32, v42, v32
	v_dual_add_f32 v33, v33, v38 :: v_dual_mul_f32 v54, 0x3f317218, v35
	s_delay_alu instid0(VALU_DEP_2) | instskip(NEXT) | instid1(VALU_DEP_2)
	v_dual_add_f32 v37, v51, v37 :: v_dual_mul_f32 v32, v45, v32
	v_dual_add_f32 v33, v41, v33 :: v_dual_add_f32 v36, v47, v36
	v_mul_f32_e32 v41, 0x3f317218, v31
	s_delay_alu instid0(VALU_DEP_3) | instskip(NEXT) | instid1(VALU_DEP_3)
	v_dual_mul_f32 v37, v43, v37 :: v_dual_add_f32 v38, v56, v32
	v_dual_mul_f32 v33, v40, v33 :: v_dual_add_f32 v36, v55, v36
	s_delay_alu instid0(VALU_DEP_2) | instskip(NEXT) | instid1(VALU_DEP_3)
	v_dual_mul_f32 v40, 0x3f317218, v30 :: v_dual_add_f32 v49, v59, v37
	v_mul_f32_e32 v43, v38, v38
	s_delay_alu instid0(VALU_DEP_3) | instskip(NEXT) | instid1(VALU_DEP_3)
	v_dual_add_f32 v45, v52, v33 :: v_dual_mul_f32 v36, v53, v36
	v_fma_f32 v50, 0x3f317218, v30, -v40
	v_mul_f32_e32 v51, 0x3f317218, v34
	v_fma_f32 v53, 0x3f317218, v31, -v41
	s_delay_alu instid0(VALU_DEP_4) | instskip(SKIP_2) | instid1(VALU_DEP_4)
	v_sub_f32_e32 v52, v45, v52
	v_add_f32_e32 v39, v57, v36
	v_mul_f32_e32 v55, v45, v45
	v_dual_fmac_f32 v53, 0xb102e308, v31 :: v_dual_fmac_f32 v50, 0xb102e308, v30
	s_delay_alu instid0(VALU_DEP_3) | instskip(SKIP_3) | instid1(VALU_DEP_4)
	v_dual_sub_f32 v33, v33, v52 :: v_dual_sub_f32 v46, v39, v57
	v_dual_mul_f32 v47, v39, v39 :: v_dual_sub_f32 v42, v38, v56
	v_sub_f32_e32 v57, v49, v59
	v_fma_f32 v31, 0x3f317218, v35, -v54
	v_sub_f32_e32 v36, v36, v46
	s_delay_alu instid0(VALU_DEP_4) | instskip(SKIP_1) | instid1(VALU_DEP_4)
	v_fma_f32 v46, v39, v39, -v47
	v_sub_f32_e32 v32, v32, v42
	v_dual_mul_f32 v58, v49, v49 :: v_dual_fmac_f32 v31, 0xb102e308, v35
	s_delay_alu instid0(VALU_DEP_4) | instskip(SKIP_3) | instid1(VALU_DEP_4)
	v_dual_add_f32 v62, v36, v36 :: v_dual_add_f32 v35, v33, v33
	v_fma_f32 v30, 0x3f317218, v34, -v51
	v_fma_f32 v52, v45, v45, -v55
	;; [unrolled: 1-line block ×3, first 2 shown]
	v_fmac_f32_e32 v46, v39, v62
	v_dual_add_f32 v60, v32, v32 :: v_dual_sub_f32 v37, v37, v57
	v_dual_fmac_f32 v30, 0xb102e308, v34 :: v_dual_add_f32 v67, v54, v31
	v_add_f32_e32 v34, v41, v53
	s_delay_alu instid0(VALU_DEP_4) | instskip(SKIP_1) | instid1(VALU_DEP_3)
	v_dual_fmac_f32 v52, v45, v35 :: v_dual_add_f32 v35, v47, v46
	v_add_f32_e32 v64, v40, v50
	v_dual_add_f32 v66, v51, v30 :: v_dual_sub_f32 v41, v34, v41
	v_fma_f32 v57, v49, v49, -v58
	v_add_f32_e32 v62, v37, v37
	s_delay_alu instid0(VALU_DEP_4) | instskip(NEXT) | instid1(VALU_DEP_4)
	v_dual_sub_f32 v40, v64, v40 :: v_dual_fmaak_f32 v69, s44, v35, 0x3e91f4c4
	v_sub_f32_e32 v41, v53, v41
	v_sub_f32_e32 v47, v35, v47
	v_ldexp_f32 v61, v32, 1
	s_delay_alu instid0(VALU_DEP_4) | instskip(SKIP_2) | instid1(VALU_DEP_2)
	v_sub_f32_e32 v40, v50, v40
	v_dual_sub_f32 v50, v66, v51 :: v_dual_sub_f32 v51, v67, v54
	v_dual_fmac_f32 v42, v38, v60 :: v_dual_fmac_f32 v57, v49, v62
	v_dual_fmaak_f32 v69, v35, v69, 0x3ecccdef :: v_dual_sub_f32 v30, v30, v50
	s_delay_alu instid0(VALU_DEP_3) | instskip(NEXT) | instid1(VALU_DEP_3)
	v_sub_f32_e32 v31, v31, v51
	v_dual_add_f32 v68, v43, v42 :: v_dual_add_f32 v71, v58, v57
	v_add_f32_e32 v62, v55, v52
	v_sub_f32_e32 v46, v46, v47
	v_ldexp_f32 v44, v38, 1
	s_delay_alu instid0(VALU_DEP_4) | instskip(SKIP_3) | instid1(VALU_DEP_4)
	v_fmaak_f32 v53, s44, v68, 0x3e91f4c4
	v_dual_sub_f32 v43, v68, v43 :: v_dual_mul_f32 v54, v38, v68
	v_mul_f32_e32 v73, v49, v71
	v_fmaak_f32 v51, s44, v62, 0x3e91f4c4
	v_dual_fmaak_f32 v50, v68, v53, 0x3ecccdef :: v_dual_sub_f32 v53, v62, v55
	s_delay_alu instid0(VALU_DEP_4) | instskip(SKIP_3) | instid1(VALU_DEP_3)
	v_sub_f32_e32 v42, v42, v43
	v_fma_f32 v43, v68, v38, -v54
	v_dual_mul_f32 v70, v39, v35 :: v_dual_mul_f32 v55, v45, v62
	v_dual_sub_f32 v58, v71, v58 :: v_dual_fmaak_f32 v51, v62, v51, 0x3ecccdef
	v_dual_fmaak_f32 v72, s44, v71, 0x3e91f4c4 :: v_dual_fmac_f32 v43, v68, v32
	s_delay_alu instid0(VALU_DEP_3) | instskip(NEXT) | instid1(VALU_DEP_3)
	v_fma_f32 v47, v35, v39, -v70
	v_dual_sub_f32 v57, v57, v58 :: v_dual_sub_f32 v52, v52, v53
	v_fma_f32 v53, v62, v45, -v55
	s_delay_alu instid0(VALU_DEP_4)
	v_fmac_f32_e32 v43, v42, v38
	v_mul_f32_e32 v32, v68, v50
	v_ldexp_f32 v63, v36, 1
	v_fmac_f32_e32 v47, v35, v36
	v_fmac_f32_e32 v53, v62, v33
	v_mul_f32_e32 v36, v35, v69
	v_fmaak_f32 v72, v71, v72, 0x3ecccdef
	v_fma_f32 v58, v71, v49, -v73
	v_fmac_f32_e32 v47, v46, v39
	v_fma_f32 v38, v68, v50, -v32
	v_ldexp_f32 v48, v39, 1
	v_ldexp_f32 v60, v33, 1
	;; [unrolled: 1-line block ×3, first 2 shown]
	v_mul_f32_e32 v33, v62, v51
	v_fma_f32 v35, v35, v69, -v36
	v_dual_fmac_f32 v58, v71, v37 :: v_dual_add_f32 v39, v54, v43
	v_dual_mul_f32 v37, v71, v72 :: v_dual_fmac_f32 v38, v42, v50
	v_ldexp_f32 v56, v45, 1
	v_ldexp_f32 v59, v49, 1
	v_fma_f32 v42, v62, v51, -v33
	v_fmac_f32_e32 v35, v46, v69
	v_dual_fmac_f32 v58, v57, v49 :: v_dual_sub_f32 v49, v39, v54
	v_fmac_f32_e32 v53, v52, v45
	v_dual_add_f32 v45, v70, v47 :: v_dual_add_f32 v50, v32, v38
	v_fma_f32 v46, v71, v72, -v37
	v_fmac_f32_e32 v42, v52, v51
	v_dual_add_f32 v52, v36, v35 :: v_dual_sub_f32 v43, v43, v49
	s_delay_alu instid0(VALU_DEP_4) | instskip(SKIP_4) | instid1(VALU_DEP_3)
	v_sub_f32_e32 v51, v45, v70
	v_add_f32_e32 v62, v73, v58
	v_add_f32_e32 v54, v55, v53
	v_dual_fmac_f32 v46, v57, v72 :: v_dual_add_f32 v49, 0x3f2aaaaa, v50
	v_dual_sub_f32 v32, v50, v32 :: v_dual_add_f32 v57, v33, v42
	v_dual_sub_f32 v55, v54, v55 :: v_dual_sub_f32 v36, v52, v36
	v_dual_sub_f32 v47, v47, v51 :: v_dual_sub_f32 v68, v62, v73
	s_delay_alu instid0(VALU_DEP_3) | instskip(SKIP_1) | instid1(VALU_DEP_4)
	v_dual_add_f32 v69, v37, v46 :: v_dual_sub_f32 v32, v38, v32
	v_add_f32_e32 v51, 0x3f2aaaaa, v52
	v_dual_add_f32 v38, 0xbf2aaaaa, v49 :: v_dual_sub_f32 v53, v53, v55
	s_delay_alu instid0(VALU_DEP_4) | instskip(NEXT) | instid1(VALU_DEP_2)
	v_dual_add_f32 v55, 0x3f2aaaaa, v57 :: v_dual_sub_f32 v58, v58, v68
	v_dual_sub_f32 v35, v35, v36 :: v_dual_sub_f32 v38, v50, v38
	v_add_f32_e32 v68, 0x3f2aaaaa, v69
	v_dual_sub_f32 v33, v57, v33 :: v_dual_add_f32 v36, 0xbf2aaaaa, v51
	v_dual_sub_f32 v37, v69, v37 :: v_dual_add_f32 v32, 0x31739010, v32
	s_delay_alu instid0(VALU_DEP_4) | instskip(NEXT) | instid1(VALU_DEP_3)
	v_add_f32_e32 v35, 0x31739010, v35
	v_dual_sub_f32 v33, v42, v33 :: v_dual_add_f32 v42, 0xbf2aaaaa, v55
	s_delay_alu instid0(VALU_DEP_3) | instskip(SKIP_1) | instid1(VALU_DEP_3)
	v_dual_sub_f32 v36, v52, v36 :: v_dual_sub_f32 v37, v46, v37
	v_add_f32_e32 v46, 0xbf2aaaaa, v68
	v_dual_add_f32 v32, v32, v38 :: v_dual_add_f32 v33, 0x31739010, v33
	s_delay_alu instid0(VALU_DEP_3) | instskip(NEXT) | instid1(VALU_DEP_3)
	v_dual_sub_f32 v38, v57, v42 :: v_dual_add_f32 v35, v35, v36
	v_dual_add_f32 v36, 0x31739010, v37 :: v_dual_sub_f32 v37, v69, v46
	s_delay_alu instid0(VALU_DEP_2) | instskip(NEXT) | instid1(VALU_DEP_4)
	v_dual_add_f32 v33, v33, v38 :: v_dual_add_f32 v38, v51, v35
	v_add_f32_e32 v42, v49, v32
	s_delay_alu instid0(VALU_DEP_1) | instskip(NEXT) | instid1(VALU_DEP_3)
	v_dual_add_f32 v36, v36, v37 :: v_dual_sub_f32 v37, v49, v42
	v_add_f32_e32 v49, v55, v33
	v_mul_f32_e32 v46, v39, v42
	s_delay_alu instid0(VALU_DEP_3) | instskip(NEXT) | instid1(VALU_DEP_4)
	v_add_f32_e32 v52, v68, v36
	v_add_f32_e32 v32, v32, v37
	s_delay_alu instid0(VALU_DEP_4) | instskip(NEXT) | instid1(VALU_DEP_3)
	v_sub_f32_e32 v55, v55, v49
	v_dual_sub_f32 v50, v51, v38 :: v_dual_mul_f32 v69, v62, v52
	v_mul_f32_e32 v51, v45, v38
	v_mul_f32_e32 v57, v54, v49
	v_fma_f32 v37, v39, v42, -v46
	s_delay_alu instid0(VALU_DEP_4) | instskip(NEXT) | instid1(VALU_DEP_4)
	v_dual_add_f32 v35, v35, v50 :: v_dual_sub_f32 v68, v68, v52
	v_fma_f32 v50, v45, v38, -v51
	s_delay_alu instid0(VALU_DEP_3) | instskip(SKIP_1) | instid1(VALU_DEP_3)
	v_dual_fmac_f32 v37, v39, v32 :: v_dual_add_f32 v32, v33, v55
	v_fma_f32 v33, v54, v49, -v57
	v_dual_fmac_f32 v50, v45, v35 :: v_dual_add_f32 v35, v36, v68
	v_fma_f32 v36, v62, v52, -v69
	s_delay_alu instid0(VALU_DEP_4) | instskip(NEXT) | instid1(VALU_DEP_3)
	v_fmac_f32_e32 v37, v43, v42
	v_dual_fmac_f32 v33, v54, v32 :: v_dual_fmac_f32 v50, v47, v38
	s_delay_alu instid0(VALU_DEP_3) | instskip(NEXT) | instid1(VALU_DEP_3)
	v_fmac_f32_e32 v36, v62, v35
	v_add_f32_e32 v32, v46, v37
	s_delay_alu instid0(VALU_DEP_3) | instskip(NEXT) | instid1(VALU_DEP_3)
	v_fmac_f32_e32 v33, v53, v49
	v_dual_add_f32 v35, v51, v50 :: v_dual_fmac_f32 v36, v58, v52
	s_delay_alu instid0(VALU_DEP_3) | instskip(NEXT) | instid1(VALU_DEP_3)
	v_sub_f32_e32 v38, v32, v46
	v_dual_add_f32 v39, v44, v32 :: v_dual_add_f32 v42, v57, v33
	s_delay_alu instid0(VALU_DEP_3) | instskip(SKIP_1) | instid1(VALU_DEP_3)
	v_dual_add_f32 v45, v48, v35 :: v_dual_add_f32 v46, v69, v36
	v_sub_f32_e32 v43, v35, v51
	v_dual_sub_f32 v37, v37, v38 :: v_dual_sub_f32 v38, v39, v44
	s_delay_alu instid0(VALU_DEP_4) | instskip(NEXT) | instid1(VALU_DEP_4)
	v_dual_sub_f32 v44, v42, v57 :: v_dual_add_f32 v47, v56, v42
	v_sub_f32_e32 v49, v46, v69
	s_delay_alu instid0(VALU_DEP_4) | instskip(SKIP_2) | instid1(VALU_DEP_4)
	v_dual_sub_f32 v43, v50, v43 :: v_dual_sub_f32 v48, v45, v48
	v_add_f32_e32 v50, v59, v46
	v_dual_sub_f32 v32, v32, v38 :: v_dual_add_f32 v37, v61, v37
	v_dual_sub_f32 v33, v33, v44 :: v_dual_sub_f32 v36, v36, v49
	v_sub_f32_e32 v38, v47, v56
	s_delay_alu instid0(VALU_DEP_4) | instskip(NEXT) | instid1(VALU_DEP_4)
	v_dual_sub_f32 v35, v35, v48 :: v_dual_sub_f32 v44, v50, v59
	v_dual_add_f32 v43, v63, v43 :: v_dual_add_f32 v32, v37, v32
	s_delay_alu instid0(VALU_DEP_4) | instskip(NEXT) | instid1(VALU_DEP_4)
	v_add_f32_e32 v33, v60, v33
	v_dual_sub_f32 v37, v42, v38 :: v_dual_add_f32 v36, v65, v36
	s_delay_alu instid0(VALU_DEP_3) | instskip(NEXT) | instid1(VALU_DEP_2)
	v_dual_add_f32 v35, v43, v35 :: v_dual_sub_f32 v38, v46, v44
	v_dual_add_f32 v42, v39, v32 :: v_dual_add_f32 v33, v33, v37
	s_delay_alu instid0(VALU_DEP_2) | instskip(NEXT) | instid1(VALU_DEP_2)
	v_dual_add_f32 v37, v45, v35 :: v_dual_add_f32 v36, v36, v38
	v_dual_sub_f32 v38, v42, v39 :: v_dual_add_f32 v39, v64, v42
	s_delay_alu instid0(VALU_DEP_2) | instskip(NEXT) | instid1(VALU_DEP_3)
	v_dual_add_f32 v43, v47, v33 :: v_dual_add_f32 v46, v50, v36
	v_sub_f32_e32 v44, v37, v45
	s_delay_alu instid0(VALU_DEP_3) | instskip(NEXT) | instid1(VALU_DEP_3)
	v_dual_add_f32 v45, v34, v37 :: v_dual_sub_f32 v32, v32, v38
	v_sub_f32_e32 v47, v43, v47
	s_delay_alu instid0(VALU_DEP_4) | instskip(NEXT) | instid1(VALU_DEP_4)
	v_dual_sub_f32 v38, v39, v64 :: v_dual_sub_f32 v49, v46, v50
	v_dual_add_f32 v48, v66, v43 :: v_dual_sub_f32 v35, v35, v44
	s_delay_alu instid0(VALU_DEP_3) | instskip(SKIP_1) | instid1(VALU_DEP_4)
	v_dual_add_f32 v50, v67, v46 :: v_dual_sub_f32 v33, v33, v47
	v_sub_f32_e32 v44, v45, v34
	v_dual_sub_f32 v51, v39, v38 :: v_dual_sub_f32 v36, v36, v49
	s_delay_alu instid0(VALU_DEP_3) | instskip(NEXT) | instid1(VALU_DEP_3)
	v_sub_f32_e32 v49, v50, v67
	v_dual_sub_f32 v38, v42, v38 :: v_dual_sub_f32 v37, v37, v44
	v_add_f32_e32 v42, v40, v32
	v_dual_sub_f32 v47, v48, v66 :: v_dual_sub_f32 v52, v45, v44
	v_add_f32_e32 v44, v41, v35
	v_sub_f32_e32 v51, v64, v51
	s_delay_alu instid0(VALU_DEP_4) | instskip(NEXT) | instid1(VALU_DEP_4)
	v_sub_f32_e32 v53, v42, v40
	v_dual_sub_f32 v43, v43, v47 :: v_dual_sub_f32 v34, v34, v52
	s_delay_alu instid0(VALU_DEP_4) | instskip(SKIP_3) | instid1(VALU_DEP_4)
	v_sub_f32_e32 v52, v44, v41
	v_dual_sub_f32 v54, v48, v47 :: v_dual_add_f32 v47, v30, v33
	v_sub_f32_e32 v55, v50, v49
	v_dual_sub_f32 v46, v46, v49 :: v_dual_add_f32 v49, v31, v36
	v_dual_add_f32 v38, v38, v51 :: v_dual_sub_f32 v35, v35, v52
	v_dual_sub_f32 v51, v42, v53 :: v_dual_add_f32 v34, v37, v34
	v_sub_f32_e32 v37, v44, v52
	v_dual_sub_f32 v32, v32, v53 :: v_dual_sub_f32 v53, v66, v54
	v_sub_f32_e32 v54, v47, v30
	v_sub_f32_e32 v52, v67, v55
	v_dual_sub_f32 v55, v49, v31 :: v_dual_add_f32 v38, v42, v38
	v_dual_sub_f32 v40, v40, v51 :: v_dual_sub_f32 v37, v41, v37
	v_add_f32_e32 v34, v44, v34
	v_dual_sub_f32 v33, v33, v54 :: v_dual_add_f32 v42, v43, v53
	v_add_f32_e32 v41, v46, v52
	v_dual_sub_f32 v43, v47, v54 :: v_dual_sub_f32 v44, v49, v55
	v_dual_add_f32 v35, v35, v37 :: v_dual_sub_f32 v36, v36, v55
	v_dual_add_f32 v37, v45, v34 :: v_dual_add_f32 v32, v32, v40
	s_delay_alu instid0(VALU_DEP_4) | instskip(NEXT) | instid1(VALU_DEP_4)
	v_dual_add_f32 v41, v49, v41 :: v_dual_add_f32 v40, v39, v38
	v_dual_sub_f32 v30, v30, v43 :: v_dual_sub_f32 v31, v31, v44
	s_delay_alu instid0(VALU_DEP_3) | instskip(NEXT) | instid1(VALU_DEP_2)
	v_dual_sub_f32 v43, v37, v45 :: v_dual_add_f32 v42, v47, v42
	v_dual_sub_f32 v39, v40, v39 :: v_dual_add_f32 v30, v33, v30
	s_delay_alu instid0(VALU_DEP_3) | instskip(NEXT) | instid1(VALU_DEP_2)
	v_dual_add_f32 v31, v36, v31 :: v_dual_add_f32 v36, v50, v41
	v_dual_add_f32 v33, v48, v42 :: v_dual_sub_f32 v38, v38, v39
	s_delay_alu instid0(VALU_DEP_2) | instskip(NEXT) | instid1(VALU_DEP_2)
	v_dual_sub_f32 v34, v34, v43 :: v_dual_sub_f32 v43, v36, v50
	v_dual_sub_f32 v39, v33, v48 :: v_dual_add_f32 v32, v32, v38
	s_delay_alu instid0(VALU_DEP_2) | instskip(NEXT) | instid1(VALU_DEP_2)
	v_dual_add_f32 v34, v35, v34 :: v_dual_sub_f32 v35, v41, v43
	v_dual_sub_f32 v38, v42, v39 :: v_dual_add_f32 v39, v40, v32
	s_delay_alu instid0(VALU_DEP_1) | instskip(NEXT) | instid1(VALU_DEP_2)
	v_dual_add_f32 v31, v31, v35 :: v_dual_add_f32 v30, v30, v38
	v_dual_add_f32 v38, v37, v34 :: v_dual_sub_f32 v35, v39, v40
	s_delay_alu instid0(VALU_DEP_2) | instskip(NEXT) | instid1(VALU_DEP_3)
	v_add_f32_e32 v43, v36, v31
	v_add_f32_e32 v41, v33, v30
	s_delay_alu instid0(VALU_DEP_3) | instskip(SKIP_1) | instid1(VALU_DEP_3)
	v_dual_sub_f32 v37, v38, v37 :: v_dual_sub_f32 v32, v32, v35
	v_mul_f32_e32 v40, v5, v39
	v_dual_mul_f32 v42, v6, v38 :: v_dual_sub_f32 v33, v41, v33
	v_sub_f32_e32 v36, v43, v36
	s_delay_alu instid0(VALU_DEP_3)
	v_fma_f32 v35, v5, v39, -v40
	v_mul_f32_e32 v39, v7, v41
	v_sub_f32_e32 v34, v34, v37
	v_fma_f32 v37, v6, v38, -v42
	v_dual_sub_f32 v30, v30, v33 :: v_dual_sub_f32 v31, v31, v36
	v_dual_fmac_f32 v35, v5, v32 :: v_dual_mul_f32 v38, v8, v43
	s_delay_alu instid0(VALU_DEP_3) | instskip(SKIP_4) | instid1(VALU_DEP_1)
	v_fmac_f32_e32 v37, v6, v34
	v_fma_f32 v32, v7, v41, -v39
	v_cmp_class_f32_e64 s14, v40, 0x204
	v_cmp_class_f32_e64 s13, v42, 0x204
	v_fma_f32 v33, v8, v43, -v38
	v_dual_fmac_f32 v32, v7, v30 :: v_dual_fmac_f32 v33, v8, v31
	v_add_f32_e32 v34, v40, v35
	s_delay_alu instid0(VALU_DEP_2) | instskip(NEXT) | instid1(VALU_DEP_2)
	v_dual_add_f32 v36, v39, v32 :: v_dual_add_f32 v41, v38, v33
	v_sub_f32_e32 v31, v34, v40
	v_cndmask_b32_e64 v34, v34, v40, s14
	v_add_f32_e32 v30, v42, v37
	v_cmp_class_f32_e64 s14, v39, 0x204
	s_delay_alu instid0(VALU_DEP_4) | instskip(NEXT) | instid1(VALU_DEP_4)
	v_sub_f32_e32 v31, v35, v31
	v_cmp_eq_f32_e64 s15, 0x42b17218, v34
	s_delay_alu instid0(VALU_DEP_1) | instskip(SKIP_3) | instid1(VALU_DEP_3)
	v_cndmask_b32_e64 v35, 0, 0x37000000, s15
	v_sub_f32_e32 v40, v30, v42
	v_cndmask_b32_e64 v30, v30, v42, s13
	v_cmp_class_f32_e64 s13, v38, 0x204
	v_sub_f32_e32 v37, v37, v40
	v_sub_f32_e32 v40, v41, v38
	s_delay_alu instid0(VALU_DEP_3) | instskip(SKIP_3) | instid1(VALU_DEP_3)
	v_cndmask_b32_e64 v38, v41, v38, s13
	v_cmp_neq_f32_e64 s13, 0x7f800000, |v34|
	v_sub_f32_e32 v34, v34, v35
	v_cmp_eq_f32_e64 s15, 0x42b17218, v30
	v_cndmask_b32_e64 v31, 0, v31, s13
	s_delay_alu instid0(VALU_DEP_3) | instskip(NEXT) | instid1(VALU_DEP_2)
	v_cmp_nlt_f32_e64 s16, 0x42b17218, v34
	v_add_f32_e32 v31, v35, v31
	v_dual_mul_f32 v35, 0x3fb8aa3b, v34 :: v_dual_sub_f32 v42, v36, v39
	v_cndmask_b32_e64 v36, v36, v39, s14
	v_cmp_neq_f32_e64 s14, 0x7f800000, |v30|
	v_cndmask_b32_e64 v39, 0, 0x37000000, s15
	s_delay_alu instid0(VALU_DEP_4) | instskip(NEXT) | instid1(VALU_DEP_4)
	v_rndne_f32_e32 v43, v35
	v_cmp_eq_f32_e64 s13, 0x42b17218, v36
	s_delay_alu instid0(VALU_DEP_4) | instskip(SKIP_1) | instid1(VALU_DEP_3)
	v_cndmask_b32_e64 v37, 0, v37, s14
	v_cmp_eq_f32_e64 s14, 0x42b17218, v38
	v_cndmask_b32_e64 v41, 0, 0x37000000, s13
	s_delay_alu instid0(VALU_DEP_3) | instskip(SKIP_1) | instid1(VALU_DEP_4)
	v_dual_add_f32 v37, v39, v37 :: v_dual_sub_f32 v32, v32, v42
	v_sub_f32_e32 v33, v33, v40
	v_cndmask_b32_e64 v40, 0, 0x37000000, s14
	v_cmp_neq_f32_e64 s14, 0x7f800000, |v36|
	v_cmp_neq_f32_e64 s13, 0x7f800000, |v38|
	v_sub_f32_e32 v36, v36, v41
	v_sub_f32_e32 v30, v30, v39
	v_fma_f32 v42, 0x3fb8aa3b, v34, -v35
	v_cndmask_b32_e64 v32, 0, v32, s14
	v_cndmask_b32_e64 v33, 0, v33, s13
	v_dual_sub_f32 v38, v38, v40 :: v_dual_sub_f32 v35, v35, v43
	v_cvt_i32_f32_e32 v43, v43
	s_delay_alu instid0(VALU_DEP_4)
	v_add_f32_e32 v32, v41, v32
	v_mul_f32_e32 v41, 0x3fb8aa3b, v36
	v_mul_f32_e32 v39, 0x3fb8aa3b, v30
	v_add_f32_e32 v33, v40, v33
	v_cmp_ngt_f32_e64 s13, 0xc2ce8ed0, v30
	v_cmp_ngt_f32_e64 s14, 0xc2ce8ed0, v34
	v_fma_f32 v46, 0x3fb8aa3b, v36, -v41
	v_fma_f32 v44, 0x3fb8aa3b, v30, -v39
	v_rndne_f32_e32 v45, v39
	v_mul_f32_e32 v40, 0x3fb8aa3b, v38
	v_rndne_f32_e32 v47, v41
	v_fmac_f32_e32 v42, 0x32a5705f, v34
	s_delay_alu instid0(VALU_DEP_4) | instskip(NEXT) | instid1(VALU_DEP_4)
	v_dual_fmac_f32 v44, 0x32a5705f, v30 :: v_dual_sub_f32 v39, v39, v45
	v_fma_f32 v48, 0x3fb8aa3b, v38, -v40
	s_delay_alu instid0(VALU_DEP_4) | instskip(SKIP_2) | instid1(VALU_DEP_4)
	v_sub_f32_e32 v41, v41, v47
	v_rndne_f32_e32 v49, v40
	v_dual_add_f32 v35, v35, v42 :: v_dual_fmac_f32 v46, 0x32a5705f, v36
	v_dual_add_f32 v39, v39, v44 :: v_dual_fmac_f32 v48, 0x32a5705f, v38
	s_delay_alu instid0(VALU_DEP_3) | instskip(NEXT) | instid1(VALU_DEP_3)
	v_sub_f32_e32 v40, v40, v49
	v_exp_f32_e32 v35, v35
	s_delay_alu instid0(VALU_DEP_3) | instskip(NEXT) | instid1(VALU_DEP_3)
	v_add_f32_e32 v41, v41, v46
	v_exp_f32_e32 v39, v39
	v_cvt_i32_f32_e32 v45, v45
	v_add_f32_e32 v40, v40, v48
	v_cvt_i32_f32_e32 v42, v47
	v_exp_f32_e32 v41, v41
	v_cvt_i32_f32_e32 v44, v49
	v_cmp_ngt_f32_e64 s15, 0xc2ce8ed0, v38
	v_exp_f32_e32 v40, v40
	v_ldexp_f32 v35, v35, v43
	s_delay_alu instid0(TRANS32_DEP_3) | instskip(NEXT) | instid1(VALU_DEP_2)
	v_ldexp_f32 v39, v39, v45
	v_cndmask_b32_e64 v35, 0, v35, s14
	s_delay_alu instid0(TRANS32_DEP_2) | instskip(SKIP_1) | instid1(VALU_DEP_4)
	v_ldexp_f32 v41, v41, v42
	v_cmp_ngt_f32_e64 s14, 0xc2ce8ed0, v36
	v_cndmask_b32_e64 v39, 0, v39, s13
	v_cmp_nlt_f32_e64 s13, 0x42b17218, v30
	s_delay_alu instid0(TRANS32_DEP_1)
	v_ldexp_f32 v30, v40, v44
	v_cndmask_b32_e64 v34, 0x7f800000, v35, s16
	v_cndmask_b32_e64 v35, 0, v41, s14
	v_cmp_nlt_f32_e64 s14, 0x42b17218, v36
	v_cndmask_b32_e64 v39, 0x7f800000, v39, s13
	v_cndmask_b32_e64 v30, 0, v30, s15
	v_cmp_nlt_f32_e64 s13, 0x42b17218, v38
	v_fma_f32 v31, v34, v31, v34
	v_cndmask_b32_e64 v35, 0x7f800000, v35, s14
	v_fma_f32 v36, v39, v37, v39
	v_cmp_class_f32_e64 s14, v39, 0x204
	v_cndmask_b32_e64 v30, 0x7f800000, v30, s13
	v_cmp_class_f32_e64 s13, v34, 0x204
	v_fma_f32 v32, v35, v32, v35
	s_delay_alu instid0(VALU_DEP_3) | instskip(NEXT) | instid1(VALU_DEP_3)
	v_fma_f32 v33, v30, v33, v30
	v_cndmask_b32_e64 v31, v31, v34, s13
	v_cndmask_b32_e64 v34, v36, v39, s14
	v_cmp_class_f32_e64 s13, v30, 0x204
	v_cmp_class_f32_e64 s14, v35, 0x204
	s_delay_alu instid0(VALU_DEP_4) | instskip(NEXT) | instid1(VALU_DEP_4)
	v_bfi_b32 v20, 0x7fffffff, v31, v20
	v_bfi_b32 v23, 0x7fffffff, v34, v23
	s_delay_alu instid0(VALU_DEP_4) | instskip(NEXT) | instid1(VALU_DEP_4)
	v_cndmask_b32_e64 v30, v33, v30, s13
	v_cndmask_b32_e64 v31, v32, v35, s14
	s_delay_alu instid0(VALU_DEP_4) | instskip(SKIP_1) | instid1(VALU_DEP_4)
	v_cndmask_b32_e64 v32, 0x7fc00000, v20, s3
	v_cmp_gt_f32_e64 s3, 0, v15
	v_bfi_b32 v29, 0x7fffffff, v30, v29
	s_delay_alu instid0(VALU_DEP_4) | instskip(SKIP_2) | instid1(VALU_DEP_3)
	v_bfi_b32 v28, 0x7fffffff, v31, v28
	v_cndmask_b32_e64 v31, 0x7fc00000, v23, s5
	v_cmp_gt_f32_e64 s5, 0, v12
	v_cndmask_b32_e64 v30, 0x7fc00000, v28, s9
	s_delay_alu instid0(VALU_DEP_3) | instskip(NEXT) | instid1(VALU_DEP_3)
	v_cndmask_b32_e64 v23, v23, v31, s3
	v_cndmask_b32_e64 v20, v20, v32, s5
	v_cmp_gt_f32_e64 s5, 0, v16
	v_cmp_eq_f32_e64 s3, 0x7f800000, v11
	v_cndmask_b32_e64 v11, 0x7fc00000, v29, s10
	v_cmp_gt_f32_e64 s9, 0, v17
	v_cmp_eq_f32_e64 s10, 0x7f800000, v10
	s_delay_alu instid0(VALU_DEP_2) | instskip(NEXT) | instid1(VALU_DEP_2)
	v_cndmask_b32_e64 v11, v29, v11, s9
	v_cndmask_b32_e64 v10, v20, v18, s10
	;; [unrolled: 1-line block ×3, first 2 shown]
	v_cmp_eq_f32_e64 s5, 0x7f800000, v13
	v_cndmask_b32_e64 v13, v23, v19, s3
	v_cmp_eq_f32_e64 s3, 0x7f800000, v14
	v_cndmask_b32_e32 v10, v10, v25, vcc_lo
	s_or_b32 vcc_lo, s6, s11
	v_cndmask_b32_e64 v14, v18, v21, s5
	v_cndmask_b32_e64 v13, v13, v24, s2
	;; [unrolled: 1-line block ×3, first 2 shown]
	v_cmp_o_f32_e64 s2, v15, v6
	s_or_b32 s3, s7, s12
	v_cndmask_b32_e64 v5, 0x7fc00000, v10, s4
	v_cndmask_b32_e32 v10, v14, v26, vcc_lo
	v_cndmask_b32_e64 v6, v11, v27, s3
	v_cmp_o_f32_e32 vcc_lo, v16, v7
	v_cndmask_b32_e64 v7, 0x7fc00000, v13, s2
	v_cmp_o_f32_e64 s2, v17, v8
	v_cvt_f16_f32_e32 v5, v5
	s_add_u32 s36, s36, s43
	v_cndmask_b32_e32 v8, 0x7fc00000, v10, vcc_lo
	v_cvt_f16_f32_e32 v7, v7
	v_cndmask_b32_e64 v6, 0x7fc00000, v6, s2
	s_addc_u32 s37, s37, 0
	s_add_u32 s38, s38, s43
	v_cvt_f16_f32_e32 v8, v8
	s_addc_u32 s39, s39, 0
	v_cvt_f16_f32_e32 v6, v6
	s_and_b32 s2, exec_lo, s45
	s_delay_alu instid0(VALU_DEP_2) | instskip(SKIP_1) | instid1(VALU_DEP_2)
	v_pack_b32_f16 v5, v5, v8
	s_or_b32 s41, s2, s41
	v_pack_b32_f16 v6, v7, v6
	global_store_b64 v[3:4], v[5:6], off
	s_and_not1_b32 exec_lo, exec_lo, s41
	s_cbranch_execnz .LBB144_3
.LBB144_4:
	s_or_b32 exec_lo, exec_lo, s40
	s_mov_b32 s2, 0
.LBB144_5:
	s_delay_alu instid0(SALU_CYCLE_1)
	s_and_not1_b32 vcc_lo, exec_lo, s2
	s_cbranch_vccnz .LBB144_25
; %bb.6:
	v_cmp_lt_i64_e64 s2, s[28:29], 1
	s_delay_alu instid0(VALU_DEP_1)
	s_and_b32 vcc_lo, exec_lo, s2
	s_cbranch_vccnz .LBB144_25
; %bb.7:
	s_load_b32 s0, s[0:1], 0xc5c
	v_dual_mov_b32 v10, 0 :: v_dual_lshlrev_b32 v9, 1, v0
	v_cmp_gt_u64_e64 s1, 0x10000, s[28:29]
	s_mov_b64 s[10:11], 0
	s_mov_b32 s13, 0x3e76c4e1
	s_delay_alu instid0(VALU_DEP_2) | instskip(NEXT) | instid1(VALU_DEP_1)
	v_add_co_u32 v1, s2, s30, v9
	v_add_co_ci_u32_e64 v2, null, s31, 0, s2
	v_add_co_u32 v3, s2, s34, v9
	s_delay_alu instid0(VALU_DEP_1)
	v_add_co_ci_u32_e64 v4, null, s35, 0, s2
	s_waitcnt lgkmcnt(0)
	s_and_b32 s0, s0, 0xffff
	s_and_b32 s1, s1, exec_lo
	v_mad_u64_u32 v[7:8], null, s0, 6, v[9:10]
	s_cselect_b32 s9, s29, 0
	s_cselect_b32 s8, s28, 0x10000
	s_mul_i32 s2, s0, 3
	s_lshl_b32 s7, s0, 2
	s_lshl_b32 s1, s0, 1
	v_add_co_u32 v14, s3, s7, v9
	v_add_co_u32 v9, s2, s2, v0
	s_delay_alu instid0(VALU_DEP_1) | instskip(SKIP_3) | instid1(VALU_DEP_3)
	v_add_co_ci_u32_e64 v10, null, 0, 0, s2
	v_add_co_u32 v13, s2, v0, s0
	v_add_co_u32 v5, vcc_lo, s30, v7
	v_add_co_ci_u32_e32 v6, vcc_lo, s31, v8, vcc_lo
	v_lshlrev_b32_e32 v21, 1, v13
	v_add_co_u32 v7, vcc_lo, s34, v7
	v_add_co_ci_u32_e64 v15, null, 0, 0, s3
	v_add_co_ci_u32_e32 v8, vcc_lo, s35, v8, vcc_lo
	v_add_co_u32 v17, s1, s1, v0
	v_add_co_u32 v11, vcc_lo, s30, v14
	v_add_co_ci_u32_e64 v18, null, 0, 0, s1
	v_add_co_u32 v19, s1, s30, v21
	v_add_co_ci_u32_e32 v12, vcc_lo, s31, v15, vcc_lo
	v_add_co_u32 v14, vcc_lo, s34, v14
	v_add_co_ci_u32_e64 v20, null, s31, 0, s1
	v_add_co_u32 v21, s1, s34, v21
	v_add_co_ci_u32_e32 v15, vcc_lo, s35, v15, vcc_lo
	v_add_co_ci_u32_e64 v16, null, 0, 0, s2
	v_add_co_ci_u32_e64 v22, null, s35, 0, s1
	s_lshl_b32 s12, s0, 3
	s_branch .LBB144_9
.LBB144_8:                              ;   in Loop: Header=BB144_9 Depth=1
	s_or_b32 exec_lo, exec_lo, s4
	v_add_co_u32 v1, vcc_lo, v1, s12
	v_add_co_ci_u32_e32 v2, vcc_lo, 0, v2, vcc_lo
	v_add_co_u32 v3, vcc_lo, v3, s12
	v_add_co_ci_u32_e32 v4, vcc_lo, 0, v4, vcc_lo
	;; [unrolled: 2-line block ×5, first 2 shown]
	s_add_u32 s10, s10, s7
	v_add_co_u32 v14, vcc_lo, v14, s12
	s_addc_u32 s11, s11, 0
	v_add_co_ci_u32_e32 v15, vcc_lo, 0, v15, vcc_lo
	v_cmp_ge_i64_e64 s0, s[10:11], s[28:29]
	v_cmp_lt_u64_e64 s1, 0xffff, s[10:11]
	v_add_co_u32 v19, vcc_lo, v19, s12
	v_add_co_ci_u32_e32 v20, vcc_lo, 0, v20, vcc_lo
	v_add_co_u32 v21, vcc_lo, v21, s12
	v_add_co_ci_u32_e32 v22, vcc_lo, 0, v22, vcc_lo
	s_or_b32 s0, s0, s1
	s_delay_alu instid0(SALU_CYCLE_1)
	s_and_b32 vcc_lo, exec_lo, s0
	s_cbranch_vccnz .LBB144_25
.LBB144_9:                              ; =>This Inner Loop Header: Depth=1
	s_waitcnt vmcnt(1)
	v_add_co_u32 v23, s0, v0, s10
	s_waitcnt vmcnt(0)
	v_add_co_ci_u32_e64 v24, null, 0, s11, s0
	v_dual_mov_b32 v29, 0 :: v_dual_mov_b32 v30, 0
	s_delay_alu instid0(VALU_DEP_2) | instskip(NEXT) | instid1(VALU_DEP_1)
	v_cmp_gt_u64_e64 s2, s[8:9], v[23:24]
	s_and_saveexec_b32 s0, s2
	s_cbranch_execz .LBB144_11
; %bb.10:                               ;   in Loop: Header=BB144_9 Depth=1
	v_add_co_u32 v23, vcc_lo, v1, s26
	v_add_co_ci_u32_e32 v24, vcc_lo, s27, v2, vcc_lo
	v_add_co_u32 v25, vcc_lo, v3, s26
	v_add_co_ci_u32_e32 v26, vcc_lo, s27, v4, vcc_lo
	global_load_u16 v29, v[23:24], off
	global_load_u16 v30, v[25:26], off
.LBB144_11:                             ;   in Loop: Header=BB144_9 Depth=1
	s_or_b32 exec_lo, exec_lo, s0
	v_add_co_u32 v23, vcc_lo, v13, s10
	v_add_co_ci_u32_e32 v24, vcc_lo, s11, v16, vcc_lo
	v_dual_mov_b32 v25, 0 :: v_dual_mov_b32 v28, 0
	v_mov_b32_e32 v27, 0
	s_delay_alu instid0(VALU_DEP_3) | instskip(NEXT) | instid1(VALU_DEP_1)
	v_cmp_gt_u64_e64 s1, s[8:9], v[23:24]
	s_and_saveexec_b32 s0, s1
	s_cbranch_execz .LBB144_13
; %bb.12:                               ;   in Loop: Header=BB144_9 Depth=1
	v_add_co_u32 v23, vcc_lo, v19, s26
	v_add_co_ci_u32_e32 v24, vcc_lo, s27, v20, vcc_lo
	v_add_co_u32 v31, vcc_lo, v21, s26
	v_add_co_ci_u32_e32 v32, vcc_lo, s27, v22, vcc_lo
	global_load_u16 v27, v[23:24], off
	global_load_u16 v28, v[31:32], off
.LBB144_13:                             ;   in Loop: Header=BB144_9 Depth=1
	s_or_b32 exec_lo, exec_lo, s0
	v_add_co_u32 v23, vcc_lo, v17, s10
	v_add_co_ci_u32_e32 v24, vcc_lo, s11, v18, vcc_lo
	v_mov_b32_e32 v26, 0
	s_delay_alu instid0(VALU_DEP_2) | instskip(NEXT) | instid1(VALU_DEP_1)
	v_cmp_gt_u64_e64 s0, s[8:9], v[23:24]
	s_and_saveexec_b32 s3, s0
	s_cbranch_execz .LBB144_15
; %bb.14:                               ;   in Loop: Header=BB144_9 Depth=1
	v_add_co_u32 v23, vcc_lo, v11, s26
	v_add_co_ci_u32_e32 v24, vcc_lo, s27, v12, vcc_lo
	v_add_co_u32 v31, vcc_lo, v14, s26
	v_add_co_ci_u32_e32 v32, vcc_lo, s27, v15, vcc_lo
	global_load_u16 v25, v[23:24], off
	global_load_u16 v26, v[31:32], off
.LBB144_15:                             ;   in Loop: Header=BB144_9 Depth=1
	s_or_b32 exec_lo, exec_lo, s3
	v_add_co_u32 v23, vcc_lo, v9, s10
	v_add_co_ci_u32_e32 v24, vcc_lo, s11, v10, vcc_lo
	s_delay_alu instid0(VALU_DEP_1)
	v_cmp_gt_u64_e32 vcc_lo, s[8:9], v[23:24]
	v_dual_mov_b32 v23, 0 :: v_dual_mov_b32 v24, 0
	s_and_saveexec_b32 s4, vcc_lo
	s_cbranch_execnz .LBB144_20
; %bb.16:                               ;   in Loop: Header=BB144_9 Depth=1
	s_or_b32 exec_lo, exec_lo, s4
	s_and_saveexec_b32 s14, s2
	s_cbranch_execnz .LBB144_21
.LBB144_17:                             ;   in Loop: Header=BB144_9 Depth=1
	s_or_b32 exec_lo, exec_lo, s14
	s_and_saveexec_b32 s6, s1
	s_cbranch_execnz .LBB144_22
.LBB144_18:                             ;   in Loop: Header=BB144_9 Depth=1
	s_or_b32 exec_lo, exec_lo, s6
	s_and_saveexec_b32 s5, s0
	s_cbranch_execnz .LBB144_23
.LBB144_19:                             ;   in Loop: Header=BB144_9 Depth=1
	s_or_b32 exec_lo, exec_lo, s5
	s_and_saveexec_b32 s4, vcc_lo
	s_cbranch_execz .LBB144_8
	s_branch .LBB144_24
.LBB144_20:                             ;   in Loop: Header=BB144_9 Depth=1
	v_add_co_u32 v23, s3, v5, s26
	s_delay_alu instid0(VALU_DEP_1) | instskip(SKIP_1) | instid1(VALU_DEP_1)
	v_add_co_ci_u32_e64 v24, s3, s27, v6, s3
	v_add_co_u32 v31, s3, v7, s26
	v_add_co_ci_u32_e64 v32, s3, s27, v8, s3
	global_load_u16 v23, v[23:24], off
	global_load_u16 v24, v[31:32], off
	s_or_b32 exec_lo, exec_lo, s4
	s_and_saveexec_b32 s14, s2
	s_cbranch_execz .LBB144_17
.LBB144_21:                             ;   in Loop: Header=BB144_9 Depth=1
	s_waitcnt vmcnt(0)
	v_cvt_f32_f16_e32 v30, v30
	v_cmp_eq_f16_e64 s2, 1.0, v29
	v_cvt_f32_f16_e32 v29, v29
	s_delay_alu instid0(VALU_DEP_3) | instskip(NEXT) | instid1(VALU_DEP_1)
	v_mul_f32_e32 v31, s33, v30
	v_cndmask_b32_e64 v32, v31, 1.0, s2
	s_delay_alu instid0(VALU_DEP_1) | instskip(SKIP_1) | instid1(VALU_DEP_2)
	v_cmp_eq_f32_e64 s3, 0, v32
	v_cmp_gt_f32_e64 s5, 0, v32
	v_cndmask_b32_e64 v34, |v29|, 1.0, s3
	v_cndmask_b32_e64 v33, v29, 1.0, s3
	s_delay_alu instid0(VALU_DEP_2) | instskip(NEXT) | instid1(VALU_DEP_2)
	v_cvt_f64_f32_e32 v[29:30], v34
	v_cmp_eq_f32_e64 s6, 0, v33
	s_delay_alu instid0(VALU_DEP_2) | instskip(SKIP_1) | instid1(VALU_DEP_1)
	v_frexp_exp_i32_f64_e32 v29, v[29:30]
	v_frexp_mant_f32_e32 v30, v34
	v_cmp_gt_f32_e64 s3, 0x3f2aaaab, v30
	s_delay_alu instid0(VALU_DEP_1) | instskip(NEXT) | instid1(VALU_DEP_1)
	v_cndmask_b32_e64 v35, 1.0, 2.0, s3
	v_mul_f32_e32 v30, v30, v35
	v_cndmask_b32_e64 v31, |v31|, 1.0, s2
	s_delay_alu instid0(VALU_DEP_2) | instskip(SKIP_1) | instid1(VALU_DEP_1)
	v_add_f32_e32 v37, -1.0, v30
	v_add_f32_e32 v35, 1.0, v30
	v_rcp_f32_e32 v36, v35
	s_waitcnt_depctr 0xfff
	v_dual_mul_f32 v38, v37, v36 :: v_dual_add_f32 v39, -1.0, v35
	v_subrev_co_ci_u32_e64 v29, s4, 0, v29, s3
	s_delay_alu instid0(VALU_DEP_2) | instskip(NEXT) | instid1(VALU_DEP_3)
	v_mul_f32_e32 v40, v35, v38
	v_sub_f32_e32 v30, v30, v39
	s_delay_alu instid0(VALU_DEP_3) | instskip(NEXT) | instid1(VALU_DEP_3)
	v_cvt_f32_i32_e32 v29, v29
	v_fma_f32 v35, v38, v35, -v40
	s_delay_alu instid0(VALU_DEP_1) | instskip(NEXT) | instid1(VALU_DEP_1)
	v_fmac_f32_e32 v35, v38, v30
	v_add_f32_e32 v30, v40, v35
	s_delay_alu instid0(VALU_DEP_1) | instskip(NEXT) | instid1(VALU_DEP_1)
	v_dual_sub_f32 v39, v37, v30 :: v_dual_sub_f32 v40, v30, v40
	v_sub_f32_e32 v35, v40, v35
	s_delay_alu instid0(VALU_DEP_2) | instskip(NEXT) | instid1(VALU_DEP_1)
	v_sub_f32_e32 v37, v37, v39
	v_sub_f32_e32 v30, v37, v30
	s_delay_alu instid0(VALU_DEP_1) | instskip(NEXT) | instid1(VALU_DEP_1)
	v_add_f32_e32 v30, v35, v30
	v_add_f32_e32 v30, v39, v30
	s_delay_alu instid0(VALU_DEP_1) | instskip(NEXT) | instid1(VALU_DEP_1)
	v_mul_f32_e32 v30, v36, v30
	v_add_f32_e32 v35, v38, v30
	s_delay_alu instid0(VALU_DEP_1) | instskip(SKIP_1) | instid1(VALU_DEP_1)
	v_mul_f32_e32 v37, v35, v35
	v_sub_f32_e32 v36, v35, v38
	v_sub_f32_e32 v30, v30, v36
	s_delay_alu instid0(VALU_DEP_3) | instskip(NEXT) | instid1(VALU_DEP_2)
	v_fma_f32 v36, v35, v35, -v37
	v_add_f32_e32 v38, v30, v30
	s_delay_alu instid0(VALU_DEP_1) | instskip(NEXT) | instid1(VALU_DEP_1)
	v_fmac_f32_e32 v36, v35, v38
	v_add_f32_e32 v38, v37, v36
	s_delay_alu instid0(VALU_DEP_1) | instskip(SKIP_1) | instid1(VALU_DEP_1)
	v_fmaak_f32 v39, s13, v38, 0x3e91f4c4
	v_sub_f32_e32 v37, v38, v37
	v_dual_fmaak_f32 v39, v38, v39, 0x3ecccdef :: v_dual_sub_f32 v36, v36, v37
	s_delay_alu instid0(VALU_DEP_1) | instskip(NEXT) | instid1(VALU_DEP_1)
	v_mul_f32_e32 v40, v38, v39
	v_fma_f32 v37, v38, v39, -v40
	s_delay_alu instid0(VALU_DEP_1) | instskip(NEXT) | instid1(VALU_DEP_1)
	v_dual_fmac_f32 v37, v36, v39 :: v_dual_mul_f32 v42, v35, v38
	v_add_f32_e32 v39, v40, v37
	s_delay_alu instid0(VALU_DEP_2) | instskip(NEXT) | instid1(VALU_DEP_1)
	v_fma_f32 v43, v38, v35, -v42
	v_dual_sub_f32 v40, v39, v40 :: v_dual_fmac_f32 v43, v38, v30
	v_add_f32_e32 v41, 0x3f2aaaaa, v39
	v_ldexp_f32 v30, v30, 1
	s_delay_alu instid0(VALU_DEP_3) | instskip(NEXT) | instid1(VALU_DEP_4)
	v_sub_f32_e32 v37, v37, v40
	v_fmac_f32_e32 v43, v36, v35
	v_ldexp_f32 v35, v35, 1
	s_delay_alu instid0(VALU_DEP_3) | instskip(SKIP_1) | instid1(VALU_DEP_1)
	v_add_f32_e32 v37, 0x31739010, v37
	v_add_f32_e32 v40, 0xbf2aaaaa, v41
	v_sub_f32_e32 v39, v39, v40
	s_delay_alu instid0(VALU_DEP_1) | instskip(NEXT) | instid1(VALU_DEP_1)
	v_add_f32_e32 v37, v37, v39
	v_add_f32_e32 v36, v41, v37
	s_delay_alu instid0(VALU_DEP_1) | instskip(NEXT) | instid1(VALU_DEP_1)
	v_dual_add_f32 v38, v42, v43 :: v_dual_sub_f32 v39, v41, v36
	v_mul_f32_e32 v40, v38, v36
	v_sub_f32_e32 v41, v38, v42
	s_delay_alu instid0(VALU_DEP_3) | instskip(NEXT) | instid1(VALU_DEP_3)
	v_add_f32_e32 v37, v37, v39
	v_fma_f32 v39, v38, v36, -v40
	s_delay_alu instid0(VALU_DEP_3) | instskip(NEXT) | instid1(VALU_DEP_2)
	v_sub_f32_e32 v41, v43, v41
	v_fmac_f32_e32 v39, v38, v37
	s_delay_alu instid0(VALU_DEP_1) | instskip(NEXT) | instid1(VALU_DEP_1)
	v_fmac_f32_e32 v39, v41, v36
	v_add_f32_e32 v36, v40, v39
	s_delay_alu instid0(VALU_DEP_1) | instskip(SKIP_2) | instid1(VALU_DEP_3)
	v_sub_f32_e32 v37, v36, v40
	v_add_f32_e32 v38, v35, v36
	v_mul_f32_e32 v40, 0x3f317218, v29
	v_sub_f32_e32 v37, v39, v37
	s_delay_alu instid0(VALU_DEP_3) | instskip(NEXT) | instid1(VALU_DEP_3)
	v_sub_f32_e32 v35, v38, v35
	v_fma_f32 v39, 0x3f317218, v29, -v40
	s_delay_alu instid0(VALU_DEP_2) | instskip(NEXT) | instid1(VALU_DEP_2)
	v_dual_add_f32 v30, v30, v37 :: v_dual_sub_f32 v35, v36, v35
	v_fmac_f32_e32 v39, 0xb102e308, v29
	s_delay_alu instid0(VALU_DEP_2) | instskip(NEXT) | instid1(VALU_DEP_1)
	v_add_f32_e32 v29, v30, v35
	v_dual_add_f32 v30, v40, v39 :: v_dual_add_f32 v35, v38, v29
	s_delay_alu instid0(VALU_DEP_1) | instskip(NEXT) | instid1(VALU_DEP_2)
	v_sub_f32_e32 v40, v30, v40
	v_add_f32_e32 v36, v30, v35
	v_sub_f32_e32 v38, v35, v38
	s_delay_alu instid0(VALU_DEP_2) | instskip(NEXT) | instid1(VALU_DEP_2)
	v_sub_f32_e32 v37, v36, v30
	v_sub_f32_e32 v29, v29, v38
	s_delay_alu instid0(VALU_DEP_2) | instskip(NEXT) | instid1(VALU_DEP_1)
	v_sub_f32_e32 v41, v36, v37
	v_sub_f32_e32 v30, v30, v41
	;; [unrolled: 1-line block ×3, first 2 shown]
	s_delay_alu instid0(VALU_DEP_1) | instskip(SKIP_1) | instid1(VALU_DEP_1)
	v_add_f32_e32 v30, v35, v30
	v_sub_f32_e32 v39, v39, v40
	v_add_f32_e32 v37, v39, v29
	s_delay_alu instid0(VALU_DEP_1) | instskip(NEXT) | instid1(VALU_DEP_1)
	v_add_f32_e32 v30, v37, v30
	v_dual_sub_f32 v35, v37, v39 :: v_dual_add_f32 v38, v36, v30
	s_delay_alu instid0(VALU_DEP_1) | instskip(NEXT) | instid1(VALU_DEP_1)
	v_dual_sub_f32 v37, v37, v35 :: v_dual_sub_f32 v36, v38, v36
	v_dual_sub_f32 v30, v30, v36 :: v_dual_sub_f32 v29, v29, v35
	s_delay_alu instid0(VALU_DEP_2) | instskip(NEXT) | instid1(VALU_DEP_1)
	v_sub_f32_e32 v35, v39, v37
	v_add_f32_e32 v29, v29, v35
	s_delay_alu instid0(VALU_DEP_1) | instskip(NEXT) | instid1(VALU_DEP_1)
	v_add_f32_e32 v29, v29, v30
	v_add_f32_e32 v30, v38, v29
	s_delay_alu instid0(VALU_DEP_1) | instskip(NEXT) | instid1(VALU_DEP_1)
	v_sub_f32_e32 v35, v30, v38
	v_dual_mul_f32 v36, v32, v30 :: v_dual_sub_f32 v29, v29, v35
	s_delay_alu instid0(VALU_DEP_1) | instskip(SKIP_1) | instid1(VALU_DEP_2)
	v_fma_f32 v30, v32, v30, -v36
	v_cmp_class_f32_e64 s3, v36, 0x204
	v_fmac_f32_e32 v30, v32, v29
	s_delay_alu instid0(VALU_DEP_1) | instskip(NEXT) | instid1(VALU_DEP_1)
	v_add_f32_e32 v29, v36, v30
	v_cndmask_b32_e64 v35, v29, v36, s3
	v_sub_f32_e32 v29, v29, v36
	s_delay_alu instid0(VALU_DEP_2) | instskip(NEXT) | instid1(VALU_DEP_2)
	v_cmp_eq_f32_e64 s3, 0x42b17218, v35
	v_sub_f32_e32 v29, v30, v29
	v_trunc_f32_e32 v30, v32
	s_delay_alu instid0(VALU_DEP_3) | instskip(SKIP_1) | instid1(VALU_DEP_2)
	v_cndmask_b32_e64 v37, 0, 0x37000000, s3
	v_cmp_neq_f32_e64 s3, 0x7f800000, |v35|
	v_sub_f32_e32 v38, v35, v37
	s_delay_alu instid0(VALU_DEP_2) | instskip(NEXT) | instid1(VALU_DEP_2)
	v_cndmask_b32_e64 v29, 0, v29, s3
	v_mul_f32_e32 v39, 0x3fb8aa3b, v38
	v_cmp_ngt_f32_e64 s3, 0xc2ce8ed0, v38
	v_cmp_nlt_f32_e64 s4, 0x42b17218, v38
	s_delay_alu instid0(VALU_DEP_4) | instskip(NEXT) | instid1(VALU_DEP_4)
	v_add_f32_e32 v29, v37, v29
	v_fma_f32 v40, 0x3fb8aa3b, v38, -v39
	v_rndne_f32_e32 v41, v39
	s_delay_alu instid0(VALU_DEP_1) | instskip(SKIP_1) | instid1(VALU_DEP_2)
	v_dual_fmac_f32 v40, 0x32a5705f, v38 :: v_dual_sub_f32 v39, v39, v41
	v_cvt_i32_f32_e32 v36, v41
	v_add_f32_e32 v39, v39, v40
	s_delay_alu instid0(VALU_DEP_1) | instskip(SKIP_3) | instid1(VALU_DEP_2)
	v_exp_f32_e32 v39, v39
	s_waitcnt_depctr 0xfff
	v_ldexp_f32 v36, v39, v36
	v_mul_f32_e32 v39, 0.5, v32
	v_cndmask_b32_e64 v35, 0, v36, s3
	s_delay_alu instid0(VALU_DEP_2) | instskip(SKIP_1) | instid1(VALU_DEP_3)
	v_trunc_f32_e32 v36, v39
	v_cmp_eq_f32_e64 s3, v30, v32
	v_cndmask_b32_e64 v30, 0x7f800000, v35, s4
	s_delay_alu instid0(VALU_DEP_3) | instskip(NEXT) | instid1(VALU_DEP_2)
	v_cmp_neq_f32_e64 s4, v36, v39
	v_fma_f32 v29, v30, v29, v30
	s_delay_alu instid0(VALU_DEP_2) | instskip(SKIP_4) | instid1(VALU_DEP_1)
	s_and_b32 s2, s3, s4
	v_cmp_gt_f32_e64 s4, 1.0, v34
	v_cndmask_b32_e64 v35, 0, v33, s2
	v_cndmask_b32_e64 v36, 1.0, v33, s2
	v_cmp_class_f32_e64 s2, v30, 0x204
	v_cndmask_b32_e64 v29, v29, v30, s2
	v_cmp_neq_f32_e64 s2, v32, v31
	s_delay_alu instid0(VALU_DEP_2) | instskip(NEXT) | instid1(VALU_DEP_2)
	v_bfi_b32 v29, 0x7fffffff, v29, v36
	s_xor_b32 s2, s2, s4
	s_delay_alu instid0(SALU_CYCLE_1) | instskip(SKIP_1) | instid1(VALU_DEP_2)
	v_cndmask_b32_e64 v30, v31, 0, s2
	s_xor_b32 s2, s5, s6
	v_cndmask_b32_e64 v36, 0x7fc00000, v29, s3
	v_cndmask_b32_e64 v37, 0x7f800000, 0, s2
	v_cmp_eq_f32_e64 s2, 1.0, v34
	v_cmp_eq_f32_e64 s3, 0x7f800000, v31
	s_delay_alu instid0(VALU_DEP_2) | instskip(SKIP_1) | instid1(VALU_DEP_1)
	v_cndmask_b32_e64 v30, v30, v34, s2
	v_cmp_gt_f32_e64 s2, 0, v33
	v_cndmask_b32_e64 v29, v29, v36, s2
	v_cmp_eq_f32_e64 s2, 0x7f800000, v34
	v_bfi_b32 v34, 0x7fffffff, v37, v35
	s_delay_alu instid0(VALU_DEP_3) | instskip(NEXT) | instid1(VALU_DEP_3)
	v_cndmask_b32_e64 v29, v29, v30, s3
	s_or_b32 s2, s2, s6
	s_delay_alu instid0(VALU_DEP_1) | instid1(SALU_CYCLE_1)
	v_cndmask_b32_e64 v29, v29, v34, s2
	v_cmp_o_f32_e64 s2, v33, v32
	s_delay_alu instid0(VALU_DEP_1) | instskip(NEXT) | instid1(VALU_DEP_1)
	v_cndmask_b32_e64 v29, 0x7fc00000, v29, s2
	v_cvt_f16_f32_e32 v31, v29
	v_add_co_u32 v29, s2, v1, s26
	s_delay_alu instid0(VALU_DEP_1)
	v_add_co_ci_u32_e64 v30, s2, s27, v2, s2
	global_store_b16 v[29:30], v31, off
	s_or_b32 exec_lo, exec_lo, s14
	s_and_saveexec_b32 s6, s1
	s_cbranch_execz .LBB144_18
.LBB144_22:                             ;   in Loop: Header=BB144_9 Depth=1
	s_waitcnt vmcnt(0)
	v_cvt_f32_f16_e32 v28, v28
	v_cmp_eq_f16_e64 s2, 1.0, v27
	v_cvt_f32_f16_e32 v31, v27
	s_delay_alu instid0(VALU_DEP_3) | instskip(NEXT) | instid1(VALU_DEP_1)
	v_mul_f32_e32 v29, s33, v28
	v_cndmask_b32_e64 v30, v29, 1.0, s2
	s_delay_alu instid0(VALU_DEP_1) | instskip(NEXT) | instid1(VALU_DEP_1)
	v_cmp_eq_f32_e64 s1, 0, v30
	v_cndmask_b32_e64 v32, |v31|, 1.0, s1
	v_cndmask_b32_e64 v31, v31, 1.0, s1
	s_delay_alu instid0(VALU_DEP_2) | instskip(SKIP_1) | instid1(VALU_DEP_2)
	v_frexp_mant_f32_e32 v27, v32
	v_cmp_gt_f32_e64 s4, 1.0, v32
	v_cmp_gt_f32_e64 s3, 0x3f2aaaab, v27
	s_delay_alu instid0(VALU_DEP_1) | instskip(NEXT) | instid1(VALU_DEP_1)
	v_cndmask_b32_e64 v28, 1.0, 2.0, s3
	v_mul_f32_e32 v27, v27, v28
	s_delay_alu instid0(VALU_DEP_1) | instskip(NEXT) | instid1(VALU_DEP_1)
	v_add_f32_e32 v28, 1.0, v27
	v_rcp_f32_e32 v33, v28
	v_add_f32_e32 v36, -1.0, v28
	s_delay_alu instid0(VALU_DEP_1) | instskip(SKIP_2) | instid1(VALU_DEP_1)
	v_dual_add_f32 v34, -1.0, v27 :: v_dual_sub_f32 v27, v27, v36
	s_waitcnt_depctr 0xfff
	v_mul_f32_e32 v35, v34, v33
	v_mul_f32_e32 v37, v28, v35
	s_delay_alu instid0(VALU_DEP_1) | instskip(NEXT) | instid1(VALU_DEP_1)
	v_fma_f32 v28, v35, v28, -v37
	v_fmac_f32_e32 v28, v35, v27
	s_delay_alu instid0(VALU_DEP_1) | instskip(NEXT) | instid1(VALU_DEP_1)
	v_add_f32_e32 v27, v37, v28
	v_dual_sub_f32 v36, v34, v27 :: v_dual_sub_f32 v37, v27, v37
	s_delay_alu instid0(VALU_DEP_1) | instskip(NEXT) | instid1(VALU_DEP_2)
	v_sub_f32_e32 v28, v37, v28
	v_sub_f32_e32 v34, v34, v36
	s_delay_alu instid0(VALU_DEP_1) | instskip(NEXT) | instid1(VALU_DEP_1)
	v_sub_f32_e32 v27, v34, v27
	v_add_f32_e32 v27, v28, v27
	s_delay_alu instid0(VALU_DEP_1) | instskip(NEXT) | instid1(VALU_DEP_1)
	v_add_f32_e32 v27, v36, v27
	v_mul_f32_e32 v27, v33, v27
	s_delay_alu instid0(VALU_DEP_1) | instskip(NEXT) | instid1(VALU_DEP_1)
	v_add_f32_e32 v33, v35, v27
	v_sub_f32_e32 v28, v33, v35
	v_mul_f32_e32 v34, v33, v33
	s_delay_alu instid0(VALU_DEP_1) | instskip(NEXT) | instid1(VALU_DEP_3)
	v_fma_f32 v36, v33, v33, -v34
	v_sub_f32_e32 v35, v27, v28
	s_delay_alu instid0(VALU_DEP_1) | instskip(NEXT) | instid1(VALU_DEP_1)
	v_add_f32_e32 v27, v35, v35
	v_fmac_f32_e32 v36, v33, v27
	v_cvt_f64_f32_e32 v[27:28], v32
	s_delay_alu instid0(VALU_DEP_2) | instskip(NEXT) | instid1(VALU_DEP_1)
	v_add_f32_e32 v37, v34, v36
	v_fmaak_f32 v38, s13, v37, 0x3e91f4c4
	v_sub_f32_e32 v34, v37, v34
	v_mul_f32_e32 v41, v33, v37
	s_delay_alu instid0(VALU_DEP_3) | instskip(NEXT) | instid1(VALU_DEP_3)
	v_fmaak_f32 v38, v37, v38, 0x3ecccdef
	v_sub_f32_e32 v34, v36, v34
	s_delay_alu instid0(VALU_DEP_2) | instskip(NEXT) | instid1(VALU_DEP_1)
	v_mul_f32_e32 v39, v37, v38
	v_fma_f32 v36, v37, v38, -v39
	s_delay_alu instid0(VALU_DEP_1) | instskip(NEXT) | instid1(VALU_DEP_1)
	v_fmac_f32_e32 v36, v34, v38
	v_add_f32_e32 v38, v39, v36
	v_frexp_exp_i32_f64_e32 v27, v[27:28]
	s_delay_alu instid0(VALU_DEP_2) | instskip(NEXT) | instid1(VALU_DEP_1)
	v_dual_sub_f32 v39, v38, v39 :: v_dual_add_f32 v40, 0x3f2aaaaa, v38
	v_sub_f32_e32 v28, v36, v39
	s_delay_alu instid0(VALU_DEP_2) | instskip(SKIP_1) | instid1(VALU_DEP_1)
	v_add_f32_e32 v36, 0xbf2aaaaa, v40
	v_fma_f32 v39, v37, v33, -v41
	v_dual_sub_f32 v36, v38, v36 :: v_dual_fmac_f32 v39, v37, v35
	v_ldexp_f32 v35, v35, 1
	s_delay_alu instid0(VALU_DEP_2) | instskip(NEXT) | instid1(VALU_DEP_1)
	v_dual_fmac_f32 v39, v34, v33 :: v_dual_add_f32 v28, 0x31739010, v28
	v_add_f32_e32 v28, v28, v36
	s_delay_alu instid0(VALU_DEP_2) | instskip(NEXT) | instid1(VALU_DEP_2)
	v_add_f32_e32 v36, v41, v39
	v_add_f32_e32 v34, v40, v28
	s_delay_alu instid0(VALU_DEP_1) | instskip(SKIP_1) | instid1(VALU_DEP_2)
	v_sub_f32_e32 v37, v40, v34
	v_subrev_co_ci_u32_e64 v27, s3, 0, v27, s3
	v_add_f32_e32 v28, v28, v37
	s_delay_alu instid0(VALU_DEP_2) | instskip(SKIP_1) | instid1(VALU_DEP_1)
	v_cvt_f32_i32_e32 v27, v27
	v_sub_f32_e32 v40, v36, v41
	v_dual_sub_f32 v39, v39, v40 :: v_dual_mul_f32 v38, v36, v34
	s_delay_alu instid0(VALU_DEP_1) | instskip(NEXT) | instid1(VALU_DEP_1)
	v_fma_f32 v37, v36, v34, -v38
	v_fmac_f32_e32 v37, v36, v28
	v_ldexp_f32 v28, v33, 1
	s_delay_alu instid0(VALU_DEP_2) | instskip(NEXT) | instid1(VALU_DEP_1)
	v_fmac_f32_e32 v37, v39, v34
	v_add_f32_e32 v33, v38, v37
	s_delay_alu instid0(VALU_DEP_1) | instskip(SKIP_2) | instid1(VALU_DEP_3)
	v_sub_f32_e32 v36, v33, v38
	v_mul_f32_e32 v38, 0x3f317218, v27
	v_add_f32_e32 v34, v28, v33
	v_sub_f32_e32 v36, v37, v36
	s_delay_alu instid0(VALU_DEP_3) | instskip(NEXT) | instid1(VALU_DEP_1)
	v_fma_f32 v37, 0x3f317218, v27, -v38
	v_dual_fmac_f32 v37, 0xb102e308, v27 :: v_dual_sub_f32 v28, v34, v28
	s_delay_alu instid0(VALU_DEP_1) | instskip(NEXT) | instid1(VALU_DEP_4)
	v_sub_f32_e32 v28, v33, v28
	v_add_f32_e32 v33, v35, v36
	s_delay_alu instid0(VALU_DEP_1) | instskip(NEXT) | instid1(VALU_DEP_1)
	v_dual_add_f32 v27, v33, v28 :: v_dual_add_f32 v28, v38, v37
	v_add_f32_e32 v33, v34, v27
	s_delay_alu instid0(VALU_DEP_1) | instskip(NEXT) | instid1(VALU_DEP_1)
	v_dual_add_f32 v35, v28, v33 :: v_dual_sub_f32 v34, v33, v34
	v_sub_f32_e32 v36, v35, v28
	s_delay_alu instid0(VALU_DEP_2) | instskip(NEXT) | instid1(VALU_DEP_2)
	v_sub_f32_e32 v27, v27, v34
	v_dual_sub_f32 v39, v35, v36 :: v_dual_sub_f32 v38, v28, v38
	s_delay_alu instid0(VALU_DEP_1) | instskip(NEXT) | instid1(VALU_DEP_2)
	v_dual_sub_f32 v33, v33, v36 :: v_dual_sub_f32 v28, v28, v39
	v_sub_f32_e32 v37, v37, v38
	s_delay_alu instid0(VALU_DEP_2) | instskip(NEXT) | instid1(VALU_DEP_2)
	v_add_f32_e32 v28, v33, v28
	v_add_f32_e32 v34, v37, v27
	s_delay_alu instid0(VALU_DEP_1) | instskip(NEXT) | instid1(VALU_DEP_1)
	v_sub_f32_e32 v33, v34, v37
	v_dual_add_f32 v28, v34, v28 :: v_dual_sub_f32 v27, v27, v33
	s_delay_alu instid0(VALU_DEP_1) | instskip(SKIP_1) | instid1(VALU_DEP_1)
	v_add_f32_e32 v36, v35, v28
	v_sub_f32_e32 v34, v34, v33
	v_dual_sub_f32 v33, v37, v34 :: v_dual_sub_f32 v34, v36, v35
	s_delay_alu instid0(VALU_DEP_1) | instskip(NEXT) | instid1(VALU_DEP_1)
	v_dual_add_f32 v27, v27, v33 :: v_dual_sub_f32 v28, v28, v34
	v_add_f32_e32 v27, v27, v28
	s_delay_alu instid0(VALU_DEP_1) | instskip(NEXT) | instid1(VALU_DEP_1)
	v_add_f32_e32 v28, v36, v27
	v_sub_f32_e32 v33, v28, v36
	s_delay_alu instid0(VALU_DEP_1) | instskip(NEXT) | instid1(VALU_DEP_1)
	v_dual_mul_f32 v34, v30, v28 :: v_dual_sub_f32 v27, v27, v33
	v_fma_f32 v28, v30, v28, -v34
	v_cmp_class_f32_e64 s3, v34, 0x204
	s_delay_alu instid0(VALU_DEP_2) | instskip(NEXT) | instid1(VALU_DEP_1)
	v_fmac_f32_e32 v28, v30, v27
	v_add_f32_e32 v27, v34, v28
	s_delay_alu instid0(VALU_DEP_1) | instskip(NEXT) | instid1(VALU_DEP_1)
	v_cndmask_b32_e64 v33, v27, v34, s3
	v_cmp_eq_f32_e64 s3, 0x42b17218, v33
	s_delay_alu instid0(VALU_DEP_1) | instskip(NEXT) | instid1(VALU_DEP_1)
	v_cndmask_b32_e64 v35, 0, 0x37000000, s3
	v_dual_sub_f32 v36, v33, v35 :: v_dual_sub_f32 v27, v27, v34
	s_delay_alu instid0(VALU_DEP_1) | instskip(NEXT) | instid1(VALU_DEP_2)
	v_mul_f32_e32 v37, 0x3fb8aa3b, v36
	v_sub_f32_e32 v27, v28, v27
	v_cndmask_b32_e64 v28, |v29|, 1.0, s2
	v_cmp_neq_f32_e64 s2, 0x7f800000, |v33|
	v_trunc_f32_e32 v33, v30
	v_fma_f32 v38, 0x3fb8aa3b, v36, -v37
	v_rndne_f32_e32 v39, v37
	v_cmp_neq_f32_e64 s1, v30, v28
	v_cndmask_b32_e64 v27, 0, v27, s2
	v_cmp_ngt_f32_e64 s2, 0xc2ce8ed0, v36
	s_delay_alu instid0(VALU_DEP_4) | instskip(SKIP_1) | instid1(VALU_DEP_4)
	v_dual_fmac_f32 v38, 0x32a5705f, v36 :: v_dual_sub_f32 v37, v37, v39
	v_cvt_i32_f32_e32 v34, v39
	v_add_f32_e32 v27, v35, v27
	s_xor_b32 s1, s1, s4
	v_cmp_eq_f32_e64 s4, 1.0, v32
	v_add_f32_e32 v37, v37, v38
	s_delay_alu instid0(VALU_DEP_1) | instskip(SKIP_3) | instid1(VALU_DEP_2)
	v_exp_f32_e32 v37, v37
	s_waitcnt_depctr 0xfff
	v_ldexp_f32 v29, v37, v34
	v_mul_f32_e32 v34, 0.5, v30
	v_cndmask_b32_e64 v29, 0, v29, s2
	v_cmp_nlt_f32_e64 s2, 0x42b17218, v36
	s_delay_alu instid0(VALU_DEP_3) | instskip(NEXT) | instid1(VALU_DEP_2)
	v_trunc_f32_e32 v37, v34
	v_cndmask_b32_e64 v29, 0x7f800000, v29, s2
	v_cmp_eq_f32_e64 s2, v33, v30
	s_delay_alu instid0(VALU_DEP_3) | instskip(NEXT) | instid1(VALU_DEP_3)
	v_cmp_neq_f32_e64 s3, v37, v34
	v_fma_f32 v27, v29, v27, v29
	v_cmp_class_f32_e64 s5, v29, 0x204
	s_delay_alu instid0(VALU_DEP_3) | instskip(NEXT) | instid1(SALU_CYCLE_1)
	s_and_b32 s3, s2, s3
	v_cndmask_b32_e64 v33, 1.0, v31, s3
	v_cndmask_b32_e64 v35, 0, v31, s3
	s_delay_alu instid0(VALU_DEP_3)
	v_cndmask_b32_e64 v27, v27, v29, s5
	v_cmp_gt_f32_e64 s5, 0, v30
	v_cndmask_b32_e64 v29, v28, 0, s1
	v_cmp_eq_f32_e64 s1, 0, v31
	v_cmp_eq_f32_e64 s3, 0x7f800000, v28
	v_bfi_b32 v27, 0x7fffffff, v27, v33
	s_delay_alu instid0(VALU_DEP_4) | instskip(NEXT) | instid1(VALU_DEP_2)
	v_cndmask_b32_e64 v29, v29, v32, s4
	v_cndmask_b32_e64 v33, 0x7fc00000, v27, s2
	s_xor_b32 s2, s5, s1
	s_delay_alu instid0(SALU_CYCLE_1) | instskip(SKIP_1) | instid1(VALU_DEP_1)
	v_cndmask_b32_e64 v34, 0x7f800000, 0, s2
	v_cmp_gt_f32_e64 s2, 0, v31
	v_cndmask_b32_e64 v27, v27, v33, s2
	v_cmp_eq_f32_e64 s2, 0x7f800000, v32
	s_delay_alu instid0(VALU_DEP_4) | instskip(NEXT) | instid1(VALU_DEP_3)
	v_bfi_b32 v32, 0x7fffffff, v34, v35
	v_cndmask_b32_e64 v27, v27, v29, s3
	s_delay_alu instid0(VALU_DEP_3)
	s_or_b32 s1, s2, s1
	s_delay_alu instid0(VALU_DEP_1) | instid1(SALU_CYCLE_1)
	v_cndmask_b32_e64 v27, v27, v32, s1
	v_cmp_o_f32_e64 s1, v31, v30
	s_delay_alu instid0(VALU_DEP_1) | instskip(NEXT) | instid1(VALU_DEP_1)
	v_cndmask_b32_e64 v27, 0x7fc00000, v27, s1
	v_cvt_f16_f32_e32 v29, v27
	v_add_co_u32 v27, s1, v19, s26
	s_delay_alu instid0(VALU_DEP_1)
	v_add_co_ci_u32_e64 v28, s1, s27, v20, s1
	global_store_b16 v[27:28], v29, off
	s_or_b32 exec_lo, exec_lo, s6
	s_and_saveexec_b32 s5, s0
	s_cbranch_execz .LBB144_19
.LBB144_23:                             ;   in Loop: Header=BB144_9 Depth=1
	s_waitcnt vmcnt(0)
	v_cvt_f32_f16_e32 v26, v26
	v_cmp_eq_f16_e64 s1, 1.0, v25
	v_cvt_f32_f16_e32 v29, v25
	s_delay_alu instid0(VALU_DEP_3) | instskip(NEXT) | instid1(VALU_DEP_1)
	v_mul_f32_e32 v27, s33, v26
	v_cndmask_b32_e64 v28, v27, 1.0, s1
	s_delay_alu instid0(VALU_DEP_1) | instskip(NEXT) | instid1(VALU_DEP_1)
	v_cmp_eq_f32_e64 s0, 0, v28
	v_cndmask_b32_e64 v30, |v29|, 1.0, s0
	v_cndmask_b32_e64 v29, v29, 1.0, s0
	s_delay_alu instid0(VALU_DEP_2) | instskip(SKIP_1) | instid1(VALU_DEP_2)
	v_frexp_mant_f32_e32 v25, v30
	v_cmp_gt_f32_e64 s3, 1.0, v30
	v_cmp_gt_f32_e64 s2, 0x3f2aaaab, v25
	s_delay_alu instid0(VALU_DEP_1) | instskip(NEXT) | instid1(VALU_DEP_1)
	v_cndmask_b32_e64 v26, 1.0, 2.0, s2
	v_mul_f32_e32 v25, v25, v26
	s_delay_alu instid0(VALU_DEP_1) | instskip(NEXT) | instid1(VALU_DEP_1)
	v_add_f32_e32 v26, 1.0, v25
	v_rcp_f32_e32 v31, v26
	v_add_f32_e32 v34, -1.0, v26
	s_delay_alu instid0(VALU_DEP_1) | instskip(SKIP_2) | instid1(VALU_DEP_1)
	v_dual_add_f32 v32, -1.0, v25 :: v_dual_sub_f32 v25, v25, v34
	s_waitcnt_depctr 0xfff
	v_mul_f32_e32 v33, v32, v31
	v_mul_f32_e32 v35, v26, v33
	s_delay_alu instid0(VALU_DEP_1) | instskip(NEXT) | instid1(VALU_DEP_1)
	v_fma_f32 v26, v33, v26, -v35
	v_fmac_f32_e32 v26, v33, v25
	s_delay_alu instid0(VALU_DEP_1) | instskip(NEXT) | instid1(VALU_DEP_1)
	v_add_f32_e32 v25, v35, v26
	v_dual_sub_f32 v34, v32, v25 :: v_dual_sub_f32 v35, v25, v35
	s_delay_alu instid0(VALU_DEP_1) | instskip(NEXT) | instid1(VALU_DEP_2)
	v_sub_f32_e32 v26, v35, v26
	v_sub_f32_e32 v32, v32, v34
	s_delay_alu instid0(VALU_DEP_1) | instskip(NEXT) | instid1(VALU_DEP_1)
	v_sub_f32_e32 v25, v32, v25
	v_add_f32_e32 v25, v26, v25
	s_delay_alu instid0(VALU_DEP_1) | instskip(NEXT) | instid1(VALU_DEP_1)
	v_add_f32_e32 v25, v34, v25
	v_mul_f32_e32 v25, v31, v25
	s_delay_alu instid0(VALU_DEP_1) | instskip(NEXT) | instid1(VALU_DEP_1)
	v_add_f32_e32 v31, v33, v25
	v_sub_f32_e32 v26, v31, v33
	v_mul_f32_e32 v32, v31, v31
	s_delay_alu instid0(VALU_DEP_1) | instskip(NEXT) | instid1(VALU_DEP_3)
	v_fma_f32 v34, v31, v31, -v32
	v_sub_f32_e32 v33, v25, v26
	s_delay_alu instid0(VALU_DEP_1) | instskip(NEXT) | instid1(VALU_DEP_1)
	v_add_f32_e32 v25, v33, v33
	v_fmac_f32_e32 v34, v31, v25
	v_cvt_f64_f32_e32 v[25:26], v30
	s_delay_alu instid0(VALU_DEP_2) | instskip(NEXT) | instid1(VALU_DEP_1)
	v_add_f32_e32 v35, v32, v34
	v_fmaak_f32 v36, s13, v35, 0x3e91f4c4
	v_sub_f32_e32 v32, v35, v32
	v_mul_f32_e32 v39, v31, v35
	s_delay_alu instid0(VALU_DEP_3) | instskip(NEXT) | instid1(VALU_DEP_3)
	v_fmaak_f32 v36, v35, v36, 0x3ecccdef
	v_sub_f32_e32 v32, v34, v32
	s_delay_alu instid0(VALU_DEP_2) | instskip(NEXT) | instid1(VALU_DEP_1)
	v_mul_f32_e32 v37, v35, v36
	v_fma_f32 v34, v35, v36, -v37
	s_delay_alu instid0(VALU_DEP_1) | instskip(NEXT) | instid1(VALU_DEP_1)
	v_fmac_f32_e32 v34, v32, v36
	v_add_f32_e32 v36, v37, v34
	v_frexp_exp_i32_f64_e32 v25, v[25:26]
	s_delay_alu instid0(VALU_DEP_2) | instskip(NEXT) | instid1(VALU_DEP_1)
	v_dual_sub_f32 v37, v36, v37 :: v_dual_add_f32 v38, 0x3f2aaaaa, v36
	v_sub_f32_e32 v26, v34, v37
	s_delay_alu instid0(VALU_DEP_2) | instskip(SKIP_1) | instid1(VALU_DEP_1)
	v_add_f32_e32 v34, 0xbf2aaaaa, v38
	v_fma_f32 v37, v35, v31, -v39
	v_dual_sub_f32 v34, v36, v34 :: v_dual_fmac_f32 v37, v35, v33
	v_ldexp_f32 v33, v33, 1
	s_delay_alu instid0(VALU_DEP_2) | instskip(NEXT) | instid1(VALU_DEP_1)
	v_dual_fmac_f32 v37, v32, v31 :: v_dual_add_f32 v26, 0x31739010, v26
	v_add_f32_e32 v26, v26, v34
	s_delay_alu instid0(VALU_DEP_2) | instskip(NEXT) | instid1(VALU_DEP_2)
	v_add_f32_e32 v34, v39, v37
	v_add_f32_e32 v32, v38, v26
	s_delay_alu instid0(VALU_DEP_1) | instskip(SKIP_1) | instid1(VALU_DEP_2)
	v_sub_f32_e32 v35, v38, v32
	v_subrev_co_ci_u32_e64 v25, s2, 0, v25, s2
	v_add_f32_e32 v26, v26, v35
	s_delay_alu instid0(VALU_DEP_2) | instskip(SKIP_1) | instid1(VALU_DEP_1)
	v_cvt_f32_i32_e32 v25, v25
	v_sub_f32_e32 v38, v34, v39
	v_dual_sub_f32 v37, v37, v38 :: v_dual_mul_f32 v36, v34, v32
	s_delay_alu instid0(VALU_DEP_1) | instskip(NEXT) | instid1(VALU_DEP_1)
	v_fma_f32 v35, v34, v32, -v36
	v_fmac_f32_e32 v35, v34, v26
	v_ldexp_f32 v26, v31, 1
	s_delay_alu instid0(VALU_DEP_2) | instskip(NEXT) | instid1(VALU_DEP_1)
	v_fmac_f32_e32 v35, v37, v32
	v_add_f32_e32 v31, v36, v35
	s_delay_alu instid0(VALU_DEP_1) | instskip(SKIP_2) | instid1(VALU_DEP_3)
	v_sub_f32_e32 v34, v31, v36
	v_mul_f32_e32 v36, 0x3f317218, v25
	v_add_f32_e32 v32, v26, v31
	v_sub_f32_e32 v34, v35, v34
	s_delay_alu instid0(VALU_DEP_3) | instskip(NEXT) | instid1(VALU_DEP_1)
	v_fma_f32 v35, 0x3f317218, v25, -v36
	v_dual_fmac_f32 v35, 0xb102e308, v25 :: v_dual_sub_f32 v26, v32, v26
	s_delay_alu instid0(VALU_DEP_1) | instskip(NEXT) | instid1(VALU_DEP_4)
	v_sub_f32_e32 v26, v31, v26
	v_add_f32_e32 v31, v33, v34
	s_delay_alu instid0(VALU_DEP_1) | instskip(NEXT) | instid1(VALU_DEP_1)
	v_dual_add_f32 v25, v31, v26 :: v_dual_add_f32 v26, v36, v35
	v_add_f32_e32 v31, v32, v25
	s_delay_alu instid0(VALU_DEP_1) | instskip(NEXT) | instid1(VALU_DEP_1)
	v_dual_add_f32 v33, v26, v31 :: v_dual_sub_f32 v32, v31, v32
	v_sub_f32_e32 v34, v33, v26
	s_delay_alu instid0(VALU_DEP_2) | instskip(NEXT) | instid1(VALU_DEP_2)
	v_sub_f32_e32 v25, v25, v32
	v_dual_sub_f32 v37, v33, v34 :: v_dual_sub_f32 v36, v26, v36
	s_delay_alu instid0(VALU_DEP_1) | instskip(NEXT) | instid1(VALU_DEP_2)
	v_dual_sub_f32 v31, v31, v34 :: v_dual_sub_f32 v26, v26, v37
	v_sub_f32_e32 v35, v35, v36
	s_delay_alu instid0(VALU_DEP_2) | instskip(NEXT) | instid1(VALU_DEP_2)
	v_add_f32_e32 v26, v31, v26
	v_add_f32_e32 v32, v35, v25
	s_delay_alu instid0(VALU_DEP_1) | instskip(NEXT) | instid1(VALU_DEP_1)
	v_sub_f32_e32 v31, v32, v35
	v_dual_add_f32 v26, v32, v26 :: v_dual_sub_f32 v25, v25, v31
	s_delay_alu instid0(VALU_DEP_1) | instskip(SKIP_1) | instid1(VALU_DEP_1)
	v_add_f32_e32 v34, v33, v26
	v_sub_f32_e32 v32, v32, v31
	v_dual_sub_f32 v31, v35, v32 :: v_dual_sub_f32 v32, v34, v33
	s_delay_alu instid0(VALU_DEP_1) | instskip(NEXT) | instid1(VALU_DEP_1)
	v_dual_add_f32 v25, v25, v31 :: v_dual_sub_f32 v26, v26, v32
	v_add_f32_e32 v25, v25, v26
	s_delay_alu instid0(VALU_DEP_1) | instskip(NEXT) | instid1(VALU_DEP_1)
	v_add_f32_e32 v26, v34, v25
	v_sub_f32_e32 v31, v26, v34
	s_delay_alu instid0(VALU_DEP_1) | instskip(NEXT) | instid1(VALU_DEP_1)
	v_dual_mul_f32 v32, v28, v26 :: v_dual_sub_f32 v25, v25, v31
	v_fma_f32 v26, v28, v26, -v32
	v_cmp_class_f32_e64 s2, v32, 0x204
	s_delay_alu instid0(VALU_DEP_2) | instskip(NEXT) | instid1(VALU_DEP_1)
	v_fmac_f32_e32 v26, v28, v25
	v_add_f32_e32 v25, v32, v26
	s_delay_alu instid0(VALU_DEP_1) | instskip(NEXT) | instid1(VALU_DEP_1)
	v_cndmask_b32_e64 v31, v25, v32, s2
	v_cmp_eq_f32_e64 s2, 0x42b17218, v31
	s_delay_alu instid0(VALU_DEP_1) | instskip(NEXT) | instid1(VALU_DEP_1)
	v_cndmask_b32_e64 v33, 0, 0x37000000, s2
	v_dual_sub_f32 v34, v31, v33 :: v_dual_sub_f32 v25, v25, v32
	s_delay_alu instid0(VALU_DEP_1) | instskip(NEXT) | instid1(VALU_DEP_2)
	v_mul_f32_e32 v35, 0x3fb8aa3b, v34
	v_sub_f32_e32 v25, v26, v25
	v_cndmask_b32_e64 v26, |v27|, 1.0, s1
	v_cmp_neq_f32_e64 s1, 0x7f800000, |v31|
	v_trunc_f32_e32 v31, v28
	v_fma_f32 v36, 0x3fb8aa3b, v34, -v35
	v_rndne_f32_e32 v37, v35
	v_cmp_neq_f32_e64 s0, v28, v26
	v_cndmask_b32_e64 v25, 0, v25, s1
	v_cmp_ngt_f32_e64 s1, 0xc2ce8ed0, v34
	s_delay_alu instid0(VALU_DEP_4) | instskip(SKIP_1) | instid1(VALU_DEP_4)
	v_dual_fmac_f32 v36, 0x32a5705f, v34 :: v_dual_sub_f32 v35, v35, v37
	v_cvt_i32_f32_e32 v32, v37
	v_add_f32_e32 v25, v33, v25
	s_xor_b32 s0, s0, s3
	v_cmp_eq_f32_e64 s3, 1.0, v30
	v_add_f32_e32 v35, v35, v36
	s_delay_alu instid0(VALU_DEP_1) | instskip(SKIP_3) | instid1(VALU_DEP_2)
	v_exp_f32_e32 v35, v35
	s_waitcnt_depctr 0xfff
	v_ldexp_f32 v27, v35, v32
	v_mul_f32_e32 v32, 0.5, v28
	v_cndmask_b32_e64 v27, 0, v27, s1
	v_cmp_nlt_f32_e64 s1, 0x42b17218, v34
	s_delay_alu instid0(VALU_DEP_3) | instskip(NEXT) | instid1(VALU_DEP_2)
	v_trunc_f32_e32 v35, v32
	v_cndmask_b32_e64 v27, 0x7f800000, v27, s1
	v_cmp_eq_f32_e64 s1, v31, v28
	s_delay_alu instid0(VALU_DEP_3) | instskip(NEXT) | instid1(VALU_DEP_3)
	v_cmp_neq_f32_e64 s2, v35, v32
	v_fma_f32 v25, v27, v25, v27
	v_cmp_class_f32_e64 s4, v27, 0x204
	s_delay_alu instid0(VALU_DEP_3) | instskip(NEXT) | instid1(SALU_CYCLE_1)
	s_and_b32 s2, s1, s2
	v_cndmask_b32_e64 v31, 1.0, v29, s2
	v_cndmask_b32_e64 v33, 0, v29, s2
	s_delay_alu instid0(VALU_DEP_3)
	v_cndmask_b32_e64 v25, v25, v27, s4
	v_cmp_gt_f32_e64 s4, 0, v28
	v_cndmask_b32_e64 v27, v26, 0, s0
	v_cmp_eq_f32_e64 s0, 0, v29
	v_cmp_eq_f32_e64 s2, 0x7f800000, v26
	v_bfi_b32 v25, 0x7fffffff, v25, v31
	s_delay_alu instid0(VALU_DEP_4) | instskip(NEXT) | instid1(VALU_DEP_2)
	v_cndmask_b32_e64 v27, v27, v30, s3
	v_cndmask_b32_e64 v31, 0x7fc00000, v25, s1
	s_xor_b32 s1, s4, s0
	s_delay_alu instid0(SALU_CYCLE_1) | instskip(SKIP_1) | instid1(VALU_DEP_1)
	v_cndmask_b32_e64 v32, 0x7f800000, 0, s1
	v_cmp_gt_f32_e64 s1, 0, v29
	v_cndmask_b32_e64 v25, v25, v31, s1
	v_cmp_eq_f32_e64 s1, 0x7f800000, v30
	s_delay_alu instid0(VALU_DEP_4) | instskip(NEXT) | instid1(VALU_DEP_3)
	v_bfi_b32 v30, 0x7fffffff, v32, v33
	v_cndmask_b32_e64 v25, v25, v27, s2
	s_delay_alu instid0(VALU_DEP_3)
	s_or_b32 s0, s1, s0
	s_delay_alu instid0(VALU_DEP_1) | instid1(SALU_CYCLE_1)
	v_cndmask_b32_e64 v25, v25, v30, s0
	v_cmp_o_f32_e64 s0, v29, v28
	s_delay_alu instid0(VALU_DEP_1) | instskip(NEXT) | instid1(VALU_DEP_1)
	v_cndmask_b32_e64 v25, 0x7fc00000, v25, s0
	v_cvt_f16_f32_e32 v27, v25
	v_add_co_u32 v25, s0, v11, s26
	s_delay_alu instid0(VALU_DEP_1)
	v_add_co_ci_u32_e64 v26, s0, s27, v12, s0
	global_store_b16 v[25:26], v27, off
	s_or_b32 exec_lo, exec_lo, s5
	s_and_saveexec_b32 s4, vcc_lo
	s_cbranch_execz .LBB144_8
.LBB144_24:                             ;   in Loop: Header=BB144_9 Depth=1
	s_waitcnt vmcnt(0)
	v_cvt_f32_f16_e32 v24, v24
	v_cmp_eq_f16_e64 s0, 1.0, v23
	v_cvt_f32_f16_e32 v27, v23
	s_delay_alu instid0(VALU_DEP_3) | instskip(NEXT) | instid1(VALU_DEP_1)
	v_mul_f32_e32 v25, s33, v24
	v_cndmask_b32_e64 v26, v25, 1.0, s0
	s_delay_alu instid0(VALU_DEP_1) | instskip(NEXT) | instid1(VALU_DEP_4)
	v_cmp_eq_f32_e32 vcc_lo, 0, v26
	v_cndmask_b32_e64 v28, |v27|, 1.0, vcc_lo
	v_cndmask_b32_e64 v27, v27, 1.0, vcc_lo
	s_delay_alu instid0(VALU_DEP_2) | instskip(SKIP_1) | instid1(VALU_DEP_2)
	v_frexp_mant_f32_e32 v23, v28
	v_cmp_gt_f32_e64 s2, 1.0, v28
	v_cmp_gt_f32_e64 s1, 0x3f2aaaab, v23
	s_delay_alu instid0(VALU_DEP_1) | instskip(NEXT) | instid1(VALU_DEP_1)
	v_cndmask_b32_e64 v24, 1.0, 2.0, s1
	v_mul_f32_e32 v23, v23, v24
	s_delay_alu instid0(VALU_DEP_1) | instskip(NEXT) | instid1(VALU_DEP_1)
	v_add_f32_e32 v24, 1.0, v23
	v_rcp_f32_e32 v29, v24
	v_add_f32_e32 v32, -1.0, v24
	s_delay_alu instid0(VALU_DEP_1) | instskip(SKIP_2) | instid1(VALU_DEP_1)
	v_dual_add_f32 v30, -1.0, v23 :: v_dual_sub_f32 v23, v23, v32
	s_waitcnt_depctr 0xfff
	v_mul_f32_e32 v31, v30, v29
	v_mul_f32_e32 v33, v24, v31
	s_delay_alu instid0(VALU_DEP_1) | instskip(NEXT) | instid1(VALU_DEP_1)
	v_fma_f32 v24, v31, v24, -v33
	v_fmac_f32_e32 v24, v31, v23
	s_delay_alu instid0(VALU_DEP_1) | instskip(NEXT) | instid1(VALU_DEP_1)
	v_add_f32_e32 v23, v33, v24
	v_dual_sub_f32 v32, v30, v23 :: v_dual_sub_f32 v33, v23, v33
	s_delay_alu instid0(VALU_DEP_1) | instskip(NEXT) | instid1(VALU_DEP_2)
	v_sub_f32_e32 v24, v33, v24
	v_sub_f32_e32 v30, v30, v32
	s_delay_alu instid0(VALU_DEP_1) | instskip(NEXT) | instid1(VALU_DEP_1)
	v_sub_f32_e32 v23, v30, v23
	v_add_f32_e32 v23, v24, v23
	s_delay_alu instid0(VALU_DEP_1) | instskip(NEXT) | instid1(VALU_DEP_1)
	v_add_f32_e32 v23, v32, v23
	v_mul_f32_e32 v23, v29, v23
	s_delay_alu instid0(VALU_DEP_1) | instskip(NEXT) | instid1(VALU_DEP_1)
	v_add_f32_e32 v29, v31, v23
	v_sub_f32_e32 v24, v29, v31
	v_mul_f32_e32 v30, v29, v29
	s_delay_alu instid0(VALU_DEP_1) | instskip(NEXT) | instid1(VALU_DEP_3)
	v_fma_f32 v32, v29, v29, -v30
	v_sub_f32_e32 v31, v23, v24
	s_delay_alu instid0(VALU_DEP_1) | instskip(NEXT) | instid1(VALU_DEP_1)
	v_add_f32_e32 v23, v31, v31
	v_fmac_f32_e32 v32, v29, v23
	v_cvt_f64_f32_e32 v[23:24], v28
	s_delay_alu instid0(VALU_DEP_2) | instskip(NEXT) | instid1(VALU_DEP_1)
	v_add_f32_e32 v33, v30, v32
	v_fmaak_f32 v34, s13, v33, 0x3e91f4c4
	v_sub_f32_e32 v30, v33, v30
	v_mul_f32_e32 v37, v29, v33
	s_delay_alu instid0(VALU_DEP_3) | instskip(NEXT) | instid1(VALU_DEP_3)
	v_fmaak_f32 v34, v33, v34, 0x3ecccdef
	v_sub_f32_e32 v30, v32, v30
	s_delay_alu instid0(VALU_DEP_2) | instskip(NEXT) | instid1(VALU_DEP_1)
	v_mul_f32_e32 v35, v33, v34
	v_fma_f32 v32, v33, v34, -v35
	s_delay_alu instid0(VALU_DEP_1) | instskip(NEXT) | instid1(VALU_DEP_1)
	v_fmac_f32_e32 v32, v30, v34
	v_add_f32_e32 v34, v35, v32
	v_frexp_exp_i32_f64_e32 v23, v[23:24]
	s_delay_alu instid0(VALU_DEP_2) | instskip(NEXT) | instid1(VALU_DEP_1)
	v_dual_sub_f32 v35, v34, v35 :: v_dual_add_f32 v36, 0x3f2aaaaa, v34
	v_sub_f32_e32 v24, v32, v35
	s_delay_alu instid0(VALU_DEP_2) | instskip(SKIP_1) | instid1(VALU_DEP_1)
	v_add_f32_e32 v32, 0xbf2aaaaa, v36
	v_fma_f32 v35, v33, v29, -v37
	v_dual_sub_f32 v32, v34, v32 :: v_dual_fmac_f32 v35, v33, v31
	v_ldexp_f32 v31, v31, 1
	s_delay_alu instid0(VALU_DEP_2) | instskip(NEXT) | instid1(VALU_DEP_1)
	v_dual_fmac_f32 v35, v30, v29 :: v_dual_add_f32 v24, 0x31739010, v24
	v_add_f32_e32 v24, v24, v32
	s_delay_alu instid0(VALU_DEP_2) | instskip(NEXT) | instid1(VALU_DEP_2)
	v_add_f32_e32 v32, v37, v35
	v_add_f32_e32 v30, v36, v24
	s_delay_alu instid0(VALU_DEP_1) | instskip(SKIP_1) | instid1(VALU_DEP_2)
	v_sub_f32_e32 v33, v36, v30
	v_subrev_co_ci_u32_e64 v23, s1, 0, v23, s1
	v_add_f32_e32 v24, v24, v33
	s_delay_alu instid0(VALU_DEP_2) | instskip(SKIP_1) | instid1(VALU_DEP_1)
	v_cvt_f32_i32_e32 v23, v23
	v_sub_f32_e32 v36, v32, v37
	v_dual_sub_f32 v35, v35, v36 :: v_dual_mul_f32 v34, v32, v30
	s_delay_alu instid0(VALU_DEP_1) | instskip(NEXT) | instid1(VALU_DEP_1)
	v_fma_f32 v33, v32, v30, -v34
	v_fmac_f32_e32 v33, v32, v24
	v_ldexp_f32 v24, v29, 1
	s_delay_alu instid0(VALU_DEP_2) | instskip(NEXT) | instid1(VALU_DEP_1)
	v_fmac_f32_e32 v33, v35, v30
	v_add_f32_e32 v29, v34, v33
	s_delay_alu instid0(VALU_DEP_1) | instskip(SKIP_2) | instid1(VALU_DEP_3)
	v_sub_f32_e32 v32, v29, v34
	v_mul_f32_e32 v34, 0x3f317218, v23
	v_add_f32_e32 v30, v24, v29
	v_sub_f32_e32 v32, v33, v32
	s_delay_alu instid0(VALU_DEP_3) | instskip(NEXT) | instid1(VALU_DEP_1)
	v_fma_f32 v33, 0x3f317218, v23, -v34
	v_dual_fmac_f32 v33, 0xb102e308, v23 :: v_dual_sub_f32 v24, v30, v24
	s_delay_alu instid0(VALU_DEP_1) | instskip(NEXT) | instid1(VALU_DEP_4)
	v_sub_f32_e32 v24, v29, v24
	v_add_f32_e32 v29, v31, v32
	s_delay_alu instid0(VALU_DEP_1) | instskip(NEXT) | instid1(VALU_DEP_1)
	v_dual_add_f32 v23, v29, v24 :: v_dual_add_f32 v24, v34, v33
	v_add_f32_e32 v29, v30, v23
	s_delay_alu instid0(VALU_DEP_1) | instskip(NEXT) | instid1(VALU_DEP_1)
	v_dual_add_f32 v31, v24, v29 :: v_dual_sub_f32 v30, v29, v30
	v_sub_f32_e32 v32, v31, v24
	s_delay_alu instid0(VALU_DEP_2) | instskip(NEXT) | instid1(VALU_DEP_2)
	v_sub_f32_e32 v23, v23, v30
	v_dual_sub_f32 v35, v31, v32 :: v_dual_sub_f32 v34, v24, v34
	s_delay_alu instid0(VALU_DEP_1) | instskip(NEXT) | instid1(VALU_DEP_2)
	v_dual_sub_f32 v29, v29, v32 :: v_dual_sub_f32 v24, v24, v35
	v_sub_f32_e32 v33, v33, v34
	s_delay_alu instid0(VALU_DEP_2) | instskip(NEXT) | instid1(VALU_DEP_2)
	v_add_f32_e32 v24, v29, v24
	v_add_f32_e32 v30, v33, v23
	s_delay_alu instid0(VALU_DEP_1) | instskip(NEXT) | instid1(VALU_DEP_1)
	v_sub_f32_e32 v29, v30, v33
	v_dual_add_f32 v24, v30, v24 :: v_dual_sub_f32 v23, v23, v29
	s_delay_alu instid0(VALU_DEP_1) | instskip(SKIP_1) | instid1(VALU_DEP_1)
	v_add_f32_e32 v32, v31, v24
	v_sub_f32_e32 v30, v30, v29
	v_dual_sub_f32 v29, v33, v30 :: v_dual_sub_f32 v30, v32, v31
	s_delay_alu instid0(VALU_DEP_1) | instskip(NEXT) | instid1(VALU_DEP_1)
	v_dual_add_f32 v23, v23, v29 :: v_dual_sub_f32 v24, v24, v30
	v_add_f32_e32 v23, v23, v24
	s_delay_alu instid0(VALU_DEP_1) | instskip(NEXT) | instid1(VALU_DEP_1)
	v_add_f32_e32 v24, v32, v23
	v_sub_f32_e32 v29, v24, v32
	s_delay_alu instid0(VALU_DEP_1) | instskip(NEXT) | instid1(VALU_DEP_1)
	v_dual_mul_f32 v30, v26, v24 :: v_dual_sub_f32 v23, v23, v29
	v_fma_f32 v24, v26, v24, -v30
	v_cmp_class_f32_e64 s1, v30, 0x204
	s_delay_alu instid0(VALU_DEP_2) | instskip(NEXT) | instid1(VALU_DEP_1)
	v_fmac_f32_e32 v24, v26, v23
	v_add_f32_e32 v23, v30, v24
	s_delay_alu instid0(VALU_DEP_1) | instskip(NEXT) | instid1(VALU_DEP_1)
	v_cndmask_b32_e64 v29, v23, v30, s1
	v_cmp_eq_f32_e64 s1, 0x42b17218, v29
	s_delay_alu instid0(VALU_DEP_1) | instskip(NEXT) | instid1(VALU_DEP_1)
	v_cndmask_b32_e64 v31, 0, 0x37000000, s1
	v_dual_sub_f32 v32, v29, v31 :: v_dual_sub_f32 v23, v23, v30
	s_delay_alu instid0(VALU_DEP_1) | instskip(NEXT) | instid1(VALU_DEP_2)
	v_mul_f32_e32 v33, 0x3fb8aa3b, v32
	v_sub_f32_e32 v23, v24, v23
	v_cndmask_b32_e64 v24, |v25|, 1.0, s0
	v_cmp_neq_f32_e64 s0, 0x7f800000, |v29|
	v_trunc_f32_e32 v29, v26
	v_fma_f32 v34, 0x3fb8aa3b, v32, -v33
	v_rndne_f32_e32 v35, v33
	v_cmp_neq_f32_e32 vcc_lo, v26, v24
	v_cndmask_b32_e64 v23, 0, v23, s0
	v_cmp_ngt_f32_e64 s0, 0xc2ce8ed0, v32
	s_delay_alu instid0(VALU_DEP_4) | instskip(SKIP_1) | instid1(VALU_DEP_4)
	v_dual_fmac_f32 v34, 0x32a5705f, v32 :: v_dual_sub_f32 v33, v33, v35
	v_cvt_i32_f32_e32 v30, v35
	v_add_f32_e32 v23, v31, v23
	s_xor_b32 s2, vcc_lo, s2
	v_cmp_eq_f32_e32 vcc_lo, 0, v27
	v_add_f32_e32 v33, v33, v34
	s_delay_alu instid0(VALU_DEP_1) | instskip(SKIP_3) | instid1(VALU_DEP_2)
	v_exp_f32_e32 v33, v33
	s_waitcnt_depctr 0xfff
	v_ldexp_f32 v25, v33, v30
	v_mul_f32_e32 v30, 0.5, v26
	v_cndmask_b32_e64 v25, 0, v25, s0
	v_cmp_nlt_f32_e64 s0, 0x42b17218, v32
	s_delay_alu instid0(VALU_DEP_3) | instskip(NEXT) | instid1(VALU_DEP_2)
	v_trunc_f32_e32 v33, v30
	v_cndmask_b32_e64 v25, 0x7f800000, v25, s0
	v_cmp_eq_f32_e64 s0, v29, v26
	s_delay_alu instid0(VALU_DEP_3) | instskip(NEXT) | instid1(VALU_DEP_3)
	v_cmp_neq_f32_e64 s1, v33, v30
	v_fma_f32 v23, v25, v23, v25
	v_cmp_class_f32_e64 s3, v25, 0x204
	s_delay_alu instid0(VALU_DEP_3) | instskip(NEXT) | instid1(SALU_CYCLE_1)
	s_and_b32 s1, s0, s1
	v_cndmask_b32_e64 v29, 1.0, v27, s1
	v_cndmask_b32_e64 v31, 0, v27, s1
	s_delay_alu instid0(VALU_DEP_3)
	v_cndmask_b32_e64 v23, v23, v25, s3
	v_cmp_gt_f32_e64 s3, 0, v26
	v_cndmask_b32_e64 v25, v24, 0, s2
	v_cmp_eq_f32_e64 s2, 1.0, v28
	v_cmp_eq_f32_e64 s1, 0x7f800000, v24
	v_bfi_b32 v23, 0x7fffffff, v23, v29
	s_delay_alu instid0(VALU_DEP_3) | instskip(NEXT) | instid1(VALU_DEP_2)
	v_cndmask_b32_e64 v25, v25, v28, s2
	v_cndmask_b32_e64 v29, 0x7fc00000, v23, s0
	s_xor_b32 s0, s3, vcc_lo
	s_delay_alu instid0(SALU_CYCLE_1) | instskip(SKIP_1) | instid1(VALU_DEP_1)
	v_cndmask_b32_e64 v30, 0x7f800000, 0, s0
	v_cmp_gt_f32_e64 s0, 0, v27
	v_cndmask_b32_e64 v23, v23, v29, s0
	v_cmp_eq_f32_e64 s0, 0x7f800000, v28
	s_delay_alu instid0(VALU_DEP_4) | instskip(NEXT) | instid1(VALU_DEP_3)
	v_bfi_b32 v28, 0x7fffffff, v30, v31
	v_cndmask_b32_e64 v23, v23, v25, s1
	s_delay_alu instid0(VALU_DEP_3) | instskip(NEXT) | instid1(VALU_DEP_1)
	s_or_b32 vcc_lo, s0, vcc_lo
	v_cndmask_b32_e32 v23, v23, v28, vcc_lo
	v_cmp_o_f32_e32 vcc_lo, v27, v26
	s_delay_alu instid0(VALU_DEP_2) | instskip(NEXT) | instid1(VALU_DEP_1)
	v_cndmask_b32_e32 v23, 0x7fc00000, v23, vcc_lo
	v_cvt_f16_f32_e32 v25, v23
	v_add_co_u32 v23, vcc_lo, v5, s26
	v_add_co_ci_u32_e32 v24, vcc_lo, s27, v6, vcc_lo
	global_store_b16 v[23:24], v25, off
	s_branch .LBB144_8
.LBB144_25:
	s_nop 0
	s_sendmsg sendmsg(MSG_DEALLOC_VGPRS)
	s_endpgm
	.section	.rodata,"a",@progbits
	.p2align	6, 0x0
	.amdhsa_kernel _ZN2at6native12_GLOBAL__N_125multi_tensor_apply_kernelINS1_18TensorListMetadataILi2EEENS1_24BinaryOpListAlphaFunctorIN3c104HalfELi2ELi2ELi0EEEJNS1_13power_functorIfEEfEEEvT_T0_DpT1_
		.amdhsa_group_segment_fixed_size 0
		.amdhsa_private_segment_fixed_size 0
		.amdhsa_kernarg_size 3408
		.amdhsa_user_sgpr_count 15
		.amdhsa_user_sgpr_dispatch_ptr 0
		.amdhsa_user_sgpr_queue_ptr 0
		.amdhsa_user_sgpr_kernarg_segment_ptr 1
		.amdhsa_user_sgpr_dispatch_id 0
		.amdhsa_user_sgpr_private_segment_size 0
		.amdhsa_wavefront_size32 1
		.amdhsa_uses_dynamic_stack 0
		.amdhsa_enable_private_segment 0
		.amdhsa_system_sgpr_workgroup_id_x 1
		.amdhsa_system_sgpr_workgroup_id_y 0
		.amdhsa_system_sgpr_workgroup_id_z 0
		.amdhsa_system_sgpr_workgroup_info 0
		.amdhsa_system_vgpr_workitem_id 0
		.amdhsa_next_free_vgpr 74
		.amdhsa_next_free_sgpr 46
		.amdhsa_reserve_vcc 1
		.amdhsa_float_round_mode_32 0
		.amdhsa_float_round_mode_16_64 0
		.amdhsa_float_denorm_mode_32 3
		.amdhsa_float_denorm_mode_16_64 3
		.amdhsa_dx10_clamp 1
		.amdhsa_ieee_mode 1
		.amdhsa_fp16_overflow 0
		.amdhsa_workgroup_processor_mode 1
		.amdhsa_memory_ordered 1
		.amdhsa_forward_progress 0
		.amdhsa_shared_vgpr_count 0
		.amdhsa_exception_fp_ieee_invalid_op 0
		.amdhsa_exception_fp_denorm_src 0
		.amdhsa_exception_fp_ieee_div_zero 0
		.amdhsa_exception_fp_ieee_overflow 0
		.amdhsa_exception_fp_ieee_underflow 0
		.amdhsa_exception_fp_ieee_inexact 0
		.amdhsa_exception_int_div_zero 0
	.end_amdhsa_kernel
	.section	.text._ZN2at6native12_GLOBAL__N_125multi_tensor_apply_kernelINS1_18TensorListMetadataILi2EEENS1_24BinaryOpListAlphaFunctorIN3c104HalfELi2ELi2ELi0EEEJNS1_13power_functorIfEEfEEEvT_T0_DpT1_,"axG",@progbits,_ZN2at6native12_GLOBAL__N_125multi_tensor_apply_kernelINS1_18TensorListMetadataILi2EEENS1_24BinaryOpListAlphaFunctorIN3c104HalfELi2ELi2ELi0EEEJNS1_13power_functorIfEEfEEEvT_T0_DpT1_,comdat
.Lfunc_end144:
	.size	_ZN2at6native12_GLOBAL__N_125multi_tensor_apply_kernelINS1_18TensorListMetadataILi2EEENS1_24BinaryOpListAlphaFunctorIN3c104HalfELi2ELi2ELi0EEEJNS1_13power_functorIfEEfEEEvT_T0_DpT1_, .Lfunc_end144-_ZN2at6native12_GLOBAL__N_125multi_tensor_apply_kernelINS1_18TensorListMetadataILi2EEENS1_24BinaryOpListAlphaFunctorIN3c104HalfELi2ELi2ELi0EEEJNS1_13power_functorIfEEfEEEvT_T0_DpT1_
                                        ; -- End function
	.section	.AMDGPU.csdata,"",@progbits
; Kernel info:
; codeLenInByte = 10876
; NumSgprs: 48
; NumVgprs: 74
; ScratchSize: 0
; MemoryBound: 0
; FloatMode: 240
; IeeeMode: 1
; LDSByteSize: 0 bytes/workgroup (compile time only)
; SGPRBlocks: 5
; VGPRBlocks: 9
; NumSGPRsForWavesPerEU: 48
; NumVGPRsForWavesPerEU: 74
; Occupancy: 16
; WaveLimiterHint : 0
; COMPUTE_PGM_RSRC2:SCRATCH_EN: 0
; COMPUTE_PGM_RSRC2:USER_SGPR: 15
; COMPUTE_PGM_RSRC2:TRAP_HANDLER: 0
; COMPUTE_PGM_RSRC2:TGID_X_EN: 1
; COMPUTE_PGM_RSRC2:TGID_Y_EN: 0
; COMPUTE_PGM_RSRC2:TGID_Z_EN: 0
; COMPUTE_PGM_RSRC2:TIDIG_COMP_CNT: 0
	.section	.text._ZN2at6native12_GLOBAL__N_125multi_tensor_apply_kernelINS1_18TensorListMetadataILi3EEENS1_24BinaryOpListAlphaFunctorIhLi3ELi2ELi2EEEJNS1_13power_functorIhEEhEEEvT_T0_DpT1_,"axG",@progbits,_ZN2at6native12_GLOBAL__N_125multi_tensor_apply_kernelINS1_18TensorListMetadataILi3EEENS1_24BinaryOpListAlphaFunctorIhLi3ELi2ELi2EEEJNS1_13power_functorIhEEhEEEvT_T0_DpT1_,comdat
	.globl	_ZN2at6native12_GLOBAL__N_125multi_tensor_apply_kernelINS1_18TensorListMetadataILi3EEENS1_24BinaryOpListAlphaFunctorIhLi3ELi2ELi2EEEJNS1_13power_functorIhEEhEEEvT_T0_DpT1_ ; -- Begin function _ZN2at6native12_GLOBAL__N_125multi_tensor_apply_kernelINS1_18TensorListMetadataILi3EEENS1_24BinaryOpListAlphaFunctorIhLi3ELi2ELi2EEEJNS1_13power_functorIhEEhEEEvT_T0_DpT1_
	.p2align	8
	.type	_ZN2at6native12_GLOBAL__N_125multi_tensor_apply_kernelINS1_18TensorListMetadataILi3EEENS1_24BinaryOpListAlphaFunctorIhLi3ELi2ELi2EEEJNS1_13power_functorIhEEhEEEvT_T0_DpT1_,@function
_ZN2at6native12_GLOBAL__N_125multi_tensor_apply_kernelINS1_18TensorListMetadataILi3EEENS1_24BinaryOpListAlphaFunctorIhLi3ELi2ELi2EEEJNS1_13power_functorIhEEhEEEvT_T0_DpT1_: ; @_ZN2at6native12_GLOBAL__N_125multi_tensor_apply_kernelINS1_18TensorListMetadataILi3EEENS1_24BinaryOpListAlphaFunctorIhLi3ELi2ELi2EEEJNS1_13power_functorIhEEhEEEvT_T0_DpT1_
; %bb.0:
	v_mov_b32_e32 v1, s15
	s_add_u32 s2, s0, s15
	s_mul_hi_u32 s3, s15, 3
	s_mul_i32 s15, s15, 3
	s_addc_u32 s4, s1, 0
	global_load_u8 v1, v1, s[0:1] offset:1536
	s_add_u32 s2, s2, s15
	s_addc_u32 s3, s4, s3
	s_load_b32 s2, s[2:3], 0x740
	s_waitcnt vmcnt(0)
	v_readfirstlane_b32 s3, v1
	s_delay_alu instid0(VALU_DEP_1)
	s_lshl_b32 s3, s3, 3
	s_clause 0x3
	s_load_b64 s[4:5], s[0:1], s3 offset:0x0
	s_load_b64 s[6:7], s[0:1], s3 offset:0x180
	;; [unrolled: 1-line block ×4, first 2 shown]
	s_waitcnt lgkmcnt(0)
	s_ashr_i32 s3, s2, 31
	s_delay_alu instid0(SALU_CYCLE_1)
	s_lshl_b64 s[16:17], s[2:3], 16
	s_load_b32 s3, s[0:1], 0xc48
	s_add_u32 s4, s4, s16
	s_addc_u32 s5, s5, s17
	s_add_u32 s12, s6, s16
	s_addc_u32 s13, s7, s17
	;; [unrolled: 2-line block ×3, first 2 shown]
	s_or_b32 s2, s14, s12
	s_delay_alu instid0(SALU_CYCLE_1) | instskip(NEXT) | instid1(SALU_CYCLE_1)
	s_and_b32 s2, s2, 3
	s_cmp_lg_u32 s2, 0
	s_cselect_b32 s2, -1, 0
	s_sub_u32 s6, s10, s16
	s_subb_u32 s7, s11, s17
	s_or_b64 s[8:9], s[10:11], s[4:5]
	s_mov_b32 s9, 0
	s_and_b32 s8, s8, 3
	s_delay_alu instid0(SALU_CYCLE_1) | instskip(SKIP_1) | instid1(SALU_CYCLE_1)
	s_cmp_lg_u64 s[8:9], 0
	s_cselect_b32 s8, -1, 0
	s_or_b32 s2, s2, s8
	s_delay_alu instid0(SALU_CYCLE_1)
	s_and_not1_b32 vcc_lo, exec_lo, s2
	s_mov_b32 s2, -1
	s_cbranch_vccz .LBB145_21
; %bb.1:
	v_dual_mov_b32 v2, 0 :: v_dual_lshlrev_b32 v1, 2, v0
	s_mov_b32 s8, exec_lo
	s_delay_alu instid0(VALU_DEP_1)
	v_cmpx_gt_i64_e64 s[6:7], v[1:2]
	s_cbranch_execz .LBB145_20
; %bb.2:
	s_load_b32 s2, s[0:1], 0xc5c
	v_mov_b32_e32 v1, v2
	s_waitcnt lgkmcnt(0)
	s_lshr_b32 s11, s3, 16
	s_delay_alu instid0(VALU_DEP_1)
	v_mov_b32_e32 v2, v1
	v_mov_b32_e32 v1, v0
	s_and_b32 s10, s2, 0xffff
	s_branch .LBB145_4
.LBB145_3:                              ;   in Loop: Header=BB145_4 Depth=1
	s_or_b32 exec_lo, exec_lo, s2
	v_add_co_u32 v1, vcc_lo, v1, s10
	v_add_co_ci_u32_e32 v2, vcc_lo, 0, v2, vcc_lo
	v_and_b32_e32 v10, 0xff, v7
	v_and_b32_e32 v9, 0xff, v9
	s_waitcnt vmcnt(0)
	s_delay_alu instid0(VALU_DEP_3) | instskip(NEXT) | instid1(VALU_DEP_3)
	v_lshlrev_b64 v[6:7], 2, v[1:2]
	v_perm_b32 v5, v10, v5, 0x6050400
	s_delay_alu instid0(VALU_DEP_2) | instskip(SKIP_1) | instid1(VALU_DEP_3)
	v_cmp_le_i64_e32 vcc_lo, s[6:7], v[6:7]
	v_cmp_lt_u64_e64 s2, 0xffff, v[6:7]
	v_lshl_or_b32 v5, v9, 16, v5
	s_delay_alu instid0(VALU_DEP_1) | instskip(NEXT) | instid1(VALU_DEP_3)
	v_lshl_or_b32 v5, v8, 24, v5
	s_or_b32 s2, vcc_lo, s2
	v_add_co_u32 v3, vcc_lo, s14, v3
	v_add_co_ci_u32_e32 v4, vcc_lo, s15, v4, vcc_lo
	s_and_b32 s2, exec_lo, s2
	s_delay_alu instid0(SALU_CYCLE_1)
	s_or_b32 s9, s2, s9
	global_store_b32 v[3:4], v5, off
	s_and_not1_b32 exec_lo, exec_lo, s9
	s_cbranch_execz .LBB145_20
.LBB145_4:                              ; =>This Loop Header: Depth=1
                                        ;     Child Loop BB145_6 Depth 2
                                        ;     Child Loop BB145_10 Depth 2
	;; [unrolled: 1-line block ×4, first 2 shown]
	s_delay_alu instid0(VALU_DEP_1) | instskip(NEXT) | instid1(VALU_DEP_1)
	v_lshlrev_b64 v[3:4], 2, v[1:2]
	v_add_co_u32 v5, vcc_lo, s12, v3
	s_delay_alu instid0(VALU_DEP_2)
	v_add_co_ci_u32_e32 v6, vcc_lo, s13, v4, vcc_lo
	global_load_b32 v8, v[5:6], off
	v_add_co_u32 v5, vcc_lo, s4, v3
	v_add_co_ci_u32_e32 v6, vcc_lo, s5, v4, vcc_lo
	global_load_b32 v6, v[5:6], off
	s_waitcnt vmcnt(1)
	v_mul_lo_u16 v7, v8, s11
	s_delay_alu instid0(VALU_DEP_1) | instskip(NEXT) | instid1(VALU_DEP_1)
	v_and_b32_e32 v5, 0xff, v7
	v_cmp_ne_u16_e32 vcc_lo, 0, v5
	v_mov_b32_e32 v5, 1
	s_and_saveexec_b32 s2, vcc_lo
	s_cbranch_execz .LBB145_8
; %bb.5:                                ;   in Loop: Header=BB145_4 Depth=1
	v_mov_b32_e32 v5, 1
	s_waitcnt vmcnt(0)
	v_mov_b32_e32 v9, v6
	s_mov_b32 s16, 0
.LBB145_6:                              ;   Parent Loop BB145_4 Depth=1
                                        ; =>  This Inner Loop Header: Depth=2
	v_and_b32_e32 v10, 1, v7
	s_delay_alu instid0(VALU_DEP_1) | instskip(NEXT) | instid1(VALU_DEP_3)
	v_cmp_eq_u32_e32 vcc_lo, 1, v10
	v_dual_cndmask_b32 v10, 1, v9 :: v_dual_and_b32 v7, 0xff, v7
	s_delay_alu instid0(VALU_DEP_1) | instskip(SKIP_2) | instid1(VALU_DEP_4)
	v_cmp_gt_u16_e32 vcc_lo, 2, v7
	v_lshrrev_b16 v7, 1, v7
	v_mul_lo_u16 v9, v9, v9
	v_mul_lo_u16 v5, v10, v5
	s_or_b32 s16, vcc_lo, s16
	s_delay_alu instid0(SALU_CYCLE_1)
	s_and_not1_b32 exec_lo, exec_lo, s16
	s_cbranch_execnz .LBB145_6
; %bb.7:                                ;   in Loop: Header=BB145_4 Depth=1
	s_or_b32 exec_lo, exec_lo, s16
.LBB145_8:                              ;   in Loop: Header=BB145_4 Depth=1
	s_delay_alu instid0(SALU_CYCLE_1) | instskip(SKIP_1) | instid1(VALU_DEP_1)
	s_or_b32 exec_lo, exec_lo, s2
	v_lshrrev_b32_e32 v7, 8, v8
	v_mul_lo_u16 v9, v7, s11
	s_delay_alu instid0(VALU_DEP_1) | instskip(NEXT) | instid1(VALU_DEP_1)
	v_and_b32_e32 v7, 0xff, v9
	v_cmp_ne_u16_e32 vcc_lo, 0, v7
	v_mov_b32_e32 v7, 1
	s_and_saveexec_b32 s2, vcc_lo
	s_cbranch_execz .LBB145_12
; %bb.9:                                ;   in Loop: Header=BB145_4 Depth=1
	s_waitcnt vmcnt(0)
	v_lshrrev_b32_e32 v10, 8, v6
	v_mov_b32_e32 v7, 1
	s_mov_b32 s16, 0
.LBB145_10:                             ;   Parent Loop BB145_4 Depth=1
                                        ; =>  This Inner Loop Header: Depth=2
	v_and_b32_e32 v11, 1, v9
	v_and_b32_e32 v9, 0xff, v9
	s_delay_alu instid0(VALU_DEP_2) | instskip(SKIP_1) | instid1(VALU_DEP_3)
	v_cmp_eq_u32_e32 vcc_lo, 1, v11
	v_cndmask_b32_e32 v11, 1, v10, vcc_lo
	v_cmp_gt_u16_e32 vcc_lo, 2, v9
	v_lshrrev_b16 v9, 1, v9
	v_mul_lo_u16 v10, v10, v10
	s_delay_alu instid0(VALU_DEP_4) | instskip(SKIP_1) | instid1(SALU_CYCLE_1)
	v_mul_lo_u16 v7, v11, v7
	s_or_b32 s16, vcc_lo, s16
	s_and_not1_b32 exec_lo, exec_lo, s16
	s_cbranch_execnz .LBB145_10
; %bb.11:                               ;   in Loop: Header=BB145_4 Depth=1
	s_or_b32 exec_lo, exec_lo, s16
.LBB145_12:                             ;   in Loop: Header=BB145_4 Depth=1
	s_delay_alu instid0(SALU_CYCLE_1) | instskip(SKIP_1) | instid1(VALU_DEP_1)
	s_or_b32 exec_lo, exec_lo, s2
	v_lshrrev_b32_e32 v9, 16, v8
	v_mul_lo_u16 v10, v9, s11
	s_delay_alu instid0(VALU_DEP_1) | instskip(NEXT) | instid1(VALU_DEP_1)
	v_and_b32_e32 v9, 0xff, v10
	v_cmp_ne_u16_e32 vcc_lo, 0, v9
	v_mov_b32_e32 v9, 1
	s_and_saveexec_b32 s2, vcc_lo
	s_cbranch_execz .LBB145_16
; %bb.13:                               ;   in Loop: Header=BB145_4 Depth=1
	s_waitcnt vmcnt(0)
	v_lshrrev_b32_e32 v11, 16, v6
	v_mov_b32_e32 v9, 1
	s_mov_b32 s16, 0
.LBB145_14:                             ;   Parent Loop BB145_4 Depth=1
                                        ; =>  This Inner Loop Header: Depth=2
	v_and_b32_e32 v12, 1, v10
	v_and_b32_e32 v10, 0xff, v10
	s_delay_alu instid0(VALU_DEP_2) | instskip(SKIP_1) | instid1(VALU_DEP_3)
	v_cmp_eq_u32_e32 vcc_lo, 1, v12
	v_cndmask_b32_e32 v12, 1, v11, vcc_lo
	v_cmp_gt_u16_e32 vcc_lo, 2, v10
	v_lshrrev_b16 v10, 1, v10
	v_mul_lo_u16 v11, v11, v11
	s_delay_alu instid0(VALU_DEP_4) | instskip(SKIP_1) | instid1(SALU_CYCLE_1)
	v_mul_lo_u16 v9, v12, v9
	s_or_b32 s16, vcc_lo, s16
	s_and_not1_b32 exec_lo, exec_lo, s16
	s_cbranch_execnz .LBB145_14
; %bb.15:                               ;   in Loop: Header=BB145_4 Depth=1
	s_or_b32 exec_lo, exec_lo, s16
.LBB145_16:                             ;   in Loop: Header=BB145_4 Depth=1
	s_delay_alu instid0(SALU_CYCLE_1) | instskip(SKIP_1) | instid1(VALU_DEP_1)
	s_or_b32 exec_lo, exec_lo, s2
	v_lshrrev_b32_e32 v8, 24, v8
	v_mul_lo_u16 v10, v8, s11
	s_delay_alu instid0(VALU_DEP_1) | instskip(NEXT) | instid1(VALU_DEP_1)
	v_and_b32_e32 v8, 0xff, v10
	v_cmp_ne_u16_e32 vcc_lo, 0, v8
	v_mov_b32_e32 v8, 1
	s_and_saveexec_b32 s2, vcc_lo
	s_cbranch_execz .LBB145_3
; %bb.17:                               ;   in Loop: Header=BB145_4 Depth=1
	s_waitcnt vmcnt(0)
	v_lshrrev_b32_e32 v6, 24, v6
	v_mov_b32_e32 v8, 1
	s_mov_b32 s16, 0
.LBB145_18:                             ;   Parent Loop BB145_4 Depth=1
                                        ; =>  This Inner Loop Header: Depth=2
	v_and_b32_e32 v11, 1, v10
	v_and_b32_e32 v10, 0xff, v10
	s_delay_alu instid0(VALU_DEP_2) | instskip(SKIP_1) | instid1(VALU_DEP_3)
	v_cmp_eq_u32_e32 vcc_lo, 1, v11
	v_cndmask_b32_e32 v11, 1, v6, vcc_lo
	v_cmp_gt_u16_e32 vcc_lo, 2, v10
	v_lshrrev_b16 v10, 1, v10
	v_mul_lo_u16 v6, v6, v6
	s_delay_alu instid0(VALU_DEP_4) | instskip(SKIP_1) | instid1(SALU_CYCLE_1)
	v_mul_lo_u16 v8, v11, v8
	s_or_b32 s16, vcc_lo, s16
	s_and_not1_b32 exec_lo, exec_lo, s16
	s_cbranch_execnz .LBB145_18
; %bb.19:                               ;   in Loop: Header=BB145_4 Depth=1
	s_or_b32 exec_lo, exec_lo, s16
	s_branch .LBB145_3
.LBB145_20:
	s_or_b32 exec_lo, exec_lo, s8
	s_mov_b32 s2, 0
.LBB145_21:
	s_delay_alu instid0(SALU_CYCLE_1)
	s_and_not1_b32 vcc_lo, exec_lo, s2
	s_cbranch_vccnz .LBB145_57
; %bb.22:
	v_cmp_lt_i64_e64 s2, s[6:7], 1
	s_delay_alu instid0(VALU_DEP_1)
	s_and_b32 vcc_lo, exec_lo, s2
	s_cbranch_vccnz .LBB145_57
; %bb.23:
	s_load_b32 s0, s[0:1], 0xc5c
	v_cmp_gt_u64_e64 s1, 0x10000, s[6:7]
	s_mov_b64 s[8:9], 0
	s_waitcnt lgkmcnt(0)
	s_and_b32 s16, s0, 0xffff
	s_delay_alu instid0(VALU_DEP_1)
	s_and_b32 s0, s1, exec_lo
	s_cselect_b32 s11, s7, 0
	s_cselect_b32 s10, s6, 0x10000
	s_lshl_b32 s17, s16, 1
	s_mul_i32 s18, s16, 3
	s_lshl_b32 s19, s16, 2
	s_lshr_b32 s20, s3, 16
	s_branch .LBB145_25
.LBB145_24:                             ;   in Loop: Header=BB145_25 Depth=1
	s_or_b32 exec_lo, exec_lo, s0
	s_add_u32 s8, s8, s19
	s_addc_u32 s9, s9, 0
	s_delay_alu instid0(SALU_CYCLE_1) | instskip(SKIP_1) | instid1(VALU_DEP_1)
	v_cmp_ge_i64_e64 s0, s[8:9], s[6:7]
	v_cmp_lt_u64_e64 s1, 0xffff, s[8:9]
	s_or_b32 s0, s0, s1
	s_delay_alu instid0(SALU_CYCLE_1)
	s_and_b32 vcc_lo, exec_lo, s0
	s_cbranch_vccnz .LBB145_57
.LBB145_25:                             ; =>This Loop Header: Depth=1
                                        ;     Child Loop BB145_35 Depth 2
                                        ;     Child Loop BB145_39 Depth 2
	;; [unrolled: 1-line block ×4, first 2 shown]
	v_add_co_u32 v1, s0, s8, v0
	s_delay_alu instid0(VALU_DEP_1) | instskip(SKIP_2) | instid1(VALU_DEP_3)
	v_add_co_ci_u32_e64 v2, null, s9, 0, s0
	v_dual_mov_b32 v12, 0 :: v_dual_mov_b32 v9, 0
	v_mov_b32_e32 v10, 0
	v_cmp_gt_u64_e32 vcc_lo, s[10:11], v[1:2]
	s_and_saveexec_b32 s1, vcc_lo
	s_cbranch_execz .LBB145_27
; %bb.26:                               ;   in Loop: Header=BB145_25 Depth=1
	v_add_co_u32 v3, s0, s4, v1
	s_delay_alu instid0(VALU_DEP_1) | instskip(SKIP_1) | instid1(VALU_DEP_1)
	v_add_co_ci_u32_e64 v4, s0, s5, v2, s0
	v_add_co_u32 v5, s0, s12, v1
	v_add_co_ci_u32_e64 v6, s0, s13, v2, s0
	global_load_u8 v9, v[3:4], off
	global_load_u8 v10, v[5:6], off
.LBB145_27:                             ;   in Loop: Header=BB145_25 Depth=1
	s_or_b32 exec_lo, exec_lo, s1
	v_add_co_u32 v3, s0, v1, s16
	s_delay_alu instid0(VALU_DEP_1) | instskip(NEXT) | instid1(VALU_DEP_1)
	v_add_co_ci_u32_e64 v4, s0, 0, v2, s0
	v_cmp_gt_u64_e64 s0, s[10:11], v[3:4]
	s_delay_alu instid0(VALU_DEP_1)
	s_and_saveexec_b32 s2, s0
	s_cbranch_execz .LBB145_29
; %bb.28:                               ;   in Loop: Header=BB145_25 Depth=1
	v_add_co_u32 v5, s1, s4, v3
	s_delay_alu instid0(VALU_DEP_1) | instskip(SKIP_2) | instid1(VALU_DEP_1)
	v_add_co_ci_u32_e64 v6, s1, s5, v4, s1
	global_load_u8 v7, v[5:6], off
	v_add_co_u32 v5, s1, s12, v3
	v_add_co_ci_u32_e64 v6, s1, s13, v4, s1
	global_load_u8 v12, v[5:6], off
	s_waitcnt vmcnt(1)
	v_lshl_or_b32 v9, v7, 8, v9
.LBB145_29:                             ;   in Loop: Header=BB145_25 Depth=1
	s_or_b32 exec_lo, exec_lo, s2
	v_add_co_u32 v5, s1, v1, s17
	s_delay_alu instid0(VALU_DEP_1) | instskip(SKIP_2) | instid1(VALU_DEP_3)
	v_add_co_ci_u32_e64 v6, s1, 0, v2, s1
	v_mov_b32_e32 v11, 0
	v_mov_b32_e32 v13, 0
	v_cmp_gt_u64_e64 s1, s[10:11], v[5:6]
	s_delay_alu instid0(VALU_DEP_1)
	s_and_saveexec_b32 s3, s1
	s_cbranch_execz .LBB145_31
; %bb.30:                               ;   in Loop: Header=BB145_25 Depth=1
	v_add_co_u32 v7, s2, s4, v5
	s_delay_alu instid0(VALU_DEP_1) | instskip(SKIP_2) | instid1(VALU_DEP_1)
	v_add_co_ci_u32_e64 v8, s2, s5, v6, s2
	global_load_u8 v14, v[7:8], off
	v_add_co_u32 v7, s2, s12, v5
	v_add_co_ci_u32_e64 v8, s2, s13, v6, s2
	global_load_u8 v13, v[7:8], off
	s_waitcnt vmcnt(1)
	v_lshl_or_b32 v9, v14, 16, v9
.LBB145_31:                             ;   in Loop: Header=BB145_25 Depth=1
	s_or_b32 exec_lo, exec_lo, s3
	v_add_co_u32 v7, s2, v1, s18
	s_delay_alu instid0(VALU_DEP_1) | instskip(NEXT) | instid1(VALU_DEP_1)
	v_add_co_ci_u32_e64 v8, s2, 0, v2, s2
	v_cmp_gt_u64_e64 s2, s[10:11], v[7:8]
	s_delay_alu instid0(VALU_DEP_1)
	s_and_saveexec_b32 s21, s2
	s_cbranch_execz .LBB145_33
; %bb.32:                               ;   in Loop: Header=BB145_25 Depth=1
	v_add_co_u32 v14, s3, s4, v7
	s_delay_alu instid0(VALU_DEP_1) | instskip(SKIP_2) | instid1(VALU_DEP_1)
	v_add_co_ci_u32_e64 v15, s3, s5, v8, s3
	global_load_u8 v16, v[14:15], off
	v_add_co_u32 v14, s3, s12, v7
	v_add_co_ci_u32_e64 v15, s3, s13, v8, s3
	global_load_u8 v11, v[14:15], off
	s_waitcnt vmcnt(1)
	v_lshl_or_b32 v9, v16, 24, v9
.LBB145_33:                             ;   in Loop: Header=BB145_25 Depth=1
	s_or_b32 exec_lo, exec_lo, s21
	s_waitcnt vmcnt(0)
	v_mul_lo_u16 v14, v10, s20
	s_delay_alu instid0(VALU_DEP_1) | instskip(NEXT) | instid1(VALU_DEP_1)
	v_and_b32_e32 v10, 0xff, v14
	v_cmp_ne_u16_e64 s3, 0, v10
	v_mov_b32_e32 v10, 1
	s_delay_alu instid0(VALU_DEP_2)
	s_and_saveexec_b32 s21, s3
	s_cbranch_execz .LBB145_37
; %bb.34:                               ;   in Loop: Header=BB145_25 Depth=1
	v_dual_mov_b32 v10, 1 :: v_dual_mov_b32 v15, v9
	s_mov_b32 s22, 0
	.p2align	6
.LBB145_35:                             ;   Parent Loop BB145_25 Depth=1
                                        ; =>  This Inner Loop Header: Depth=2
	v_and_b32_e32 v16, 1, v14
	v_and_b32_e32 v14, 0xff, v14
	s_delay_alu instid0(VALU_DEP_2) | instskip(NEXT) | instid1(VALU_DEP_1)
	v_cmp_eq_u32_e64 s3, 1, v16
	v_cndmask_b32_e64 v16, 1, v15, s3
	s_delay_alu instid0(VALU_DEP_3) | instskip(SKIP_2) | instid1(VALU_DEP_4)
	v_cmp_gt_u16_e64 s3, 2, v14
	v_lshrrev_b16 v14, 1, v14
	v_mul_lo_u16 v15, v15, v15
	v_mul_lo_u16 v10, v16, v10
	s_delay_alu instid0(VALU_DEP_4) | instskip(NEXT) | instid1(SALU_CYCLE_1)
	s_or_b32 s22, s3, s22
	s_and_not1_b32 exec_lo, exec_lo, s22
	s_cbranch_execnz .LBB145_35
; %bb.36:                               ;   in Loop: Header=BB145_25 Depth=1
	s_or_b32 exec_lo, exec_lo, s22
.LBB145_37:                             ;   in Loop: Header=BB145_25 Depth=1
	s_delay_alu instid0(SALU_CYCLE_1) | instskip(SKIP_1) | instid1(VALU_DEP_1)
	s_or_b32 exec_lo, exec_lo, s21
	v_mul_lo_u16 v14, v12, s20
	v_and_b32_e32 v12, 0xff, v14
	s_delay_alu instid0(VALU_DEP_1) | instskip(SKIP_1) | instid1(VALU_DEP_2)
	v_cmp_ne_u16_e64 s3, 0, v12
	v_mov_b32_e32 v12, 1
	s_and_saveexec_b32 s21, s3
	s_cbranch_execz .LBB145_41
; %bb.38:                               ;   in Loop: Header=BB145_25 Depth=1
	v_lshrrev_b32_e32 v15, 8, v9
	v_mov_b32_e32 v12, 1
	s_mov_b32 s22, 0
	.p2align	6
.LBB145_39:                             ;   Parent Loop BB145_25 Depth=1
                                        ; =>  This Inner Loop Header: Depth=2
	v_and_b32_e32 v16, 1, v14
	v_and_b32_e32 v14, 0xff, v14
	s_delay_alu instid0(VALU_DEP_2) | instskip(NEXT) | instid1(VALU_DEP_1)
	v_cmp_eq_u32_e64 s3, 1, v16
	v_cndmask_b32_e64 v16, 1, v15, s3
	s_delay_alu instid0(VALU_DEP_3) | instskip(SKIP_2) | instid1(VALU_DEP_4)
	v_cmp_gt_u16_e64 s3, 2, v14
	v_lshrrev_b16 v14, 1, v14
	v_mul_lo_u16 v15, v15, v15
	v_mul_lo_u16 v12, v16, v12
	s_delay_alu instid0(VALU_DEP_4) | instskip(NEXT) | instid1(SALU_CYCLE_1)
	s_or_b32 s22, s3, s22
	s_and_not1_b32 exec_lo, exec_lo, s22
	s_cbranch_execnz .LBB145_39
; %bb.40:                               ;   in Loop: Header=BB145_25 Depth=1
	s_or_b32 exec_lo, exec_lo, s22
.LBB145_41:                             ;   in Loop: Header=BB145_25 Depth=1
	s_delay_alu instid0(SALU_CYCLE_1) | instskip(SKIP_1) | instid1(VALU_DEP_1)
	s_or_b32 exec_lo, exec_lo, s21
	v_mul_lo_u16 v14, v13, s20
	v_and_b32_e32 v13, 0xff, v14
	s_delay_alu instid0(VALU_DEP_1) | instskip(SKIP_1) | instid1(VALU_DEP_2)
	v_cmp_ne_u16_e64 s3, 0, v13
	v_mov_b32_e32 v13, 1
	s_and_saveexec_b32 s21, s3
	s_cbranch_execz .LBB145_45
; %bb.42:                               ;   in Loop: Header=BB145_25 Depth=1
	v_lshrrev_b32_e32 v15, 16, v9
	v_mov_b32_e32 v13, 1
	s_mov_b32 s22, 0
	.p2align	6
.LBB145_43:                             ;   Parent Loop BB145_25 Depth=1
                                        ; =>  This Inner Loop Header: Depth=2
	v_and_b32_e32 v16, 1, v14
	v_and_b32_e32 v14, 0xff, v14
	s_delay_alu instid0(VALU_DEP_2) | instskip(NEXT) | instid1(VALU_DEP_1)
	v_cmp_eq_u32_e64 s3, 1, v16
	v_cndmask_b32_e64 v16, 1, v15, s3
	s_delay_alu instid0(VALU_DEP_3) | instskip(SKIP_2) | instid1(VALU_DEP_4)
	v_cmp_gt_u16_e64 s3, 2, v14
	v_lshrrev_b16 v14, 1, v14
	v_mul_lo_u16 v15, v15, v15
	v_mul_lo_u16 v13, v16, v13
	s_delay_alu instid0(VALU_DEP_4) | instskip(NEXT) | instid1(SALU_CYCLE_1)
	s_or_b32 s22, s3, s22
	s_and_not1_b32 exec_lo, exec_lo, s22
	s_cbranch_execnz .LBB145_43
; %bb.44:                               ;   in Loop: Header=BB145_25 Depth=1
	s_or_b32 exec_lo, exec_lo, s22
.LBB145_45:                             ;   in Loop: Header=BB145_25 Depth=1
	s_delay_alu instid0(SALU_CYCLE_1) | instskip(SKIP_1) | instid1(VALU_DEP_1)
	s_or_b32 exec_lo, exec_lo, s21
	v_mul_lo_u16 v14, v11, s20
	v_and_b32_e32 v11, 0xff, v14
	s_delay_alu instid0(VALU_DEP_1) | instskip(SKIP_1) | instid1(VALU_DEP_2)
	v_cmp_ne_u16_e64 s3, 0, v11
	v_mov_b32_e32 v11, 1
	s_and_saveexec_b32 s21, s3
	s_cbranch_execnz .LBB145_50
; %bb.46:                               ;   in Loop: Header=BB145_25 Depth=1
	s_or_b32 exec_lo, exec_lo, s21
	s_and_saveexec_b32 s3, vcc_lo
	s_delay_alu instid0(SALU_CYCLE_1)
	s_xor_b32 s3, exec_lo, s3
	s_cbranch_execnz .LBB145_53
.LBB145_47:                             ;   in Loop: Header=BB145_25 Depth=1
	s_or_b32 exec_lo, exec_lo, s3
	s_and_saveexec_b32 s3, s0
	s_cbranch_execnz .LBB145_54
.LBB145_48:                             ;   in Loop: Header=BB145_25 Depth=1
	s_or_b32 exec_lo, exec_lo, s3
	s_and_saveexec_b32 s0, s1
	s_cbranch_execnz .LBB145_55
.LBB145_49:                             ;   in Loop: Header=BB145_25 Depth=1
	s_or_b32 exec_lo, exec_lo, s0
	s_and_saveexec_b32 s0, s2
	s_cbranch_execz .LBB145_24
	s_branch .LBB145_56
.LBB145_50:                             ;   in Loop: Header=BB145_25 Depth=1
	v_lshrrev_b32_e32 v9, 24, v9
	v_mov_b32_e32 v11, 1
	s_mov_b32 s22, 0
	.p2align	6
.LBB145_51:                             ;   Parent Loop BB145_25 Depth=1
                                        ; =>  This Inner Loop Header: Depth=2
	v_and_b32_e32 v15, 1, v14
	v_and_b32_e32 v14, 0xff, v14
	s_delay_alu instid0(VALU_DEP_2) | instskip(NEXT) | instid1(VALU_DEP_1)
	v_cmp_eq_u32_e64 s3, 1, v15
	v_cndmask_b32_e64 v15, 1, v9, s3
	s_delay_alu instid0(VALU_DEP_3) | instskip(SKIP_2) | instid1(VALU_DEP_4)
	v_cmp_gt_u16_e64 s3, 2, v14
	v_lshrrev_b16 v14, 1, v14
	v_mul_lo_u16 v9, v9, v9
	v_mul_lo_u16 v11, v15, v11
	s_delay_alu instid0(VALU_DEP_4) | instskip(NEXT) | instid1(SALU_CYCLE_1)
	s_or_b32 s22, s3, s22
	s_and_not1_b32 exec_lo, exec_lo, s22
	s_cbranch_execnz .LBB145_51
; %bb.52:                               ;   in Loop: Header=BB145_25 Depth=1
	s_or_b32 exec_lo, exec_lo, s22
	s_delay_alu instid0(SALU_CYCLE_1) | instskip(SKIP_1) | instid1(SALU_CYCLE_1)
	s_or_b32 exec_lo, exec_lo, s21
	s_and_saveexec_b32 s3, vcc_lo
	s_xor_b32 s3, exec_lo, s3
	s_cbranch_execz .LBB145_47
.LBB145_53:                             ;   in Loop: Header=BB145_25 Depth=1
	v_add_co_u32 v1, vcc_lo, s14, v1
	v_add_co_ci_u32_e32 v2, vcc_lo, s15, v2, vcc_lo
	global_store_b8 v[1:2], v10, off
	s_or_b32 exec_lo, exec_lo, s3
	s_and_saveexec_b32 s3, s0
	s_cbranch_execz .LBB145_48
.LBB145_54:                             ;   in Loop: Header=BB145_25 Depth=1
	v_add_co_u32 v1, vcc_lo, s14, v3
	v_add_co_ci_u32_e32 v2, vcc_lo, s15, v4, vcc_lo
	global_store_b8 v[1:2], v12, off
	s_or_b32 exec_lo, exec_lo, s3
	s_and_saveexec_b32 s0, s1
	s_cbranch_execz .LBB145_49
.LBB145_55:                             ;   in Loop: Header=BB145_25 Depth=1
	v_add_co_u32 v1, vcc_lo, s14, v5
	v_add_co_ci_u32_e32 v2, vcc_lo, s15, v6, vcc_lo
	global_store_b8 v[1:2], v13, off
	s_or_b32 exec_lo, exec_lo, s0
	s_and_saveexec_b32 s0, s2
	s_cbranch_execz .LBB145_24
.LBB145_56:                             ;   in Loop: Header=BB145_25 Depth=1
	v_add_co_u32 v1, vcc_lo, s14, v7
	v_add_co_ci_u32_e32 v2, vcc_lo, s15, v8, vcc_lo
	global_store_b8 v[1:2], v11, off
	s_branch .LBB145_24
.LBB145_57:
	s_nop 0
	s_sendmsg sendmsg(MSG_DEALLOC_VGPRS)
	s_endpgm
	.section	.rodata,"a",@progbits
	.p2align	6, 0x0
	.amdhsa_kernel _ZN2at6native12_GLOBAL__N_125multi_tensor_apply_kernelINS1_18TensorListMetadataILi3EEENS1_24BinaryOpListAlphaFunctorIhLi3ELi2ELi2EEEJNS1_13power_functorIhEEhEEEvT_T0_DpT1_
		.amdhsa_group_segment_fixed_size 0
		.amdhsa_private_segment_fixed_size 0
		.amdhsa_kernarg_size 3408
		.amdhsa_user_sgpr_count 15
		.amdhsa_user_sgpr_dispatch_ptr 0
		.amdhsa_user_sgpr_queue_ptr 0
		.amdhsa_user_sgpr_kernarg_segment_ptr 1
		.amdhsa_user_sgpr_dispatch_id 0
		.amdhsa_user_sgpr_private_segment_size 0
		.amdhsa_wavefront_size32 1
		.amdhsa_uses_dynamic_stack 0
		.amdhsa_enable_private_segment 0
		.amdhsa_system_sgpr_workgroup_id_x 1
		.amdhsa_system_sgpr_workgroup_id_y 0
		.amdhsa_system_sgpr_workgroup_id_z 0
		.amdhsa_system_sgpr_workgroup_info 0
		.amdhsa_system_vgpr_workitem_id 0
		.amdhsa_next_free_vgpr 17
		.amdhsa_next_free_sgpr 23
		.amdhsa_reserve_vcc 1
		.amdhsa_float_round_mode_32 0
		.amdhsa_float_round_mode_16_64 0
		.amdhsa_float_denorm_mode_32 3
		.amdhsa_float_denorm_mode_16_64 3
		.amdhsa_dx10_clamp 1
		.amdhsa_ieee_mode 1
		.amdhsa_fp16_overflow 0
		.amdhsa_workgroup_processor_mode 1
		.amdhsa_memory_ordered 1
		.amdhsa_forward_progress 0
		.amdhsa_shared_vgpr_count 0
		.amdhsa_exception_fp_ieee_invalid_op 0
		.amdhsa_exception_fp_denorm_src 0
		.amdhsa_exception_fp_ieee_div_zero 0
		.amdhsa_exception_fp_ieee_overflow 0
		.amdhsa_exception_fp_ieee_underflow 0
		.amdhsa_exception_fp_ieee_inexact 0
		.amdhsa_exception_int_div_zero 0
	.end_amdhsa_kernel
	.section	.text._ZN2at6native12_GLOBAL__N_125multi_tensor_apply_kernelINS1_18TensorListMetadataILi3EEENS1_24BinaryOpListAlphaFunctorIhLi3ELi2ELi2EEEJNS1_13power_functorIhEEhEEEvT_T0_DpT1_,"axG",@progbits,_ZN2at6native12_GLOBAL__N_125multi_tensor_apply_kernelINS1_18TensorListMetadataILi3EEENS1_24BinaryOpListAlphaFunctorIhLi3ELi2ELi2EEEJNS1_13power_functorIhEEhEEEvT_T0_DpT1_,comdat
.Lfunc_end145:
	.size	_ZN2at6native12_GLOBAL__N_125multi_tensor_apply_kernelINS1_18TensorListMetadataILi3EEENS1_24BinaryOpListAlphaFunctorIhLi3ELi2ELi2EEEJNS1_13power_functorIhEEhEEEvT_T0_DpT1_, .Lfunc_end145-_ZN2at6native12_GLOBAL__N_125multi_tensor_apply_kernelINS1_18TensorListMetadataILi3EEENS1_24BinaryOpListAlphaFunctorIhLi3ELi2ELi2EEEJNS1_13power_functorIhEEhEEEvT_T0_DpT1_
                                        ; -- End function
	.section	.AMDGPU.csdata,"",@progbits
; Kernel info:
; codeLenInByte = 2436
; NumSgprs: 25
; NumVgprs: 17
; ScratchSize: 0
; MemoryBound: 0
; FloatMode: 240
; IeeeMode: 1
; LDSByteSize: 0 bytes/workgroup (compile time only)
; SGPRBlocks: 3
; VGPRBlocks: 2
; NumSGPRsForWavesPerEU: 25
; NumVGPRsForWavesPerEU: 17
; Occupancy: 16
; WaveLimiterHint : 0
; COMPUTE_PGM_RSRC2:SCRATCH_EN: 0
; COMPUTE_PGM_RSRC2:USER_SGPR: 15
; COMPUTE_PGM_RSRC2:TRAP_HANDLER: 0
; COMPUTE_PGM_RSRC2:TGID_X_EN: 1
; COMPUTE_PGM_RSRC2:TGID_Y_EN: 0
; COMPUTE_PGM_RSRC2:TGID_Z_EN: 0
; COMPUTE_PGM_RSRC2:TIDIG_COMP_CNT: 0
	.section	.text._ZN2at6native12_GLOBAL__N_125multi_tensor_apply_kernelINS1_18TensorListMetadataILi3EEENS1_24BinaryOpListAlphaFunctorIaLi3ELi2ELi2EEEJNS1_13power_functorIaEEaEEEvT_T0_DpT1_,"axG",@progbits,_ZN2at6native12_GLOBAL__N_125multi_tensor_apply_kernelINS1_18TensorListMetadataILi3EEENS1_24BinaryOpListAlphaFunctorIaLi3ELi2ELi2EEEJNS1_13power_functorIaEEaEEEvT_T0_DpT1_,comdat
	.globl	_ZN2at6native12_GLOBAL__N_125multi_tensor_apply_kernelINS1_18TensorListMetadataILi3EEENS1_24BinaryOpListAlphaFunctorIaLi3ELi2ELi2EEEJNS1_13power_functorIaEEaEEEvT_T0_DpT1_ ; -- Begin function _ZN2at6native12_GLOBAL__N_125multi_tensor_apply_kernelINS1_18TensorListMetadataILi3EEENS1_24BinaryOpListAlphaFunctorIaLi3ELi2ELi2EEEJNS1_13power_functorIaEEaEEEvT_T0_DpT1_
	.p2align	8
	.type	_ZN2at6native12_GLOBAL__N_125multi_tensor_apply_kernelINS1_18TensorListMetadataILi3EEENS1_24BinaryOpListAlphaFunctorIaLi3ELi2ELi2EEEJNS1_13power_functorIaEEaEEEvT_T0_DpT1_,@function
_ZN2at6native12_GLOBAL__N_125multi_tensor_apply_kernelINS1_18TensorListMetadataILi3EEENS1_24BinaryOpListAlphaFunctorIaLi3ELi2ELi2EEEJNS1_13power_functorIaEEaEEEvT_T0_DpT1_: ; @_ZN2at6native12_GLOBAL__N_125multi_tensor_apply_kernelINS1_18TensorListMetadataILi3EEENS1_24BinaryOpListAlphaFunctorIaLi3ELi2ELi2EEEJNS1_13power_functorIaEEaEEEvT_T0_DpT1_
; %bb.0:
	v_mov_b32_e32 v1, s15
	s_add_u32 s2, s0, s15
	s_mul_hi_u32 s3, s15, 3
	s_mul_i32 s15, s15, 3
	s_addc_u32 s4, s1, 0
	global_load_u8 v1, v1, s[0:1] offset:1536
	s_add_u32 s2, s2, s15
	s_addc_u32 s3, s4, s3
	s_load_b32 s2, s[2:3], 0x740
	s_waitcnt vmcnt(0)
	v_readfirstlane_b32 s3, v1
	s_delay_alu instid0(VALU_DEP_1)
	s_lshl_b32 s3, s3, 3
	s_clause 0x3
	s_load_b64 s[4:5], s[0:1], s3 offset:0x0
	s_load_b64 s[6:7], s[0:1], s3 offset:0x180
	;; [unrolled: 1-line block ×4, first 2 shown]
	s_waitcnt lgkmcnt(0)
	s_ashr_i32 s3, s2, 31
	s_delay_alu instid0(SALU_CYCLE_1)
	s_lshl_b64 s[16:17], s[2:3], 16
	s_load_b32 s3, s[0:1], 0xc48
	s_add_u32 s4, s4, s16
	s_addc_u32 s5, s5, s17
	s_add_u32 s12, s6, s16
	s_addc_u32 s13, s7, s17
	;; [unrolled: 2-line block ×3, first 2 shown]
	s_or_b32 s2, s14, s12
	s_delay_alu instid0(SALU_CYCLE_1) | instskip(NEXT) | instid1(SALU_CYCLE_1)
	s_and_b32 s2, s2, 3
	s_cmp_lg_u32 s2, 0
	s_cselect_b32 s2, -1, 0
	s_sub_u32 s6, s10, s16
	s_subb_u32 s7, s11, s17
	s_or_b64 s[8:9], s[10:11], s[4:5]
	s_mov_b32 s9, 0
	s_and_b32 s8, s8, 3
	s_delay_alu instid0(SALU_CYCLE_1) | instskip(SKIP_1) | instid1(SALU_CYCLE_1)
	s_cmp_lg_u64 s[8:9], 0
	s_cselect_b32 s8, -1, 0
	s_or_b32 s2, s2, s8
	s_delay_alu instid0(SALU_CYCLE_1)
	s_and_not1_b32 vcc_lo, exec_lo, s2
	s_mov_b32 s2, -1
	s_cbranch_vccz .LBB146_61
; %bb.1:
	v_dual_mov_b32 v2, 0 :: v_dual_lshlrev_b32 v1, 2, v0
	s_mov_b32 s8, exec_lo
	s_delay_alu instid0(VALU_DEP_1)
	v_cmpx_gt_i64_e64 s[6:7], v[1:2]
	s_cbranch_execz .LBB146_60
; %bb.2:
	s_load_b32 s2, s[0:1], 0xc5c
	v_mov_b32_e32 v1, v2
	s_waitcnt lgkmcnt(0)
	s_lshr_b32 s11, s3, 16
	s_delay_alu instid0(VALU_DEP_1)
	v_mov_b32_e32 v2, v1
	v_mov_b32_e32 v1, v0
	s_and_b32 s10, s2, 0xffff
	s_branch .LBB146_6
.LBB146_3:                              ;   in Loop: Header=BB146_6 Depth=1
	s_or_b32 exec_lo, exec_lo, s17
.LBB146_4:                              ;   in Loop: Header=BB146_6 Depth=1
	s_delay_alu instid0(SALU_CYCLE_1)
	s_or_b32 exec_lo, exec_lo, s16
.LBB146_5:                              ;   in Loop: Header=BB146_6 Depth=1
	s_delay_alu instid0(SALU_CYCLE_1) | instskip(SKIP_4) | instid1(VALU_DEP_3)
	s_or_b32 exec_lo, exec_lo, s2
	v_add_co_u32 v1, vcc_lo, v1, s10
	v_add_co_ci_u32_e32 v2, vcc_lo, 0, v2, vcc_lo
	v_and_b32_e32 v10, 0xff, v8
	v_and_b32_e32 v9, 0xff, v9
	v_lshlrev_b64 v[7:8], 2, v[1:2]
	s_delay_alu instid0(VALU_DEP_3) | instskip(NEXT) | instid1(VALU_DEP_2)
	v_perm_b32 v5, v10, v5, 0x6050400
	v_cmp_le_i64_e32 vcc_lo, s[6:7], v[7:8]
	v_cmp_lt_u64_e64 s2, 0xffff, v[7:8]
	s_delay_alu instid0(VALU_DEP_3) | instskip(NEXT) | instid1(VALU_DEP_1)
	v_lshl_or_b32 v5, v9, 16, v5
	v_lshl_or_b32 v5, v6, 24, v5
	s_delay_alu instid0(VALU_DEP_3) | instskip(SKIP_3) | instid1(SALU_CYCLE_1)
	s_or_b32 s2, vcc_lo, s2
	v_add_co_u32 v3, vcc_lo, s14, v3
	v_add_co_ci_u32_e32 v4, vcc_lo, s15, v4, vcc_lo
	s_and_b32 s2, exec_lo, s2
	s_or_b32 s9, s2, s9
	global_store_b32 v[3:4], v5, off
	s_and_not1_b32 exec_lo, exec_lo, s9
	s_cbranch_execz .LBB146_60
.LBB146_6:                              ; =>This Loop Header: Depth=1
                                        ;     Child Loop BB146_9 Depth 2
                                        ;     Child Loop BB146_23 Depth 2
	;; [unrolled: 1-line block ×4, first 2 shown]
	s_delay_alu instid0(VALU_DEP_1) | instskip(SKIP_1) | instid1(VALU_DEP_1)
	v_lshlrev_b64 v[3:4], 2, v[1:2]
	s_mov_b32 s2, exec_lo
	v_add_co_u32 v5, vcc_lo, s12, v3
	s_delay_alu instid0(VALU_DEP_2)
	v_add_co_ci_u32_e32 v6, vcc_lo, s13, v4, vcc_lo
	v_add_co_u32 v7, vcc_lo, s4, v3
	v_add_co_ci_u32_e32 v8, vcc_lo, s5, v4, vcc_lo
	global_load_b32 v6, v[5:6], off
	global_load_b32 v7, v[7:8], off
	s_waitcnt vmcnt(1)
	v_mul_lo_u16 v5, v6, s11
	s_delay_alu instid0(VALU_DEP_1) | instskip(NEXT) | instid1(VALU_DEP_1)
	v_bfe_i32 v8, v5, 0, 8
                                        ; implicit-def: $vgpr5
	v_cmpx_lt_i16_e32 -1, v8
	s_xor_b32 s2, exec_lo, s2
	s_cbranch_execz .LBB146_12
; %bb.7:                                ;   in Loop: Header=BB146_6 Depth=1
	v_mov_b32_e32 v5, 1
	s_mov_b32 s16, exec_lo
	v_cmpx_ne_u16_e32 0, v8
	s_cbranch_execz .LBB146_11
; %bb.8:                                ;   in Loop: Header=BB146_6 Depth=1
	v_mov_b32_e32 v5, 1
	s_waitcnt vmcnt(0)
	v_mov_b32_e32 v9, v7
	s_mov_b32 s17, 0
	.p2align	6
.LBB146_9:                              ;   Parent Loop BB146_6 Depth=1
                                        ; =>  This Inner Loop Header: Depth=2
	s_delay_alu instid0(VALU_DEP_1) | instskip(SKIP_1) | instid1(VALU_DEP_2)
	v_lshrrev_b16 v10, 7, v8
	v_add_nc_u16 v11, v8, 1
	v_and_b32_e32 v10, 1, v10
	s_delay_alu instid0(VALU_DEP_1) | instskip(SKIP_1) | instid1(VALU_DEP_2)
	v_add_nc_u16 v10, v8, v10
	v_and_b32_e32 v8, 1, v8
	v_bfe_i32 v10, v10, 0, 8
	s_delay_alu instid0(VALU_DEP_2) | instskip(SKIP_1) | instid1(VALU_DEP_3)
	v_cmp_eq_u32_e32 vcc_lo, 1, v8
	v_and_b32_e32 v11, 0xff, v11
	v_ashrrev_i16 v10, 1, v10
	v_cndmask_b32_e32 v8, 1, v9, vcc_lo
	s_delay_alu instid0(VALU_DEP_3) | instskip(SKIP_1) | instid1(VALU_DEP_3)
	v_cmp_gt_u16_e32 vcc_lo, 3, v11
	v_mul_lo_u16 v9, v9, v9
	v_mul_lo_u16 v5, v8, v5
	v_mov_b32_e32 v8, v10
	s_or_b32 s17, vcc_lo, s17
	s_delay_alu instid0(SALU_CYCLE_1)
	s_and_not1_b32 exec_lo, exec_lo, s17
	s_cbranch_execnz .LBB146_9
; %bb.10:                               ;   in Loop: Header=BB146_6 Depth=1
	s_or_b32 exec_lo, exec_lo, s17
.LBB146_11:                             ;   in Loop: Header=BB146_6 Depth=1
	s_delay_alu instid0(SALU_CYCLE_1)
	s_or_b32 exec_lo, exec_lo, s16
                                        ; implicit-def: $vgpr8
.LBB146_12:                             ;   in Loop: Header=BB146_6 Depth=1
	s_and_not1_saveexec_b32 s2, s2
	s_cbranch_execz .LBB146_20
; %bb.13:                               ;   in Loop: Header=BB146_6 Depth=1
	s_waitcnt vmcnt(0)
	v_and_b32_e32 v9, 0xff, v7
	s_mov_b32 s16, exec_lo
                                        ; implicit-def: $vgpr5
	s_delay_alu instid0(VALU_DEP_1)
	v_cmpx_lt_i16_e32 0xfe, v9
	s_xor_b32 s16, exec_lo, s16
; %bb.14:                               ;   in Loop: Header=BB146_6 Depth=1
	v_and_b32_e32 v5, 1, v8
                                        ; implicit-def: $vgpr9
	s_delay_alu instid0(VALU_DEP_1)
	v_cmp_eq_u16_e32 vcc_lo, 0, v5
	v_cndmask_b32_e64 v5, -1, 1, vcc_lo
; %bb.15:                               ;   in Loop: Header=BB146_6 Depth=1
	s_and_not1_saveexec_b32 s16, s16
	s_cbranch_execz .LBB146_19
; %bb.16:                               ;   in Loop: Header=BB146_6 Depth=1
	v_mov_b32_e32 v5, 1
	s_mov_b32 s17, exec_lo
	v_cmpx_ne_u16_e32 1, v9
; %bb.17:                               ;   in Loop: Header=BB146_6 Depth=1
	v_mov_b32_e32 v5, 0
; %bb.18:                               ;   in Loop: Header=BB146_6 Depth=1
	s_or_b32 exec_lo, exec_lo, s17
.LBB146_19:                             ;   in Loop: Header=BB146_6 Depth=1
	s_delay_alu instid0(SALU_CYCLE_1)
	s_or_b32 exec_lo, exec_lo, s16
.LBB146_20:                             ;   in Loop: Header=BB146_6 Depth=1
	s_delay_alu instid0(SALU_CYCLE_1) | instskip(SKIP_4) | instid1(VALU_DEP_2)
	s_or_b32 exec_lo, exec_lo, s2
	v_lshrrev_b32_e32 v8, 8, v6
	s_waitcnt vmcnt(0)
	v_lshrrev_b32_e32 v9, 8, v7
	s_mov_b32 s2, exec_lo
	v_mul_lo_u16 v8, v8, s11
	s_delay_alu instid0(VALU_DEP_1) | instskip(NEXT) | instid1(VALU_DEP_1)
	v_bfe_i32 v10, v8, 0, 8
                                        ; implicit-def: $vgpr8
	v_cmpx_lt_i16_e32 -1, v10
	s_xor_b32 s2, exec_lo, s2
	s_cbranch_execz .LBB146_26
; %bb.21:                               ;   in Loop: Header=BB146_6 Depth=1
	v_mov_b32_e32 v8, 1
	s_mov_b32 s16, exec_lo
	v_cmpx_ne_u16_e32 0, v10
	s_cbranch_execz .LBB146_25
; %bb.22:                               ;   in Loop: Header=BB146_6 Depth=1
	v_mov_b32_e32 v8, 1
	s_mov_b32 s17, 0
	.p2align	6
.LBB146_23:                             ;   Parent Loop BB146_6 Depth=1
                                        ; =>  This Inner Loop Header: Depth=2
	s_delay_alu instid0(VALU_DEP_1) | instskip(SKIP_1) | instid1(VALU_DEP_2)
	v_lshrrev_b16 v11, 7, v10
	v_add_nc_u16 v12, v10, 1
	v_and_b32_e32 v11, 1, v11
	s_delay_alu instid0(VALU_DEP_2) | instskip(NEXT) | instid1(VALU_DEP_2)
	v_and_b32_e32 v12, 0xff, v12
	v_add_nc_u16 v11, v10, v11
	v_and_b32_e32 v10, 1, v10
	s_delay_alu instid0(VALU_DEP_2) | instskip(NEXT) | instid1(VALU_DEP_2)
	v_bfe_i32 v11, v11, 0, 8
	v_cmp_eq_u32_e32 vcc_lo, 1, v10
	s_delay_alu instid0(VALU_DEP_2) | instskip(SKIP_3) | instid1(VALU_DEP_3)
	v_ashrrev_i16 v11, 1, v11
	v_cndmask_b32_e32 v10, 1, v9, vcc_lo
	v_cmp_gt_u16_e32 vcc_lo, 3, v12
	v_mul_lo_u16 v9, v9, v9
	v_mul_lo_u16 v8, v10, v8
	v_mov_b32_e32 v10, v11
	s_or_b32 s17, vcc_lo, s17
	s_delay_alu instid0(SALU_CYCLE_1)
	s_and_not1_b32 exec_lo, exec_lo, s17
	s_cbranch_execnz .LBB146_23
; %bb.24:                               ;   in Loop: Header=BB146_6 Depth=1
	s_or_b32 exec_lo, exec_lo, s17
.LBB146_25:                             ;   in Loop: Header=BB146_6 Depth=1
	s_delay_alu instid0(SALU_CYCLE_1)
	s_or_b32 exec_lo, exec_lo, s16
                                        ; implicit-def: $vgpr9
                                        ; implicit-def: $vgpr10
.LBB146_26:                             ;   in Loop: Header=BB146_6 Depth=1
	s_and_not1_saveexec_b32 s2, s2
	s_cbranch_execz .LBB146_34
; %bb.27:                               ;   in Loop: Header=BB146_6 Depth=1
	v_and_b32_e32 v9, 0xff, v9
	s_mov_b32 s16, exec_lo
                                        ; implicit-def: $vgpr8
	s_delay_alu instid0(VALU_DEP_1)
	v_cmpx_lt_i16_e32 0xfe, v9
	s_xor_b32 s16, exec_lo, s16
; %bb.28:                               ;   in Loop: Header=BB146_6 Depth=1
	v_and_b32_e32 v8, 1, v10
                                        ; implicit-def: $vgpr9
	s_delay_alu instid0(VALU_DEP_1)
	v_cmp_eq_u16_e32 vcc_lo, 0, v8
	v_cndmask_b32_e64 v8, -1, 1, vcc_lo
; %bb.29:                               ;   in Loop: Header=BB146_6 Depth=1
	s_and_not1_saveexec_b32 s16, s16
	s_cbranch_execz .LBB146_33
; %bb.30:                               ;   in Loop: Header=BB146_6 Depth=1
	v_mov_b32_e32 v8, 1
	s_mov_b32 s17, exec_lo
	v_cmpx_ne_u16_e32 1, v9
; %bb.31:                               ;   in Loop: Header=BB146_6 Depth=1
	v_mov_b32_e32 v8, 0
; %bb.32:                               ;   in Loop: Header=BB146_6 Depth=1
	s_or_b32 exec_lo, exec_lo, s17
.LBB146_33:                             ;   in Loop: Header=BB146_6 Depth=1
	s_delay_alu instid0(SALU_CYCLE_1)
	s_or_b32 exec_lo, exec_lo, s16
.LBB146_34:                             ;   in Loop: Header=BB146_6 Depth=1
	s_delay_alu instid0(SALU_CYCLE_1) | instskip(SKIP_3) | instid1(VALU_DEP_2)
	s_or_b32 exec_lo, exec_lo, s2
	v_lshrrev_b32_e32 v9, 16, v6
	v_lshrrev_b32_e32 v10, 16, v7
	s_mov_b32 s2, exec_lo
	v_mul_lo_u16 v9, v9, s11
	s_delay_alu instid0(VALU_DEP_1) | instskip(NEXT) | instid1(VALU_DEP_1)
	v_bfe_i32 v11, v9, 0, 8
                                        ; implicit-def: $vgpr9
	v_cmpx_lt_i16_e32 -1, v11
	s_xor_b32 s2, exec_lo, s2
	s_cbranch_execz .LBB146_40
; %bb.35:                               ;   in Loop: Header=BB146_6 Depth=1
	v_mov_b32_e32 v9, 1
	s_mov_b32 s16, exec_lo
	v_cmpx_ne_u16_e32 0, v11
	s_cbranch_execz .LBB146_39
; %bb.36:                               ;   in Loop: Header=BB146_6 Depth=1
	v_mov_b32_e32 v9, 1
	s_mov_b32 s17, 0
	.p2align	6
.LBB146_37:                             ;   Parent Loop BB146_6 Depth=1
                                        ; =>  This Inner Loop Header: Depth=2
	s_delay_alu instid0(VALU_DEP_1) | instskip(SKIP_1) | instid1(VALU_DEP_2)
	v_lshrrev_b16 v12, 7, v11
	v_add_nc_u16 v13, v11, 1
	v_and_b32_e32 v12, 1, v12
	s_delay_alu instid0(VALU_DEP_2) | instskip(NEXT) | instid1(VALU_DEP_2)
	v_and_b32_e32 v13, 0xff, v13
	v_add_nc_u16 v12, v11, v12
	v_and_b32_e32 v11, 1, v11
	s_delay_alu instid0(VALU_DEP_2) | instskip(NEXT) | instid1(VALU_DEP_2)
	v_bfe_i32 v12, v12, 0, 8
	v_cmp_eq_u32_e32 vcc_lo, 1, v11
	s_delay_alu instid0(VALU_DEP_2) | instskip(SKIP_3) | instid1(VALU_DEP_3)
	v_ashrrev_i16 v12, 1, v12
	v_cndmask_b32_e32 v11, 1, v10, vcc_lo
	v_cmp_gt_u16_e32 vcc_lo, 3, v13
	v_mul_lo_u16 v10, v10, v10
	v_mul_lo_u16 v9, v11, v9
	v_mov_b32_e32 v11, v12
	s_or_b32 s17, vcc_lo, s17
	s_delay_alu instid0(SALU_CYCLE_1)
	s_and_not1_b32 exec_lo, exec_lo, s17
	s_cbranch_execnz .LBB146_37
; %bb.38:                               ;   in Loop: Header=BB146_6 Depth=1
	s_or_b32 exec_lo, exec_lo, s17
.LBB146_39:                             ;   in Loop: Header=BB146_6 Depth=1
	s_delay_alu instid0(SALU_CYCLE_1)
	s_or_b32 exec_lo, exec_lo, s16
                                        ; implicit-def: $vgpr10
                                        ; implicit-def: $vgpr11
.LBB146_40:                             ;   in Loop: Header=BB146_6 Depth=1
	s_and_not1_saveexec_b32 s2, s2
	s_cbranch_execz .LBB146_48
; %bb.41:                               ;   in Loop: Header=BB146_6 Depth=1
	v_and_b32_e32 v10, 0xff, v10
	s_mov_b32 s16, exec_lo
                                        ; implicit-def: $vgpr9
	s_delay_alu instid0(VALU_DEP_1)
	v_cmpx_lt_i16_e32 0xfe, v10
	s_xor_b32 s16, exec_lo, s16
; %bb.42:                               ;   in Loop: Header=BB146_6 Depth=1
	v_and_b32_e32 v9, 1, v11
                                        ; implicit-def: $vgpr10
	s_delay_alu instid0(VALU_DEP_1)
	v_cmp_eq_u16_e32 vcc_lo, 0, v9
	v_cndmask_b32_e64 v9, -1, 1, vcc_lo
; %bb.43:                               ;   in Loop: Header=BB146_6 Depth=1
	s_and_not1_saveexec_b32 s16, s16
	s_cbranch_execz .LBB146_47
; %bb.44:                               ;   in Loop: Header=BB146_6 Depth=1
	v_mov_b32_e32 v9, 1
	s_mov_b32 s17, exec_lo
	v_cmpx_ne_u16_e32 1, v10
; %bb.45:                               ;   in Loop: Header=BB146_6 Depth=1
	v_mov_b32_e32 v9, 0
; %bb.46:                               ;   in Loop: Header=BB146_6 Depth=1
	s_or_b32 exec_lo, exec_lo, s17
.LBB146_47:                             ;   in Loop: Header=BB146_6 Depth=1
	s_delay_alu instid0(SALU_CYCLE_1)
	s_or_b32 exec_lo, exec_lo, s16
.LBB146_48:                             ;   in Loop: Header=BB146_6 Depth=1
	s_delay_alu instid0(SALU_CYCLE_1) | instskip(SKIP_3) | instid1(VALU_DEP_2)
	s_or_b32 exec_lo, exec_lo, s2
	v_lshrrev_b32_e32 v6, 24, v6
	v_lshrrev_b32_e32 v7, 24, v7
	s_mov_b32 s2, exec_lo
	v_mul_lo_u16 v6, v6, s11
	s_delay_alu instid0(VALU_DEP_1) | instskip(NEXT) | instid1(VALU_DEP_1)
	v_bfe_i32 v10, v6, 0, 8
                                        ; implicit-def: $vgpr6
	v_cmpx_lt_i16_e32 -1, v10
	s_xor_b32 s2, exec_lo, s2
	s_cbranch_execz .LBB146_54
; %bb.49:                               ;   in Loop: Header=BB146_6 Depth=1
	v_mov_b32_e32 v6, 1
	s_mov_b32 s16, exec_lo
	v_cmpx_ne_u16_e32 0, v10
	s_cbranch_execz .LBB146_53
; %bb.50:                               ;   in Loop: Header=BB146_6 Depth=1
	v_mov_b32_e32 v6, 1
	s_mov_b32 s17, 0
	.p2align	6
.LBB146_51:                             ;   Parent Loop BB146_6 Depth=1
                                        ; =>  This Inner Loop Header: Depth=2
	s_delay_alu instid0(VALU_DEP_1) | instskip(SKIP_1) | instid1(VALU_DEP_2)
	v_lshrrev_b16 v11, 7, v10
	v_add_nc_u16 v12, v10, 1
	v_and_b32_e32 v11, 1, v11
	s_delay_alu instid0(VALU_DEP_2) | instskip(NEXT) | instid1(VALU_DEP_2)
	v_and_b32_e32 v12, 0xff, v12
	v_add_nc_u16 v11, v10, v11
	v_and_b32_e32 v10, 1, v10
	s_delay_alu instid0(VALU_DEP_2) | instskip(NEXT) | instid1(VALU_DEP_2)
	v_bfe_i32 v11, v11, 0, 8
	v_cmp_eq_u32_e32 vcc_lo, 1, v10
	s_delay_alu instid0(VALU_DEP_2) | instskip(SKIP_3) | instid1(VALU_DEP_3)
	v_ashrrev_i16 v11, 1, v11
	v_cndmask_b32_e32 v10, 1, v7, vcc_lo
	v_cmp_gt_u16_e32 vcc_lo, 3, v12
	v_mul_lo_u16 v7, v7, v7
	v_mul_lo_u16 v6, v10, v6
	v_mov_b32_e32 v10, v11
	s_or_b32 s17, vcc_lo, s17
	s_delay_alu instid0(SALU_CYCLE_1)
	s_and_not1_b32 exec_lo, exec_lo, s17
	s_cbranch_execnz .LBB146_51
; %bb.52:                               ;   in Loop: Header=BB146_6 Depth=1
	s_or_b32 exec_lo, exec_lo, s17
.LBB146_53:                             ;   in Loop: Header=BB146_6 Depth=1
	s_delay_alu instid0(SALU_CYCLE_1)
	s_or_b32 exec_lo, exec_lo, s16
                                        ; implicit-def: $vgpr7
                                        ; implicit-def: $vgpr10
.LBB146_54:                             ;   in Loop: Header=BB146_6 Depth=1
	s_and_not1_saveexec_b32 s2, s2
	s_cbranch_execz .LBB146_5
; %bb.55:                               ;   in Loop: Header=BB146_6 Depth=1
	s_mov_b32 s16, exec_lo
                                        ; implicit-def: $vgpr6
	v_cmpx_lt_i16_e32 0xfe, v7
	s_xor_b32 s16, exec_lo, s16
; %bb.56:                               ;   in Loop: Header=BB146_6 Depth=1
	v_and_b32_e32 v6, 1, v10
                                        ; implicit-def: $vgpr7
	s_delay_alu instid0(VALU_DEP_1)
	v_cmp_eq_u16_e32 vcc_lo, 0, v6
	v_cndmask_b32_e64 v6, -1, 1, vcc_lo
; %bb.57:                               ;   in Loop: Header=BB146_6 Depth=1
	s_and_not1_saveexec_b32 s16, s16
	s_cbranch_execz .LBB146_4
; %bb.58:                               ;   in Loop: Header=BB146_6 Depth=1
	v_mov_b32_e32 v6, 1
	s_mov_b32 s17, exec_lo
	v_cmpx_ne_u16_e32 1, v7
	s_cbranch_execz .LBB146_3
; %bb.59:                               ;   in Loop: Header=BB146_6 Depth=1
	v_mov_b32_e32 v6, 0
	s_branch .LBB146_3
.LBB146_60:
	s_or_b32 exec_lo, exec_lo, s8
	s_mov_b32 s2, 0
.LBB146_61:
	s_delay_alu instid0(SALU_CYCLE_1)
	s_and_not1_b32 vcc_lo, exec_lo, s2
	s_cbranch_vccnz .LBB146_137
; %bb.62:
	v_cmp_lt_i64_e64 s2, s[6:7], 1
	s_delay_alu instid0(VALU_DEP_1)
	s_and_b32 vcc_lo, exec_lo, s2
	s_cbranch_vccnz .LBB146_137
; %bb.63:
	s_load_b32 s0, s[0:1], 0xc5c
	v_cmp_gt_u64_e64 s1, 0x10000, s[6:7]
	s_mov_b64 s[8:9], 0
	s_waitcnt lgkmcnt(0)
	s_and_b32 s16, s0, 0xffff
	s_delay_alu instid0(VALU_DEP_1)
	s_and_b32 s0, s1, exec_lo
	s_cselect_b32 s11, s7, 0
	s_cselect_b32 s10, s6, 0x10000
	s_lshl_b32 s17, s16, 1
	s_mul_i32 s18, s16, 3
	s_lshl_b32 s19, s16, 2
	s_lshr_b32 s20, s3, 16
	s_branch .LBB146_65
.LBB146_64:                             ;   in Loop: Header=BB146_65 Depth=1
	s_or_b32 exec_lo, exec_lo, s0
	s_add_u32 s8, s8, s19
	s_addc_u32 s9, s9, 0
	s_delay_alu instid0(SALU_CYCLE_1) | instskip(SKIP_1) | instid1(VALU_DEP_1)
	v_cmp_ge_i64_e64 s0, s[8:9], s[6:7]
	v_cmp_lt_u64_e64 s1, 0xffff, s[8:9]
	s_or_b32 s0, s0, s1
	s_delay_alu instid0(SALU_CYCLE_1)
	s_and_b32 vcc_lo, exec_lo, s0
	s_cbranch_vccnz .LBB146_137
.LBB146_65:                             ; =>This Loop Header: Depth=1
                                        ;     Child Loop BB146_76 Depth 2
                                        ;     Child Loop BB146_90 Depth 2
	;; [unrolled: 1-line block ×4, first 2 shown]
	v_add_co_u32 v1, s0, s8, v0
	s_delay_alu instid0(VALU_DEP_1) | instskip(SKIP_2) | instid1(VALU_DEP_3)
	v_add_co_ci_u32_e64 v2, null, s9, 0, s0
	v_dual_mov_b32 v12, 0 :: v_dual_mov_b32 v9, 0
	v_mov_b32_e32 v10, 0
	v_cmp_gt_u64_e32 vcc_lo, s[10:11], v[1:2]
	s_and_saveexec_b32 s1, vcc_lo
	s_cbranch_execz .LBB146_67
; %bb.66:                               ;   in Loop: Header=BB146_65 Depth=1
	v_add_co_u32 v3, s0, s4, v1
	s_delay_alu instid0(VALU_DEP_1) | instskip(SKIP_1) | instid1(VALU_DEP_1)
	v_add_co_ci_u32_e64 v4, s0, s5, v2, s0
	v_add_co_u32 v5, s0, s12, v1
	v_add_co_ci_u32_e64 v6, s0, s13, v2, s0
	global_load_u8 v10, v[3:4], off
	global_load_u8 v9, v[5:6], off
.LBB146_67:                             ;   in Loop: Header=BB146_65 Depth=1
	s_or_b32 exec_lo, exec_lo, s1
	v_add_co_u32 v3, s0, v1, s16
	s_delay_alu instid0(VALU_DEP_1) | instskip(NEXT) | instid1(VALU_DEP_1)
	v_add_co_ci_u32_e64 v4, s0, 0, v2, s0
	v_cmp_gt_u64_e64 s0, s[10:11], v[3:4]
	s_delay_alu instid0(VALU_DEP_1)
	s_and_saveexec_b32 s2, s0
	s_cbranch_execz .LBB146_69
; %bb.68:                               ;   in Loop: Header=BB146_65 Depth=1
	v_add_co_u32 v5, s1, s4, v3
	s_delay_alu instid0(VALU_DEP_1) | instskip(SKIP_2) | instid1(VALU_DEP_1)
	v_add_co_ci_u32_e64 v6, s1, s5, v4, s1
	global_load_u8 v7, v[5:6], off
	v_add_co_u32 v5, s1, s12, v3
	v_add_co_ci_u32_e64 v6, s1, s13, v4, s1
	global_load_u8 v12, v[5:6], off
	s_waitcnt vmcnt(1)
	v_lshl_or_b32 v10, v7, 8, v10
.LBB146_69:                             ;   in Loop: Header=BB146_65 Depth=1
	s_or_b32 exec_lo, exec_lo, s2
	v_add_co_u32 v5, s1, v1, s17
	s_delay_alu instid0(VALU_DEP_1) | instskip(SKIP_2) | instid1(VALU_DEP_3)
	v_add_co_ci_u32_e64 v6, s1, 0, v2, s1
	v_mov_b32_e32 v11, 0
	v_mov_b32_e32 v13, 0
	v_cmp_gt_u64_e64 s1, s[10:11], v[5:6]
	s_delay_alu instid0(VALU_DEP_1)
	s_and_saveexec_b32 s3, s1
	s_cbranch_execz .LBB146_71
; %bb.70:                               ;   in Loop: Header=BB146_65 Depth=1
	v_add_co_u32 v7, s2, s4, v5
	s_delay_alu instid0(VALU_DEP_1) | instskip(SKIP_2) | instid1(VALU_DEP_1)
	v_add_co_ci_u32_e64 v8, s2, s5, v6, s2
	global_load_u8 v14, v[7:8], off
	v_add_co_u32 v7, s2, s12, v5
	v_add_co_ci_u32_e64 v8, s2, s13, v6, s2
	global_load_u8 v13, v[7:8], off
	s_waitcnt vmcnt(1)
	v_lshl_or_b32 v10, v14, 16, v10
.LBB146_71:                             ;   in Loop: Header=BB146_65 Depth=1
	s_or_b32 exec_lo, exec_lo, s3
	v_add_co_u32 v7, s2, v1, s18
	s_delay_alu instid0(VALU_DEP_1) | instskip(NEXT) | instid1(VALU_DEP_1)
	v_add_co_ci_u32_e64 v8, s2, 0, v2, s2
	v_cmp_gt_u64_e64 s2, s[10:11], v[7:8]
	s_delay_alu instid0(VALU_DEP_1)
	s_and_saveexec_b32 s21, s2
	s_cbranch_execz .LBB146_73
; %bb.72:                               ;   in Loop: Header=BB146_65 Depth=1
	v_add_co_u32 v14, s3, s4, v7
	s_delay_alu instid0(VALU_DEP_1) | instskip(SKIP_2) | instid1(VALU_DEP_1)
	v_add_co_ci_u32_e64 v15, s3, s5, v8, s3
	global_load_u8 v16, v[14:15], off
	v_add_co_u32 v14, s3, s12, v7
	v_add_co_ci_u32_e64 v15, s3, s13, v8, s3
	global_load_u8 v11, v[14:15], off
	s_waitcnt vmcnt(1)
	v_lshl_or_b32 v10, v16, 24, v10
.LBB146_73:                             ;   in Loop: Header=BB146_65 Depth=1
	s_or_b32 exec_lo, exec_lo, s21
	s_waitcnt vmcnt(0)
	v_mul_lo_u16 v9, v9, s20
	s_mov_b32 s21, exec_lo
	s_delay_alu instid0(VALU_DEP_1) | instskip(NEXT) | instid1(VALU_DEP_1)
	v_bfe_i32 v14, v9, 0, 8
                                        ; implicit-def: $vgpr9
	v_cmpx_lt_i16_e32 -1, v14
	s_xor_b32 s21, exec_lo, s21
	s_cbranch_execz .LBB146_79
; %bb.74:                               ;   in Loop: Header=BB146_65 Depth=1
	v_mov_b32_e32 v9, 1
	s_mov_b32 s22, exec_lo
	v_cmpx_ne_u16_e32 0, v14
	s_cbranch_execz .LBB146_78
; %bb.75:                               ;   in Loop: Header=BB146_65 Depth=1
	v_mov_b32_e32 v9, 1
	v_mov_b32_e32 v15, v10
	s_mov_b32 s23, 0
	.p2align	6
.LBB146_76:                             ;   Parent Loop BB146_65 Depth=1
                                        ; =>  This Inner Loop Header: Depth=2
	v_lshrrev_b16 v16, 7, v14
	v_add_nc_u16 v17, v14, 1
	s_delay_alu instid0(VALU_DEP_2) | instskip(NEXT) | instid1(VALU_DEP_1)
	v_and_b32_e32 v16, 1, v16
	v_add_nc_u16 v16, v14, v16
	v_and_b32_e32 v14, 1, v14
	s_delay_alu instid0(VALU_DEP_2) | instskip(NEXT) | instid1(VALU_DEP_2)
	v_bfe_i32 v16, v16, 0, 8
	v_cmp_eq_u32_e64 s3, 1, v14
	s_delay_alu instid0(VALU_DEP_2) | instskip(SKIP_1) | instid1(VALU_DEP_3)
	v_ashrrev_i16 v16, 1, v16
	v_and_b32_e32 v17, 0xff, v17
	v_cndmask_b32_e64 v14, 1, v15, s3
	v_mul_lo_u16 v15, v15, v15
	s_delay_alu instid0(VALU_DEP_2) | instskip(SKIP_2) | instid1(VALU_DEP_1)
	v_mul_lo_u16 v9, v14, v9
	v_mov_b32_e32 v14, v16
	v_cmp_gt_u16_e64 s3, 3, v17
	s_or_b32 s23, s3, s23
	s_delay_alu instid0(SALU_CYCLE_1)
	s_and_not1_b32 exec_lo, exec_lo, s23
	s_cbranch_execnz .LBB146_76
; %bb.77:                               ;   in Loop: Header=BB146_65 Depth=1
	s_or_b32 exec_lo, exec_lo, s23
.LBB146_78:                             ;   in Loop: Header=BB146_65 Depth=1
	s_delay_alu instid0(SALU_CYCLE_1)
	s_or_b32 exec_lo, exec_lo, s22
                                        ; implicit-def: $vgpr14
.LBB146_79:                             ;   in Loop: Header=BB146_65 Depth=1
	s_and_not1_saveexec_b32 s21, s21
	s_cbranch_execz .LBB146_87
; %bb.80:                               ;   in Loop: Header=BB146_65 Depth=1
	v_and_b32_e32 v15, 0xff, v10
	s_mov_b32 s22, exec_lo
                                        ; implicit-def: $vgpr9
	s_delay_alu instid0(VALU_DEP_1)
	v_cmpx_lt_i16_e32 0xfe, v15
	s_xor_b32 s22, exec_lo, s22
; %bb.81:                               ;   in Loop: Header=BB146_65 Depth=1
	v_and_b32_e32 v9, 1, v14
                                        ; implicit-def: $vgpr15
	s_delay_alu instid0(VALU_DEP_1) | instskip(NEXT) | instid1(VALU_DEP_1)
	v_cmp_eq_u16_e64 s3, 0, v9
	v_cndmask_b32_e64 v9, -1, 1, s3
; %bb.82:                               ;   in Loop: Header=BB146_65 Depth=1
	s_and_not1_saveexec_b32 s22, s22
	s_cbranch_execz .LBB146_86
; %bb.83:                               ;   in Loop: Header=BB146_65 Depth=1
	v_mov_b32_e32 v9, 1
	s_mov_b32 s23, exec_lo
	v_cmpx_ne_u16_e32 1, v15
; %bb.84:                               ;   in Loop: Header=BB146_65 Depth=1
	v_mov_b32_e32 v9, 0
; %bb.85:                               ;   in Loop: Header=BB146_65 Depth=1
	s_or_b32 exec_lo, exec_lo, s23
.LBB146_86:                             ;   in Loop: Header=BB146_65 Depth=1
	s_delay_alu instid0(SALU_CYCLE_1)
	s_or_b32 exec_lo, exec_lo, s22
.LBB146_87:                             ;   in Loop: Header=BB146_65 Depth=1
	s_delay_alu instid0(SALU_CYCLE_1) | instskip(SKIP_3) | instid1(VALU_DEP_2)
	s_or_b32 exec_lo, exec_lo, s21
	v_mul_lo_u16 v12, v12, s20
	v_lshrrev_b32_e32 v14, 8, v10
	s_mov_b32 s21, exec_lo
	v_bfe_i32 v15, v12, 0, 8
                                        ; implicit-def: $vgpr12
	s_delay_alu instid0(VALU_DEP_1)
	v_cmpx_lt_i16_e32 -1, v15
	s_xor_b32 s21, exec_lo, s21
	s_cbranch_execz .LBB146_93
; %bb.88:                               ;   in Loop: Header=BB146_65 Depth=1
	v_mov_b32_e32 v12, 1
	s_mov_b32 s22, exec_lo
	v_cmpx_ne_u16_e32 0, v15
	s_cbranch_execz .LBB146_92
; %bb.89:                               ;   in Loop: Header=BB146_65 Depth=1
	v_mov_b32_e32 v12, 1
	s_mov_b32 s23, 0
	.p2align	6
.LBB146_90:                             ;   Parent Loop BB146_65 Depth=1
                                        ; =>  This Inner Loop Header: Depth=2
	s_delay_alu instid0(VALU_DEP_1) | instskip(SKIP_1) | instid1(VALU_DEP_2)
	v_lshrrev_b16 v16, 7, v15
	v_add_nc_u16 v17, v15, 1
	v_and_b32_e32 v16, 1, v16
	s_delay_alu instid0(VALU_DEP_2) | instskip(NEXT) | instid1(VALU_DEP_2)
	v_and_b32_e32 v17, 0xff, v17
	v_add_nc_u16 v16, v15, v16
	v_and_b32_e32 v15, 1, v15
	s_delay_alu instid0(VALU_DEP_2) | instskip(NEXT) | instid1(VALU_DEP_2)
	v_bfe_i32 v16, v16, 0, 8
	v_cmp_eq_u32_e64 s3, 1, v15
	s_delay_alu instid0(VALU_DEP_2) | instskip(NEXT) | instid1(VALU_DEP_2)
	v_ashrrev_i16 v16, 1, v16
	v_cndmask_b32_e64 v15, 1, v14, s3
	v_cmp_gt_u16_e64 s3, 3, v17
	v_mul_lo_u16 v14, v14, v14
	s_delay_alu instid0(VALU_DEP_3) | instskip(SKIP_1) | instid1(VALU_DEP_4)
	v_mul_lo_u16 v12, v15, v12
	v_mov_b32_e32 v15, v16
	s_or_b32 s23, s3, s23
	s_delay_alu instid0(SALU_CYCLE_1)
	s_and_not1_b32 exec_lo, exec_lo, s23
	s_cbranch_execnz .LBB146_90
; %bb.91:                               ;   in Loop: Header=BB146_65 Depth=1
	s_or_b32 exec_lo, exec_lo, s23
.LBB146_92:                             ;   in Loop: Header=BB146_65 Depth=1
	s_delay_alu instid0(SALU_CYCLE_1)
	s_or_b32 exec_lo, exec_lo, s22
                                        ; implicit-def: $vgpr14
                                        ; implicit-def: $vgpr15
.LBB146_93:                             ;   in Loop: Header=BB146_65 Depth=1
	s_and_not1_saveexec_b32 s21, s21
	s_cbranch_execz .LBB146_101
; %bb.94:                               ;   in Loop: Header=BB146_65 Depth=1
	v_and_b32_e32 v14, 0xff, v14
	s_mov_b32 s22, exec_lo
                                        ; implicit-def: $vgpr12
	s_delay_alu instid0(VALU_DEP_1)
	v_cmpx_lt_i16_e32 0xfe, v14
	s_xor_b32 s22, exec_lo, s22
; %bb.95:                               ;   in Loop: Header=BB146_65 Depth=1
	v_and_b32_e32 v12, 1, v15
                                        ; implicit-def: $vgpr14
	s_delay_alu instid0(VALU_DEP_1) | instskip(NEXT) | instid1(VALU_DEP_1)
	v_cmp_eq_u16_e64 s3, 0, v12
	v_cndmask_b32_e64 v12, -1, 1, s3
; %bb.96:                               ;   in Loop: Header=BB146_65 Depth=1
	s_and_not1_saveexec_b32 s22, s22
	s_cbranch_execz .LBB146_100
; %bb.97:                               ;   in Loop: Header=BB146_65 Depth=1
	v_mov_b32_e32 v12, 1
	s_mov_b32 s23, exec_lo
	v_cmpx_ne_u16_e32 1, v14
; %bb.98:                               ;   in Loop: Header=BB146_65 Depth=1
	v_mov_b32_e32 v12, 0
; %bb.99:                               ;   in Loop: Header=BB146_65 Depth=1
	s_or_b32 exec_lo, exec_lo, s23
.LBB146_100:                            ;   in Loop: Header=BB146_65 Depth=1
	s_delay_alu instid0(SALU_CYCLE_1)
	s_or_b32 exec_lo, exec_lo, s22
.LBB146_101:                            ;   in Loop: Header=BB146_65 Depth=1
	s_delay_alu instid0(SALU_CYCLE_1) | instskip(SKIP_3) | instid1(VALU_DEP_2)
	s_or_b32 exec_lo, exec_lo, s21
	v_mul_lo_u16 v13, v13, s20
	v_lshrrev_b32_e32 v14, 16, v10
	s_mov_b32 s21, exec_lo
	v_bfe_i32 v15, v13, 0, 8
                                        ; implicit-def: $vgpr13
	s_delay_alu instid0(VALU_DEP_1)
	v_cmpx_lt_i16_e32 -1, v15
	s_xor_b32 s21, exec_lo, s21
	s_cbranch_execz .LBB146_107
; %bb.102:                              ;   in Loop: Header=BB146_65 Depth=1
	v_mov_b32_e32 v13, 1
	s_mov_b32 s22, exec_lo
	v_cmpx_ne_u16_e32 0, v15
	s_cbranch_execz .LBB146_106
; %bb.103:                              ;   in Loop: Header=BB146_65 Depth=1
	v_mov_b32_e32 v13, 1
	s_mov_b32 s23, 0
	.p2align	6
.LBB146_104:                            ;   Parent Loop BB146_65 Depth=1
                                        ; =>  This Inner Loop Header: Depth=2
	s_delay_alu instid0(VALU_DEP_1) | instskip(SKIP_1) | instid1(VALU_DEP_2)
	v_lshrrev_b16 v16, 7, v15
	v_add_nc_u16 v17, v15, 1
	v_and_b32_e32 v16, 1, v16
	s_delay_alu instid0(VALU_DEP_2) | instskip(NEXT) | instid1(VALU_DEP_2)
	v_and_b32_e32 v17, 0xff, v17
	v_add_nc_u16 v16, v15, v16
	v_and_b32_e32 v15, 1, v15
	s_delay_alu instid0(VALU_DEP_2) | instskip(NEXT) | instid1(VALU_DEP_2)
	v_bfe_i32 v16, v16, 0, 8
	v_cmp_eq_u32_e64 s3, 1, v15
	s_delay_alu instid0(VALU_DEP_2) | instskip(NEXT) | instid1(VALU_DEP_2)
	v_ashrrev_i16 v16, 1, v16
	v_cndmask_b32_e64 v15, 1, v14, s3
	v_cmp_gt_u16_e64 s3, 3, v17
	v_mul_lo_u16 v14, v14, v14
	s_delay_alu instid0(VALU_DEP_3) | instskip(SKIP_1) | instid1(VALU_DEP_4)
	v_mul_lo_u16 v13, v15, v13
	v_mov_b32_e32 v15, v16
	s_or_b32 s23, s3, s23
	s_delay_alu instid0(SALU_CYCLE_1)
	s_and_not1_b32 exec_lo, exec_lo, s23
	s_cbranch_execnz .LBB146_104
; %bb.105:                              ;   in Loop: Header=BB146_65 Depth=1
	s_or_b32 exec_lo, exec_lo, s23
.LBB146_106:                            ;   in Loop: Header=BB146_65 Depth=1
	s_delay_alu instid0(SALU_CYCLE_1)
	s_or_b32 exec_lo, exec_lo, s22
                                        ; implicit-def: $vgpr14
                                        ; implicit-def: $vgpr15
.LBB146_107:                            ;   in Loop: Header=BB146_65 Depth=1
	s_and_not1_saveexec_b32 s21, s21
	s_cbranch_execz .LBB146_115
; %bb.108:                              ;   in Loop: Header=BB146_65 Depth=1
	v_and_b32_e32 v14, 0xff, v14
	s_mov_b32 s22, exec_lo
                                        ; implicit-def: $vgpr13
	s_delay_alu instid0(VALU_DEP_1)
	v_cmpx_lt_i16_e32 0xfe, v14
	s_xor_b32 s22, exec_lo, s22
; %bb.109:                              ;   in Loop: Header=BB146_65 Depth=1
	v_and_b32_e32 v13, 1, v15
                                        ; implicit-def: $vgpr14
	s_delay_alu instid0(VALU_DEP_1) | instskip(NEXT) | instid1(VALU_DEP_1)
	v_cmp_eq_u16_e64 s3, 0, v13
	v_cndmask_b32_e64 v13, -1, 1, s3
; %bb.110:                              ;   in Loop: Header=BB146_65 Depth=1
	s_and_not1_saveexec_b32 s22, s22
	s_cbranch_execz .LBB146_114
; %bb.111:                              ;   in Loop: Header=BB146_65 Depth=1
	v_mov_b32_e32 v13, 1
	s_mov_b32 s23, exec_lo
	v_cmpx_ne_u16_e32 1, v14
; %bb.112:                              ;   in Loop: Header=BB146_65 Depth=1
	v_mov_b32_e32 v13, 0
; %bb.113:                              ;   in Loop: Header=BB146_65 Depth=1
	s_or_b32 exec_lo, exec_lo, s23
.LBB146_114:                            ;   in Loop: Header=BB146_65 Depth=1
	s_delay_alu instid0(SALU_CYCLE_1)
	s_or_b32 exec_lo, exec_lo, s22
.LBB146_115:                            ;   in Loop: Header=BB146_65 Depth=1
	s_delay_alu instid0(SALU_CYCLE_1) | instskip(SKIP_2) | instid1(VALU_DEP_1)
	s_or_b32 exec_lo, exec_lo, s21
	v_mul_lo_u16 v11, v11, s20
	s_mov_b32 s21, exec_lo
	v_bfe_i32 v14, v11, 0, 8
	v_lshrrev_b32_e32 v11, 24, v10
                                        ; implicit-def: $vgpr10
	s_delay_alu instid0(VALU_DEP_2)
	v_cmpx_lt_i16_e32 -1, v14
	s_xor_b32 s21, exec_lo, s21
	s_cbranch_execnz .LBB146_121
; %bb.116:                              ;   in Loop: Header=BB146_65 Depth=1
	s_and_not1_saveexec_b32 s21, s21
	s_cbranch_execnz .LBB146_126
.LBB146_117:                            ;   in Loop: Header=BB146_65 Depth=1
	s_or_b32 exec_lo, exec_lo, s21
	s_and_saveexec_b32 s3, vcc_lo
	s_delay_alu instid0(SALU_CYCLE_1)
	s_xor_b32 s3, exec_lo, s3
	s_cbranch_execnz .LBB146_133
.LBB146_118:                            ;   in Loop: Header=BB146_65 Depth=1
	s_or_b32 exec_lo, exec_lo, s3
	s_and_saveexec_b32 s3, s0
	s_cbranch_execnz .LBB146_134
.LBB146_119:                            ;   in Loop: Header=BB146_65 Depth=1
	s_or_b32 exec_lo, exec_lo, s3
	s_and_saveexec_b32 s0, s1
	s_cbranch_execnz .LBB146_135
.LBB146_120:                            ;   in Loop: Header=BB146_65 Depth=1
	s_or_b32 exec_lo, exec_lo, s0
	s_and_saveexec_b32 s0, s2
	s_cbranch_execz .LBB146_64
	s_branch .LBB146_136
.LBB146_121:                            ;   in Loop: Header=BB146_65 Depth=1
	v_mov_b32_e32 v10, 1
	s_mov_b32 s22, exec_lo
	v_cmpx_ne_u16_e32 0, v14
	s_cbranch_execz .LBB146_125
; %bb.122:                              ;   in Loop: Header=BB146_65 Depth=1
	v_mov_b32_e32 v10, 1
	s_mov_b32 s23, 0
	.p2align	6
.LBB146_123:                            ;   Parent Loop BB146_65 Depth=1
                                        ; =>  This Inner Loop Header: Depth=2
	s_delay_alu instid0(VALU_DEP_1) | instskip(SKIP_1) | instid1(VALU_DEP_2)
	v_lshrrev_b16 v15, 7, v14
	v_add_nc_u16 v16, v14, 1
	v_and_b32_e32 v15, 1, v15
	s_delay_alu instid0(VALU_DEP_2) | instskip(NEXT) | instid1(VALU_DEP_2)
	v_and_b32_e32 v16, 0xff, v16
	v_add_nc_u16 v15, v14, v15
	v_and_b32_e32 v14, 1, v14
	s_delay_alu instid0(VALU_DEP_2) | instskip(NEXT) | instid1(VALU_DEP_2)
	v_bfe_i32 v15, v15, 0, 8
	v_cmp_eq_u32_e64 s3, 1, v14
	s_delay_alu instid0(VALU_DEP_2) | instskip(NEXT) | instid1(VALU_DEP_2)
	v_ashrrev_i16 v15, 1, v15
	v_cndmask_b32_e64 v14, 1, v11, s3
	v_cmp_gt_u16_e64 s3, 3, v16
	v_mul_lo_u16 v11, v11, v11
	s_delay_alu instid0(VALU_DEP_3) | instskip(SKIP_1) | instid1(VALU_DEP_4)
	v_mul_lo_u16 v10, v14, v10
	v_mov_b32_e32 v14, v15
	s_or_b32 s23, s3, s23
	s_delay_alu instid0(SALU_CYCLE_1)
	s_and_not1_b32 exec_lo, exec_lo, s23
	s_cbranch_execnz .LBB146_123
; %bb.124:                              ;   in Loop: Header=BB146_65 Depth=1
	s_or_b32 exec_lo, exec_lo, s23
.LBB146_125:                            ;   in Loop: Header=BB146_65 Depth=1
	s_delay_alu instid0(SALU_CYCLE_1)
	s_or_b32 exec_lo, exec_lo, s22
                                        ; implicit-def: $vgpr11
                                        ; implicit-def: $vgpr14
	s_and_not1_saveexec_b32 s21, s21
	s_cbranch_execz .LBB146_117
.LBB146_126:                            ;   in Loop: Header=BB146_65 Depth=1
	s_mov_b32 s22, exec_lo
                                        ; implicit-def: $vgpr10
	v_cmpx_lt_i16_e32 0xfe, v11
	s_xor_b32 s22, exec_lo, s22
; %bb.127:                              ;   in Loop: Header=BB146_65 Depth=1
	v_and_b32_e32 v10, 1, v14
                                        ; implicit-def: $vgpr11
	s_delay_alu instid0(VALU_DEP_1) | instskip(NEXT) | instid1(VALU_DEP_1)
	v_cmp_eq_u16_e64 s3, 0, v10
	v_cndmask_b32_e64 v10, -1, 1, s3
; %bb.128:                              ;   in Loop: Header=BB146_65 Depth=1
	s_and_not1_saveexec_b32 s22, s22
	s_cbranch_execz .LBB146_132
; %bb.129:                              ;   in Loop: Header=BB146_65 Depth=1
	v_mov_b32_e32 v10, 1
	s_mov_b32 s23, exec_lo
	v_cmpx_ne_u16_e32 1, v11
; %bb.130:                              ;   in Loop: Header=BB146_65 Depth=1
	v_mov_b32_e32 v10, 0
; %bb.131:                              ;   in Loop: Header=BB146_65 Depth=1
	s_or_b32 exec_lo, exec_lo, s23
.LBB146_132:                            ;   in Loop: Header=BB146_65 Depth=1
	s_delay_alu instid0(SALU_CYCLE_1) | instskip(NEXT) | instid1(SALU_CYCLE_1)
	s_or_b32 exec_lo, exec_lo, s22
	s_or_b32 exec_lo, exec_lo, s21
	s_and_saveexec_b32 s3, vcc_lo
	s_delay_alu instid0(SALU_CYCLE_1)
	s_xor_b32 s3, exec_lo, s3
	s_cbranch_execz .LBB146_118
.LBB146_133:                            ;   in Loop: Header=BB146_65 Depth=1
	v_add_co_u32 v1, vcc_lo, s14, v1
	v_add_co_ci_u32_e32 v2, vcc_lo, s15, v2, vcc_lo
	global_store_b8 v[1:2], v9, off
	s_or_b32 exec_lo, exec_lo, s3
	s_and_saveexec_b32 s3, s0
	s_cbranch_execz .LBB146_119
.LBB146_134:                            ;   in Loop: Header=BB146_65 Depth=1
	v_add_co_u32 v1, vcc_lo, s14, v3
	v_add_co_ci_u32_e32 v2, vcc_lo, s15, v4, vcc_lo
	global_store_b8 v[1:2], v12, off
	s_or_b32 exec_lo, exec_lo, s3
	s_and_saveexec_b32 s0, s1
	s_cbranch_execz .LBB146_120
.LBB146_135:                            ;   in Loop: Header=BB146_65 Depth=1
	v_add_co_u32 v1, vcc_lo, s14, v5
	v_add_co_ci_u32_e32 v2, vcc_lo, s15, v6, vcc_lo
	global_store_b8 v[1:2], v13, off
	s_or_b32 exec_lo, exec_lo, s0
	s_and_saveexec_b32 s0, s2
	s_cbranch_execz .LBB146_64
.LBB146_136:                            ;   in Loop: Header=BB146_65 Depth=1
	v_add_co_u32 v1, vcc_lo, s14, v7
	v_add_co_ci_u32_e32 v2, vcc_lo, s15, v8, vcc_lo
	global_store_b8 v[1:2], v10, off
	s_branch .LBB146_64
.LBB146_137:
	s_nop 0
	s_sendmsg sendmsg(MSG_DEALLOC_VGPRS)
	s_endpgm
	.section	.rodata,"a",@progbits
	.p2align	6, 0x0
	.amdhsa_kernel _ZN2at6native12_GLOBAL__N_125multi_tensor_apply_kernelINS1_18TensorListMetadataILi3EEENS1_24BinaryOpListAlphaFunctorIaLi3ELi2ELi2EEEJNS1_13power_functorIaEEaEEEvT_T0_DpT1_
		.amdhsa_group_segment_fixed_size 0
		.amdhsa_private_segment_fixed_size 0
		.amdhsa_kernarg_size 3408
		.amdhsa_user_sgpr_count 15
		.amdhsa_user_sgpr_dispatch_ptr 0
		.amdhsa_user_sgpr_queue_ptr 0
		.amdhsa_user_sgpr_kernarg_segment_ptr 1
		.amdhsa_user_sgpr_dispatch_id 0
		.amdhsa_user_sgpr_private_segment_size 0
		.amdhsa_wavefront_size32 1
		.amdhsa_uses_dynamic_stack 0
		.amdhsa_enable_private_segment 0
		.amdhsa_system_sgpr_workgroup_id_x 1
		.amdhsa_system_sgpr_workgroup_id_y 0
		.amdhsa_system_sgpr_workgroup_id_z 0
		.amdhsa_system_sgpr_workgroup_info 0
		.amdhsa_system_vgpr_workitem_id 0
		.amdhsa_next_free_vgpr 18
		.amdhsa_next_free_sgpr 24
		.amdhsa_reserve_vcc 1
		.amdhsa_float_round_mode_32 0
		.amdhsa_float_round_mode_16_64 0
		.amdhsa_float_denorm_mode_32 3
		.amdhsa_float_denorm_mode_16_64 3
		.amdhsa_dx10_clamp 1
		.amdhsa_ieee_mode 1
		.amdhsa_fp16_overflow 0
		.amdhsa_workgroup_processor_mode 1
		.amdhsa_memory_ordered 1
		.amdhsa_forward_progress 0
		.amdhsa_shared_vgpr_count 0
		.amdhsa_exception_fp_ieee_invalid_op 0
		.amdhsa_exception_fp_denorm_src 0
		.amdhsa_exception_fp_ieee_div_zero 0
		.amdhsa_exception_fp_ieee_overflow 0
		.amdhsa_exception_fp_ieee_underflow 0
		.amdhsa_exception_fp_ieee_inexact 0
		.amdhsa_exception_int_div_zero 0
	.end_amdhsa_kernel
	.section	.text._ZN2at6native12_GLOBAL__N_125multi_tensor_apply_kernelINS1_18TensorListMetadataILi3EEENS1_24BinaryOpListAlphaFunctorIaLi3ELi2ELi2EEEJNS1_13power_functorIaEEaEEEvT_T0_DpT1_,"axG",@progbits,_ZN2at6native12_GLOBAL__N_125multi_tensor_apply_kernelINS1_18TensorListMetadataILi3EEENS1_24BinaryOpListAlphaFunctorIaLi3ELi2ELi2EEEJNS1_13power_functorIaEEaEEEvT_T0_DpT1_,comdat
.Lfunc_end146:
	.size	_ZN2at6native12_GLOBAL__N_125multi_tensor_apply_kernelINS1_18TensorListMetadataILi3EEENS1_24BinaryOpListAlphaFunctorIaLi3ELi2ELi2EEEJNS1_13power_functorIaEEaEEEvT_T0_DpT1_, .Lfunc_end146-_ZN2at6native12_GLOBAL__N_125multi_tensor_apply_kernelINS1_18TensorListMetadataILi3EEENS1_24BinaryOpListAlphaFunctorIaLi3ELi2ELi2EEEJNS1_13power_functorIaEEaEEEvT_T0_DpT1_
                                        ; -- End function
	.section	.AMDGPU.csdata,"",@progbits
; Kernel info:
; codeLenInByte = 3748
; NumSgprs: 26
; NumVgprs: 18
; ScratchSize: 0
; MemoryBound: 0
; FloatMode: 240
; IeeeMode: 1
; LDSByteSize: 0 bytes/workgroup (compile time only)
; SGPRBlocks: 3
; VGPRBlocks: 2
; NumSGPRsForWavesPerEU: 26
; NumVGPRsForWavesPerEU: 18
; Occupancy: 16
; WaveLimiterHint : 0
; COMPUTE_PGM_RSRC2:SCRATCH_EN: 0
; COMPUTE_PGM_RSRC2:USER_SGPR: 15
; COMPUTE_PGM_RSRC2:TRAP_HANDLER: 0
; COMPUTE_PGM_RSRC2:TGID_X_EN: 1
; COMPUTE_PGM_RSRC2:TGID_Y_EN: 0
; COMPUTE_PGM_RSRC2:TGID_Z_EN: 0
; COMPUTE_PGM_RSRC2:TIDIG_COMP_CNT: 0
	.section	.text._ZN2at6native12_GLOBAL__N_125multi_tensor_apply_kernelINS1_18TensorListMetadataILi3EEENS1_24BinaryOpListAlphaFunctorIiLi3ELi2ELi2EEEJNS1_13power_functorIiEEiEEEvT_T0_DpT1_,"axG",@progbits,_ZN2at6native12_GLOBAL__N_125multi_tensor_apply_kernelINS1_18TensorListMetadataILi3EEENS1_24BinaryOpListAlphaFunctorIiLi3ELi2ELi2EEEJNS1_13power_functorIiEEiEEEvT_T0_DpT1_,comdat
	.globl	_ZN2at6native12_GLOBAL__N_125multi_tensor_apply_kernelINS1_18TensorListMetadataILi3EEENS1_24BinaryOpListAlphaFunctorIiLi3ELi2ELi2EEEJNS1_13power_functorIiEEiEEEvT_T0_DpT1_ ; -- Begin function _ZN2at6native12_GLOBAL__N_125multi_tensor_apply_kernelINS1_18TensorListMetadataILi3EEENS1_24BinaryOpListAlphaFunctorIiLi3ELi2ELi2EEEJNS1_13power_functorIiEEiEEEvT_T0_DpT1_
	.p2align	8
	.type	_ZN2at6native12_GLOBAL__N_125multi_tensor_apply_kernelINS1_18TensorListMetadataILi3EEENS1_24BinaryOpListAlphaFunctorIiLi3ELi2ELi2EEEJNS1_13power_functorIiEEiEEEvT_T0_DpT1_,@function
_ZN2at6native12_GLOBAL__N_125multi_tensor_apply_kernelINS1_18TensorListMetadataILi3EEENS1_24BinaryOpListAlphaFunctorIiLi3ELi2ELi2EEEJNS1_13power_functorIiEEiEEEvT_T0_DpT1_: ; @_ZN2at6native12_GLOBAL__N_125multi_tensor_apply_kernelINS1_18TensorListMetadataILi3EEENS1_24BinaryOpListAlphaFunctorIiLi3ELi2ELi2EEEJNS1_13power_functorIiEEiEEEvT_T0_DpT1_
; %bb.0:
	v_mov_b32_e32 v1, s15
	s_add_u32 s2, s0, s15
	s_mul_hi_u32 s3, s15, 3
	s_mul_i32 s15, s15, 3
	s_addc_u32 s4, s1, 0
	global_load_u8 v1, v1, s[0:1] offset:1536
	s_add_u32 s2, s2, s15
	s_addc_u32 s3, s4, s3
	s_mov_b32 s19, 0
	s_load_b32 s2, s[2:3], 0x740
	s_waitcnt vmcnt(0)
	v_readfirstlane_b32 s3, v1
	s_delay_alu instid0(VALU_DEP_1)
	s_lshl_b32 s3, s3, 3
	s_clause 0x3
	s_load_b64 s[4:5], s[0:1], s3 offset:0x0
	s_load_b64 s[6:7], s[0:1], s3 offset:0x180
	;; [unrolled: 1-line block ×4, first 2 shown]
	s_waitcnt lgkmcnt(0)
	s_ashr_i32 s3, s2, 31
	s_delay_alu instid0(SALU_CYCLE_1) | instskip(NEXT) | instid1(SALU_CYCLE_1)
	s_lshl_b64 s[14:15], s[2:3], 18
	s_add_u32 s10, s4, s14
	s_addc_u32 s11, s5, s15
	s_and_b32 s18, s10, 15
	s_add_u32 s12, s6, s14
	s_addc_u32 s13, s7, s15
	s_add_u32 s14, s8, s14
	s_addc_u32 s15, s9, s15
	s_or_b32 s4, s14, s12
	s_mov_b32 s7, s19
	s_and_b32 s4, s4, 15
	s_delay_alu instid0(SALU_CYCLE_1) | instskip(SKIP_2) | instid1(SALU_CYCLE_1)
	s_cmp_lg_u32 s4, 0
	s_cselect_b32 s8, -1, 0
	s_lshl_b64 s[2:3], s[2:3], 16
	s_sub_u32 s4, s16, s2
	s_subb_u32 s5, s17, s3
	s_and_b32 s6, s16, 3
	s_load_b32 s16, s[0:1], 0xc4c
	s_or_b64 s[2:3], s[18:19], s[6:7]
	s_delay_alu instid0(SALU_CYCLE_1) | instskip(SKIP_1) | instid1(SALU_CYCLE_1)
	s_cmp_lg_u64 s[2:3], 0
	s_cselect_b32 s2, -1, 0
	s_or_b32 s2, s8, s2
	s_delay_alu instid0(SALU_CYCLE_1)
	s_and_not1_b32 vcc_lo, exec_lo, s2
	s_mov_b32 s2, -1
	s_cbranch_vccz .LBB147_69
; %bb.1:
	v_dual_mov_b32 v2, 0 :: v_dual_lshlrev_b32 v1, 2, v0
	s_mov_b32 s3, exec_lo
	s_delay_alu instid0(VALU_DEP_1)
	v_cmpx_gt_i64_e64 s[4:5], v[1:2]
	s_cbranch_execz .LBB147_68
; %bb.2:
	s_load_b32 s2, s[0:1], 0xc5c
	v_mov_b32_e32 v1, v2
	s_mov_b32 s7, 0
	s_delay_alu instid0(VALU_DEP_1)
	v_dual_mov_b32 v10, v1 :: v_dual_mov_b32 v9, v0
	s_waitcnt lgkmcnt(0)
	s_and_b32 s6, s2, 0xffff
	s_branch .LBB147_5
.LBB147_3:                              ;   in Loop: Header=BB147_5 Depth=1
	s_or_b32 exec_lo, exec_lo, s9
	s_delay_alu instid0(VALU_DEP_1)
	v_mov_b32_e32 v8, v4
.LBB147_4:                              ;   in Loop: Header=BB147_5 Depth=1
	s_or_b32 exec_lo, exec_lo, s2
	v_add_co_u32 v9, vcc_lo, v9, s6
	v_add_co_ci_u32_e32 v10, vcc_lo, 0, v10, vcc_lo
	s_delay_alu instid0(VALU_DEP_1) | instskip(NEXT) | instid1(VALU_DEP_1)
	v_lshlrev_b64 v[1:2], 2, v[9:10]
	v_cmp_le_i64_e32 vcc_lo, s[4:5], v[1:2]
	v_cmp_lt_u64_e64 s2, 0xffff, v[1:2]
	s_delay_alu instid0(VALU_DEP_1) | instskip(SKIP_3) | instid1(SALU_CYCLE_1)
	s_or_b32 s2, vcc_lo, s2
	v_add_co_u32 v1, vcc_lo, s14, v11
	v_add_co_ci_u32_e32 v2, vcc_lo, s15, v12, vcc_lo
	s_and_b32 s2, exec_lo, s2
	s_or_b32 s7, s2, s7
	global_store_b128 v[1:2], v[5:8], off
	s_and_not1_b32 exec_lo, exec_lo, s7
	s_cbranch_execz .LBB147_68
.LBB147_5:                              ; =>This Loop Header: Depth=1
                                        ;     Child Loop BB147_8 Depth 2
                                        ;     Child Loop BB147_21 Depth 2
	;; [unrolled: 1-line block ×4, first 2 shown]
	s_delay_alu instid0(VALU_DEP_1) | instskip(SKIP_1) | instid1(VALU_DEP_1)
	v_lshlrev_b64 v[11:12], 4, v[9:10]
	s_mov_b32 s2, exec_lo
	v_add_co_u32 v1, vcc_lo, s12, v11
	s_delay_alu instid0(VALU_DEP_2)
	v_add_co_ci_u32_e32 v2, vcc_lo, s13, v12, vcc_lo
	global_load_b128 v[5:8], v[1:2], off
	v_add_co_u32 v1, vcc_lo, s10, v11
	v_add_co_ci_u32_e32 v2, vcc_lo, s11, v12, vcc_lo
	global_load_b128 v[1:4], v[1:2], off
	s_waitcnt vmcnt(1)
	v_mul_lo_u32 v13, v5, s16
                                        ; implicit-def: $vgpr5
	s_delay_alu instid0(VALU_DEP_1)
	v_cmpx_lt_i32_e32 -1, v13
	s_xor_b32 s2, exec_lo, s2
	s_cbranch_execz .LBB147_11
; %bb.6:                                ;   in Loop: Header=BB147_5 Depth=1
	v_mov_b32_e32 v5, 1
	s_mov_b32 s8, exec_lo
	v_cmpx_ne_u32_e32 0, v13
	s_cbranch_execz .LBB147_10
; %bb.7:                                ;   in Loop: Header=BB147_5 Depth=1
	s_waitcnt vmcnt(0)
	v_dual_mov_b32 v5, 1 :: v_dual_mov_b32 v14, v1
	s_mov_b32 s9, 0
.LBB147_8:                              ;   Parent Loop BB147_5 Depth=1
                                        ; =>  This Inner Loop Header: Depth=2
	v_and_b32_e32 v15, 1, v13
	v_lshrrev_b32_e32 v16, 1, v13
	s_delay_alu instid0(VALU_DEP_2) | instskip(SKIP_4) | instid1(VALU_DEP_4)
	v_cmp_eq_u32_e32 vcc_lo, 1, v15
	v_cndmask_b32_e32 v15, 1, v14, vcc_lo
	v_mul_lo_u32 v14, v14, v14
	v_cmp_gt_u32_e32 vcc_lo, 2, v13
	v_mov_b32_e32 v13, v16
	v_mul_lo_u32 v5, v15, v5
	s_or_b32 s9, vcc_lo, s9
	s_delay_alu instid0(SALU_CYCLE_1)
	s_and_not1_b32 exec_lo, exec_lo, s9
	s_cbranch_execnz .LBB147_8
; %bb.9:                                ;   in Loop: Header=BB147_5 Depth=1
	s_or_b32 exec_lo, exec_lo, s9
.LBB147_10:                             ;   in Loop: Header=BB147_5 Depth=1
	s_delay_alu instid0(SALU_CYCLE_1)
	s_or_b32 exec_lo, exec_lo, s8
                                        ; implicit-def: $vgpr13
.LBB147_11:                             ;   in Loop: Header=BB147_5 Depth=1
	s_and_not1_saveexec_b32 s2, s2
	s_cbranch_execz .LBB147_18
; %bb.12:                               ;   in Loop: Header=BB147_5 Depth=1
	s_mov_b32 s8, 0
	s_mov_b32 s9, 0
	s_mov_b32 s17, exec_lo
	s_waitcnt vmcnt(0)
	v_cmpx_lt_i32_e32 0, v1
	s_xor_b32 s17, exec_lo, s17
	s_cbranch_execnz .LBB147_55
; %bb.13:                               ;   in Loop: Header=BB147_5 Depth=1
	s_and_not1_saveexec_b32 s17, s17
	s_cbranch_execnz .LBB147_56
.LBB147_14:                             ;   in Loop: Header=BB147_5 Depth=1
	s_or_b32 exec_lo, exec_lo, s17
	s_and_saveexec_b32 s17, s9
	s_delay_alu instid0(SALU_CYCLE_1)
	s_xor_b32 s9, exec_lo, s17
	s_cbranch_execnz .LBB147_57
.LBB147_15:                             ;   in Loop: Header=BB147_5 Depth=1
	s_or_b32 exec_lo, exec_lo, s9
	s_and_saveexec_b32 s9, s8
.LBB147_16:                             ;   in Loop: Header=BB147_5 Depth=1
	v_and_b32_e32 v1, 1, v13
	s_delay_alu instid0(VALU_DEP_1)
	v_cmp_eq_u32_e32 vcc_lo, 0, v1
	v_cndmask_b32_e64 v1, -1, 1, vcc_lo
.LBB147_17:                             ;   in Loop: Header=BB147_5 Depth=1
	s_or_b32 exec_lo, exec_lo, s9
	s_delay_alu instid0(VALU_DEP_1)
	v_mov_b32_e32 v5, v1
.LBB147_18:                             ;   in Loop: Header=BB147_5 Depth=1
	s_or_b32 exec_lo, exec_lo, s2
	s_waitcnt vmcnt(0)
	v_mul_lo_u32 v1, v6, s16
	s_mov_b32 s2, exec_lo
	s_delay_alu instid0(VALU_DEP_1)
	v_cmpx_lt_i32_e32 -1, v1
	s_xor_b32 s2, exec_lo, s2
	s_cbranch_execz .LBB147_24
; %bb.19:                               ;   in Loop: Header=BB147_5 Depth=1
	v_mov_b32_e32 v6, 1
	s_mov_b32 s8, exec_lo
	v_cmpx_ne_u32_e32 0, v1
	s_cbranch_execz .LBB147_23
; %bb.20:                               ;   in Loop: Header=BB147_5 Depth=1
	v_dual_mov_b32 v6, 1 :: v_dual_mov_b32 v13, v2
	s_mov_b32 s9, 0
.LBB147_21:                             ;   Parent Loop BB147_5 Depth=1
                                        ; =>  This Inner Loop Header: Depth=2
	v_lshrrev_b32_e32 v15, 1, v1
	v_and_b32_e32 v14, 1, v1
	s_delay_alu instid0(VALU_DEP_1) | instskip(SKIP_4) | instid1(VALU_DEP_4)
	v_cmp_eq_u32_e32 vcc_lo, 1, v14
	v_cndmask_b32_e32 v14, 1, v13, vcc_lo
	v_mul_lo_u32 v13, v13, v13
	v_cmp_gt_u32_e32 vcc_lo, 2, v1
	v_mov_b32_e32 v1, v15
	v_mul_lo_u32 v6, v14, v6
	s_or_b32 s9, vcc_lo, s9
	s_delay_alu instid0(SALU_CYCLE_1)
	s_and_not1_b32 exec_lo, exec_lo, s9
	s_cbranch_execnz .LBB147_21
; %bb.22:                               ;   in Loop: Header=BB147_5 Depth=1
	s_or_b32 exec_lo, exec_lo, s9
.LBB147_23:                             ;   in Loop: Header=BB147_5 Depth=1
	s_delay_alu instid0(SALU_CYCLE_1)
	s_or_b32 exec_lo, exec_lo, s8
                                        ; implicit-def: $vgpr1
.LBB147_24:                             ;   in Loop: Header=BB147_5 Depth=1
	s_and_not1_saveexec_b32 s2, s2
	s_cbranch_execz .LBB147_31
; %bb.25:                               ;   in Loop: Header=BB147_5 Depth=1
	s_mov_b32 s8, 0
	s_mov_b32 s9, 0
	s_mov_b32 s17, exec_lo
	v_cmpx_lt_i32_e32 0, v2
	s_xor_b32 s17, exec_lo, s17
	s_cbranch_execnz .LBB147_58
; %bb.26:                               ;   in Loop: Header=BB147_5 Depth=1
	s_and_not1_saveexec_b32 s17, s17
	s_cbranch_execnz .LBB147_59
.LBB147_27:                             ;   in Loop: Header=BB147_5 Depth=1
	s_or_b32 exec_lo, exec_lo, s17
	s_and_saveexec_b32 s17, s9
	s_delay_alu instid0(SALU_CYCLE_1)
	s_xor_b32 s9, exec_lo, s17
	s_cbranch_execnz .LBB147_60
.LBB147_28:                             ;   in Loop: Header=BB147_5 Depth=1
	s_or_b32 exec_lo, exec_lo, s9
	s_and_saveexec_b32 s9, s8
.LBB147_29:                             ;   in Loop: Header=BB147_5 Depth=1
	v_and_b32_e32 v1, 1, v1
	s_delay_alu instid0(VALU_DEP_1)
	v_cmp_eq_u32_e32 vcc_lo, 0, v1
	v_cndmask_b32_e64 v2, -1, 1, vcc_lo
.LBB147_30:                             ;   in Loop: Header=BB147_5 Depth=1
	s_or_b32 exec_lo, exec_lo, s9
	s_delay_alu instid0(VALU_DEP_1)
	v_mov_b32_e32 v6, v2
.LBB147_31:                             ;   in Loop: Header=BB147_5 Depth=1
	s_or_b32 exec_lo, exec_lo, s2
	v_mul_lo_u32 v1, v7, s16
	s_mov_b32 s2, exec_lo
	s_delay_alu instid0(VALU_DEP_1)
	v_cmpx_lt_i32_e32 -1, v1
	s_xor_b32 s2, exec_lo, s2
	s_cbranch_execz .LBB147_37
; %bb.32:                               ;   in Loop: Header=BB147_5 Depth=1
	v_mov_b32_e32 v7, 1
	s_mov_b32 s8, exec_lo
	v_cmpx_ne_u32_e32 0, v1
	s_cbranch_execz .LBB147_36
; %bb.33:                               ;   in Loop: Header=BB147_5 Depth=1
	v_dual_mov_b32 v7, 1 :: v_dual_mov_b32 v2, v3
	s_mov_b32 s9, 0
.LBB147_34:                             ;   Parent Loop BB147_5 Depth=1
                                        ; =>  This Inner Loop Header: Depth=2
	v_and_b32_e32 v13, 1, v1
	v_lshrrev_b32_e32 v14, 1, v1
	s_delay_alu instid0(VALU_DEP_2) | instskip(SKIP_4) | instid1(VALU_DEP_4)
	v_cmp_eq_u32_e32 vcc_lo, 1, v13
	v_cndmask_b32_e32 v13, 1, v2, vcc_lo
	v_mul_lo_u32 v2, v2, v2
	v_cmp_gt_u32_e32 vcc_lo, 2, v1
	v_mov_b32_e32 v1, v14
	v_mul_lo_u32 v7, v13, v7
	s_or_b32 s9, vcc_lo, s9
	s_delay_alu instid0(SALU_CYCLE_1)
	s_and_not1_b32 exec_lo, exec_lo, s9
	s_cbranch_execnz .LBB147_34
; %bb.35:                               ;   in Loop: Header=BB147_5 Depth=1
	s_or_b32 exec_lo, exec_lo, s9
.LBB147_36:                             ;   in Loop: Header=BB147_5 Depth=1
	s_delay_alu instid0(SALU_CYCLE_1)
	s_or_b32 exec_lo, exec_lo, s8
                                        ; implicit-def: $vgpr1
.LBB147_37:                             ;   in Loop: Header=BB147_5 Depth=1
	s_and_not1_saveexec_b32 s2, s2
	s_cbranch_execz .LBB147_44
; %bb.38:                               ;   in Loop: Header=BB147_5 Depth=1
	s_mov_b32 s8, 0
	s_mov_b32 s9, 0
	s_mov_b32 s17, exec_lo
	v_cmpx_lt_i32_e32 0, v3
	s_xor_b32 s17, exec_lo, s17
	s_cbranch_execnz .LBB147_61
; %bb.39:                               ;   in Loop: Header=BB147_5 Depth=1
	s_and_not1_saveexec_b32 s17, s17
	s_cbranch_execnz .LBB147_62
.LBB147_40:                             ;   in Loop: Header=BB147_5 Depth=1
	s_or_b32 exec_lo, exec_lo, s17
	s_and_saveexec_b32 s17, s9
	s_delay_alu instid0(SALU_CYCLE_1)
	s_xor_b32 s9, exec_lo, s17
	s_cbranch_execnz .LBB147_63
.LBB147_41:                             ;   in Loop: Header=BB147_5 Depth=1
	s_or_b32 exec_lo, exec_lo, s9
	s_and_saveexec_b32 s9, s8
.LBB147_42:                             ;   in Loop: Header=BB147_5 Depth=1
	v_and_b32_e32 v1, 1, v1
	s_delay_alu instid0(VALU_DEP_1)
	v_cmp_eq_u32_e32 vcc_lo, 0, v1
	v_cndmask_b32_e64 v3, -1, 1, vcc_lo
.LBB147_43:                             ;   in Loop: Header=BB147_5 Depth=1
	s_or_b32 exec_lo, exec_lo, s9
	s_delay_alu instid0(VALU_DEP_1)
	v_mov_b32_e32 v7, v3
.LBB147_44:                             ;   in Loop: Header=BB147_5 Depth=1
	s_or_b32 exec_lo, exec_lo, s2
	v_mul_lo_u32 v1, v8, s16
	s_mov_b32 s2, exec_lo
	s_delay_alu instid0(VALU_DEP_1)
	v_cmpx_lt_i32_e32 -1, v1
	s_xor_b32 s2, exec_lo, s2
	s_cbranch_execz .LBB147_50
; %bb.45:                               ;   in Loop: Header=BB147_5 Depth=1
	v_mov_b32_e32 v8, 1
	s_mov_b32 s8, exec_lo
	v_cmpx_ne_u32_e32 0, v1
	s_cbranch_execz .LBB147_49
; %bb.46:                               ;   in Loop: Header=BB147_5 Depth=1
	v_mov_b32_e32 v8, 1
	s_mov_b32 s9, 0
.LBB147_47:                             ;   Parent Loop BB147_5 Depth=1
                                        ; =>  This Inner Loop Header: Depth=2
	v_lshrrev_b32_e32 v3, 1, v1
	v_and_b32_e32 v2, 1, v1
	s_delay_alu instid0(VALU_DEP_1) | instskip(SKIP_4) | instid1(VALU_DEP_4)
	v_cmp_eq_u32_e32 vcc_lo, 1, v2
	v_cndmask_b32_e32 v2, 1, v4, vcc_lo
	v_mul_lo_u32 v4, v4, v4
	v_cmp_gt_u32_e32 vcc_lo, 2, v1
	v_mov_b32_e32 v1, v3
	v_mul_lo_u32 v8, v2, v8
	s_or_b32 s9, vcc_lo, s9
	s_delay_alu instid0(SALU_CYCLE_1)
	s_and_not1_b32 exec_lo, exec_lo, s9
	s_cbranch_execnz .LBB147_47
; %bb.48:                               ;   in Loop: Header=BB147_5 Depth=1
	s_or_b32 exec_lo, exec_lo, s9
.LBB147_49:                             ;   in Loop: Header=BB147_5 Depth=1
	s_delay_alu instid0(SALU_CYCLE_1)
	s_or_b32 exec_lo, exec_lo, s8
                                        ; implicit-def: $vgpr1
                                        ; implicit-def: $vgpr4
.LBB147_50:                             ;   in Loop: Header=BB147_5 Depth=1
	s_and_not1_saveexec_b32 s2, s2
	s_cbranch_execz .LBB147_4
; %bb.51:                               ;   in Loop: Header=BB147_5 Depth=1
	s_mov_b32 s8, 0
	s_mov_b32 s9, 0
	s_mov_b32 s17, exec_lo
	v_cmpx_lt_i32_e32 0, v4
	s_xor_b32 s17, exec_lo, s17
	s_cbranch_execnz .LBB147_64
; %bb.52:                               ;   in Loop: Header=BB147_5 Depth=1
	s_and_not1_saveexec_b32 s17, s17
	s_cbranch_execnz .LBB147_65
.LBB147_53:                             ;   in Loop: Header=BB147_5 Depth=1
	s_or_b32 exec_lo, exec_lo, s17
	s_and_saveexec_b32 s17, s9
	s_delay_alu instid0(SALU_CYCLE_1)
	s_xor_b32 s9, exec_lo, s17
	s_cbranch_execnz .LBB147_66
.LBB147_54:                             ;   in Loop: Header=BB147_5 Depth=1
	s_or_b32 exec_lo, exec_lo, s9
	s_and_saveexec_b32 s9, s8
	s_cbranch_execz .LBB147_3
	s_branch .LBB147_67
.LBB147_55:                             ;   in Loop: Header=BB147_5 Depth=1
	v_cmp_ne_u32_e32 vcc_lo, 1, v1
	s_and_b32 s9, vcc_lo, exec_lo
	s_and_not1_saveexec_b32 s17, s17
	s_cbranch_execz .LBB147_14
.LBB147_56:                             ;   in Loop: Header=BB147_5 Depth=1
	v_cmp_ne_u32_e32 vcc_lo, -1, v1
	s_and_not1_b32 s9, s9, exec_lo
	s_mov_b32 s8, exec_lo
	s_and_b32 s18, vcc_lo, exec_lo
	s_delay_alu instid0(SALU_CYCLE_1) | instskip(SKIP_2) | instid1(SALU_CYCLE_1)
	s_or_b32 s9, s9, s18
	s_or_b32 exec_lo, exec_lo, s17
	s_and_saveexec_b32 s17, s9
	s_xor_b32 s9, exec_lo, s17
	s_cbranch_execz .LBB147_15
.LBB147_57:                             ;   in Loop: Header=BB147_5 Depth=1
	v_mov_b32_e32 v1, 0
	s_and_not1_b32 s8, s8, exec_lo
	s_or_b32 exec_lo, exec_lo, s9
	s_and_saveexec_b32 s9, s8
	s_cbranch_execnz .LBB147_16
	s_branch .LBB147_17
.LBB147_58:                             ;   in Loop: Header=BB147_5 Depth=1
	v_cmp_ne_u32_e32 vcc_lo, 1, v2
	s_and_b32 s9, vcc_lo, exec_lo
	s_and_not1_saveexec_b32 s17, s17
	s_cbranch_execz .LBB147_27
.LBB147_59:                             ;   in Loop: Header=BB147_5 Depth=1
	v_cmp_ne_u32_e32 vcc_lo, -1, v2
	s_and_not1_b32 s9, s9, exec_lo
	s_mov_b32 s8, exec_lo
	s_and_b32 s18, vcc_lo, exec_lo
	s_delay_alu instid0(SALU_CYCLE_1) | instskip(SKIP_2) | instid1(SALU_CYCLE_1)
	s_or_b32 s9, s9, s18
	s_or_b32 exec_lo, exec_lo, s17
	s_and_saveexec_b32 s17, s9
	s_xor_b32 s9, exec_lo, s17
	s_cbranch_execz .LBB147_28
.LBB147_60:                             ;   in Loop: Header=BB147_5 Depth=1
	v_mov_b32_e32 v2, 0
	s_and_not1_b32 s8, s8, exec_lo
	s_or_b32 exec_lo, exec_lo, s9
	s_and_saveexec_b32 s9, s8
	s_cbranch_execnz .LBB147_29
	s_branch .LBB147_30
.LBB147_61:                             ;   in Loop: Header=BB147_5 Depth=1
	v_cmp_ne_u32_e32 vcc_lo, 1, v3
	s_and_b32 s9, vcc_lo, exec_lo
	s_and_not1_saveexec_b32 s17, s17
	s_cbranch_execz .LBB147_40
.LBB147_62:                             ;   in Loop: Header=BB147_5 Depth=1
	v_cmp_ne_u32_e32 vcc_lo, -1, v3
	s_and_not1_b32 s9, s9, exec_lo
	s_mov_b32 s8, exec_lo
	s_and_b32 s18, vcc_lo, exec_lo
	s_delay_alu instid0(SALU_CYCLE_1) | instskip(SKIP_2) | instid1(SALU_CYCLE_1)
	s_or_b32 s9, s9, s18
	s_or_b32 exec_lo, exec_lo, s17
	s_and_saveexec_b32 s17, s9
	s_xor_b32 s9, exec_lo, s17
	s_cbranch_execz .LBB147_41
.LBB147_63:                             ;   in Loop: Header=BB147_5 Depth=1
	v_mov_b32_e32 v3, 0
	s_and_not1_b32 s8, s8, exec_lo
	s_or_b32 exec_lo, exec_lo, s9
	s_and_saveexec_b32 s9, s8
	s_cbranch_execnz .LBB147_42
	s_branch .LBB147_43
.LBB147_64:                             ;   in Loop: Header=BB147_5 Depth=1
	v_cmp_ne_u32_e32 vcc_lo, 1, v4
	s_and_b32 s9, vcc_lo, exec_lo
	s_and_not1_saveexec_b32 s17, s17
	s_cbranch_execz .LBB147_53
.LBB147_65:                             ;   in Loop: Header=BB147_5 Depth=1
	v_cmp_ne_u32_e32 vcc_lo, -1, v4
	s_and_not1_b32 s9, s9, exec_lo
	s_mov_b32 s8, exec_lo
                                        ; implicit-def: $vgpr4
	s_and_b32 s18, vcc_lo, exec_lo
	s_delay_alu instid0(SALU_CYCLE_1) | instskip(SKIP_2) | instid1(SALU_CYCLE_1)
	s_or_b32 s9, s9, s18
	s_or_b32 exec_lo, exec_lo, s17
	s_and_saveexec_b32 s17, s9
	s_xor_b32 s9, exec_lo, s17
	s_cbranch_execz .LBB147_54
.LBB147_66:                             ;   in Loop: Header=BB147_5 Depth=1
	v_mov_b32_e32 v4, 0
	s_and_not1_b32 s8, s8, exec_lo
	s_or_b32 exec_lo, exec_lo, s9
	s_and_saveexec_b32 s9, s8
	s_cbranch_execz .LBB147_3
.LBB147_67:                             ;   in Loop: Header=BB147_5 Depth=1
	v_and_b32_e32 v1, 1, v1
	s_delay_alu instid0(VALU_DEP_1)
	v_cmp_eq_u32_e32 vcc_lo, 0, v1
	v_cndmask_b32_e64 v4, -1, 1, vcc_lo
	s_branch .LBB147_3
.LBB147_68:
	s_or_b32 exec_lo, exec_lo, s3
	s_mov_b32 s2, 0
.LBB147_69:
	s_delay_alu instid0(SALU_CYCLE_1)
	s_and_not1_b32 vcc_lo, exec_lo, s2
	s_cbranch_vccnz .LBB147_153
; %bb.70:
	v_cmp_lt_i64_e64 s2, s[4:5], 1
	s_delay_alu instid0(VALU_DEP_1)
	s_and_b32 vcc_lo, exec_lo, s2
	s_cbranch_vccnz .LBB147_153
; %bb.71:
	s_load_b32 s0, s[0:1], 0xc5c
	v_cmp_gt_u64_e64 s1, 0x10000, s[4:5]
	s_mov_b64 s[8:9], 0
	s_waitcnt lgkmcnt(0)
	s_and_b32 s17, s0, 0xffff
	s_delay_alu instid0(VALU_DEP_1)
	s_and_b32 s0, s1, exec_lo
	s_cselect_b32 s7, s5, 0
	s_cselect_b32 s6, s4, 0x10000
	s_lshl_b32 s18, s17, 1
	s_mul_i32 s19, s17, 3
	s_lshl_b32 s20, s17, 2
	s_branch .LBB147_73
.LBB147_72:                             ;   in Loop: Header=BB147_73 Depth=1
	s_or_b32 exec_lo, exec_lo, s0
	s_add_u32 s8, s8, s20
	s_addc_u32 s9, s9, 0
	s_delay_alu instid0(SALU_CYCLE_1) | instskip(SKIP_1) | instid1(VALU_DEP_1)
	v_cmp_ge_i64_e64 s0, s[8:9], s[4:5]
	v_cmp_lt_u64_e64 s1, 0xffff, s[8:9]
	s_or_b32 s0, s0, s1
	s_delay_alu instid0(SALU_CYCLE_1)
	s_and_b32 vcc_lo, exec_lo, s0
	s_cbranch_vccnz .LBB147_153
.LBB147_73:                             ; =>This Loop Header: Depth=1
                                        ;     Child Loop BB147_84 Depth 2
                                        ;     Child Loop BB147_97 Depth 2
	;; [unrolled: 1-line block ×4, first 2 shown]
	v_add_co_u32 v7, s0, s8, v0
	s_delay_alu instid0(VALU_DEP_1) | instskip(SKIP_1) | instid1(VALU_DEP_2)
	v_add_co_ci_u32_e64 v8, null, s9, 0, s0
	v_dual_mov_b32 v13, 0 :: v_dual_mov_b32 v10, 0
	v_cmp_gt_u64_e32 vcc_lo, s[6:7], v[7:8]
	v_lshlrev_b64 v[1:2], 2, v[7:8]
	s_and_saveexec_b32 s1, vcc_lo
	s_cbranch_execz .LBB147_75
; %bb.74:                               ;   in Loop: Header=BB147_73 Depth=1
	s_delay_alu instid0(VALU_DEP_1) | instskip(NEXT) | instid1(VALU_DEP_1)
	v_add_co_u32 v3, s0, s10, v1
	v_add_co_ci_u32_e64 v4, s0, s11, v2, s0
	v_add_co_u32 v5, s0, s12, v1
	s_delay_alu instid0(VALU_DEP_1)
	v_add_co_ci_u32_e64 v6, s0, s13, v2, s0
	global_load_b32 v13, v[3:4], off
	global_load_b32 v10, v[5:6], off
.LBB147_75:                             ;   in Loop: Header=BB147_73 Depth=1
	s_or_b32 exec_lo, exec_lo, s1
	v_add_co_u32 v3, s0, v7, s17
	s_delay_alu instid0(VALU_DEP_1) | instskip(SKIP_2) | instid1(VALU_DEP_3)
	v_add_co_ci_u32_e64 v4, s0, 0, v8, s0
	v_dual_mov_b32 v11, 0 :: v_dual_mov_b32 v14, 0
	v_mov_b32_e32 v16, 0
	v_cmp_gt_u64_e64 s0, s[6:7], v[3:4]
	v_lshlrev_b64 v[3:4], 2, v[3:4]
	s_delay_alu instid0(VALU_DEP_2)
	s_and_saveexec_b32 s2, s0
	s_cbranch_execz .LBB147_77
; %bb.76:                               ;   in Loop: Header=BB147_73 Depth=1
	s_delay_alu instid0(VALU_DEP_1) | instskip(NEXT) | instid1(VALU_DEP_1)
	v_add_co_u32 v5, s1, s10, v3
	v_add_co_ci_u32_e64 v6, s1, s11, v4, s1
	v_add_co_u32 v15, s1, s12, v3
	s_delay_alu instid0(VALU_DEP_1)
	v_add_co_ci_u32_e64 v16, s1, s13, v4, s1
	global_load_b32 v14, v[5:6], off
	global_load_b32 v16, v[15:16], off
.LBB147_77:                             ;   in Loop: Header=BB147_73 Depth=1
	s_or_b32 exec_lo, exec_lo, s2
	v_add_co_u32 v5, s1, v7, s18
	s_delay_alu instid0(VALU_DEP_1) | instskip(SKIP_1) | instid1(VALU_DEP_2)
	v_add_co_ci_u32_e64 v6, s1, 0, v8, s1
	v_mov_b32_e32 v15, 0
	v_cmp_gt_u64_e64 s1, s[6:7], v[5:6]
	v_lshlrev_b64 v[5:6], 2, v[5:6]
	s_delay_alu instid0(VALU_DEP_2)
	s_and_saveexec_b32 s3, s1
	s_cbranch_execz .LBB147_79
; %bb.78:                               ;   in Loop: Header=BB147_73 Depth=1
	s_delay_alu instid0(VALU_DEP_1) | instskip(NEXT) | instid1(VALU_DEP_1)
	v_add_co_u32 v11, s2, s10, v5
	v_add_co_ci_u32_e64 v12, s2, s11, v6, s2
	v_add_co_u32 v17, s2, s12, v5
	s_delay_alu instid0(VALU_DEP_1)
	v_add_co_ci_u32_e64 v18, s2, s13, v6, s2
	global_load_b32 v11, v[11:12], off
	global_load_b32 v15, v[17:18], off
.LBB147_79:                             ;   in Loop: Header=BB147_73 Depth=1
	s_or_b32 exec_lo, exec_lo, s3
	v_add_co_u32 v7, s2, v7, s19
	s_delay_alu instid0(VALU_DEP_1) | instskip(SKIP_1) | instid1(VALU_DEP_2)
	v_add_co_ci_u32_e64 v8, s2, 0, v8, s2
	v_dual_mov_b32 v9, 0 :: v_dual_mov_b32 v12, 0
	v_cmp_gt_u64_e64 s2, s[6:7], v[7:8]
	v_lshlrev_b64 v[7:8], 2, v[7:8]
	s_delay_alu instid0(VALU_DEP_2)
	s_and_saveexec_b32 s21, s2
	s_cbranch_execz .LBB147_81
; %bb.80:                               ;   in Loop: Header=BB147_73 Depth=1
	s_delay_alu instid0(VALU_DEP_1) | instskip(NEXT) | instid1(VALU_DEP_1)
	v_add_co_u32 v17, s3, s10, v7
	v_add_co_ci_u32_e64 v18, s3, s11, v8, s3
	v_add_co_u32 v19, s3, s12, v7
	s_delay_alu instid0(VALU_DEP_1)
	v_add_co_ci_u32_e64 v20, s3, s13, v8, s3
	global_load_b32 v9, v[17:18], off
	global_load_b32 v12, v[19:20], off
.LBB147_81:                             ;   in Loop: Header=BB147_73 Depth=1
	s_or_b32 exec_lo, exec_lo, s21
	s_waitcnt vmcnt(0)
	v_mul_lo_u32 v17, v10, s16
	s_mov_b32 s21, exec_lo
                                        ; implicit-def: $vgpr10
	s_delay_alu instid0(VALU_DEP_1)
	v_cmpx_lt_i32_e32 -1, v17
	s_xor_b32 s21, exec_lo, s21
	s_cbranch_execz .LBB147_87
; %bb.82:                               ;   in Loop: Header=BB147_73 Depth=1
	v_mov_b32_e32 v10, 1
	s_mov_b32 s22, exec_lo
	v_cmpx_ne_u32_e32 0, v17
	s_cbranch_execz .LBB147_86
; %bb.83:                               ;   in Loop: Header=BB147_73 Depth=1
	v_mov_b32_e32 v10, 1
	s_mov_b32 s23, 0
.LBB147_84:                             ;   Parent Loop BB147_73 Depth=1
                                        ; =>  This Inner Loop Header: Depth=2
	v_lshrrev_b32_e32 v19, 1, v17
	v_and_b32_e32 v18, 1, v17
	s_delay_alu instid0(VALU_DEP_1) | instskip(NEXT) | instid1(VALU_DEP_1)
	v_cmp_eq_u32_e64 s3, 1, v18
	v_cndmask_b32_e64 v18, 1, v13, s3
	v_mul_lo_u32 v13, v13, v13
	v_cmp_gt_u32_e64 s3, 2, v17
	v_mov_b32_e32 v17, v19
	s_delay_alu instid0(VALU_DEP_4) | instskip(NEXT) | instid1(VALU_DEP_3)
	v_mul_lo_u32 v10, v18, v10
	s_or_b32 s23, s3, s23
	s_delay_alu instid0(SALU_CYCLE_1)
	s_and_not1_b32 exec_lo, exec_lo, s23
	s_cbranch_execnz .LBB147_84
; %bb.85:                               ;   in Loop: Header=BB147_73 Depth=1
	s_or_b32 exec_lo, exec_lo, s23
.LBB147_86:                             ;   in Loop: Header=BB147_73 Depth=1
	s_delay_alu instid0(SALU_CYCLE_1)
	s_or_b32 exec_lo, exec_lo, s22
                                        ; implicit-def: $vgpr17
                                        ; implicit-def: $vgpr13
.LBB147_87:                             ;   in Loop: Header=BB147_73 Depth=1
	s_and_not1_saveexec_b32 s21, s21
	s_cbranch_execz .LBB147_94
; %bb.88:                               ;   in Loop: Header=BB147_73 Depth=1
	s_mov_b32 s22, 0
	s_mov_b32 s23, 0
	s_mov_b32 s24, exec_lo
	v_cmpx_lt_i32_e32 0, v13
	s_xor_b32 s24, exec_lo, s24
	s_cbranch_execnz .LBB147_141
; %bb.89:                               ;   in Loop: Header=BB147_73 Depth=1
	s_and_not1_saveexec_b32 s24, s24
	s_cbranch_execnz .LBB147_142
.LBB147_90:                             ;   in Loop: Header=BB147_73 Depth=1
	s_or_b32 exec_lo, exec_lo, s24
	s_and_saveexec_b32 s3, s23
	s_delay_alu instid0(SALU_CYCLE_1)
	s_xor_b32 s3, exec_lo, s3
	s_cbranch_execnz .LBB147_143
.LBB147_91:                             ;   in Loop: Header=BB147_73 Depth=1
	s_or_b32 exec_lo, exec_lo, s3
	s_and_saveexec_b32 s23, s22
.LBB147_92:                             ;   in Loop: Header=BB147_73 Depth=1
	v_and_b32_e32 v10, 1, v17
	s_delay_alu instid0(VALU_DEP_1) | instskip(NEXT) | instid1(VALU_DEP_1)
	v_cmp_eq_u32_e64 s3, 0, v10
	v_cndmask_b32_e64 v13, -1, 1, s3
.LBB147_93:                             ;   in Loop: Header=BB147_73 Depth=1
	s_or_b32 exec_lo, exec_lo, s23
	s_delay_alu instid0(VALU_DEP_1)
	v_mov_b32_e32 v10, v13
.LBB147_94:                             ;   in Loop: Header=BB147_73 Depth=1
	s_or_b32 exec_lo, exec_lo, s21
	v_mul_lo_u32 v16, v16, s16
	s_mov_b32 s21, exec_lo
                                        ; implicit-def: $vgpr13
	s_delay_alu instid0(VALU_DEP_1)
	v_cmpx_lt_i32_e32 -1, v16
	s_xor_b32 s21, exec_lo, s21
	s_cbranch_execz .LBB147_100
; %bb.95:                               ;   in Loop: Header=BB147_73 Depth=1
	v_mov_b32_e32 v13, 1
	s_mov_b32 s22, exec_lo
	v_cmpx_ne_u32_e32 0, v16
	s_cbranch_execz .LBB147_99
; %bb.96:                               ;   in Loop: Header=BB147_73 Depth=1
	v_mov_b32_e32 v13, 1
	s_mov_b32 s23, 0
.LBB147_97:                             ;   Parent Loop BB147_73 Depth=1
                                        ; =>  This Inner Loop Header: Depth=2
	v_lshrrev_b32_e32 v18, 1, v16
	v_and_b32_e32 v17, 1, v16
	s_delay_alu instid0(VALU_DEP_1) | instskip(NEXT) | instid1(VALU_DEP_1)
	v_cmp_eq_u32_e64 s3, 1, v17
	v_cndmask_b32_e64 v17, 1, v14, s3
	v_mul_lo_u32 v14, v14, v14
	v_cmp_gt_u32_e64 s3, 2, v16
	v_mov_b32_e32 v16, v18
	s_delay_alu instid0(VALU_DEP_4) | instskip(NEXT) | instid1(VALU_DEP_3)
	v_mul_lo_u32 v13, v17, v13
	s_or_b32 s23, s3, s23
	s_delay_alu instid0(SALU_CYCLE_1)
	s_and_not1_b32 exec_lo, exec_lo, s23
	s_cbranch_execnz .LBB147_97
; %bb.98:                               ;   in Loop: Header=BB147_73 Depth=1
	s_or_b32 exec_lo, exec_lo, s23
.LBB147_99:                             ;   in Loop: Header=BB147_73 Depth=1
	s_delay_alu instid0(SALU_CYCLE_1)
	s_or_b32 exec_lo, exec_lo, s22
                                        ; implicit-def: $vgpr16
                                        ; implicit-def: $vgpr14
.LBB147_100:                            ;   in Loop: Header=BB147_73 Depth=1
	s_and_not1_saveexec_b32 s21, s21
	s_cbranch_execz .LBB147_107
; %bb.101:                              ;   in Loop: Header=BB147_73 Depth=1
	s_mov_b32 s22, 0
	s_mov_b32 s23, 0
	s_mov_b32 s24, exec_lo
	v_cmpx_lt_i32_e32 0, v14
	s_xor_b32 s24, exec_lo, s24
	s_cbranch_execnz .LBB147_144
; %bb.102:                              ;   in Loop: Header=BB147_73 Depth=1
	s_and_not1_saveexec_b32 s24, s24
	s_cbranch_execnz .LBB147_145
.LBB147_103:                            ;   in Loop: Header=BB147_73 Depth=1
	s_or_b32 exec_lo, exec_lo, s24
	s_and_saveexec_b32 s3, s23
	s_delay_alu instid0(SALU_CYCLE_1)
	s_xor_b32 s3, exec_lo, s3
	s_cbranch_execnz .LBB147_146
.LBB147_104:                            ;   in Loop: Header=BB147_73 Depth=1
	s_or_b32 exec_lo, exec_lo, s3
	s_and_saveexec_b32 s23, s22
.LBB147_105:                            ;   in Loop: Header=BB147_73 Depth=1
	v_and_b32_e32 v13, 1, v16
	s_delay_alu instid0(VALU_DEP_1) | instskip(NEXT) | instid1(VALU_DEP_1)
	v_cmp_eq_u32_e64 s3, 0, v13
	v_cndmask_b32_e64 v14, -1, 1, s3
.LBB147_106:                            ;   in Loop: Header=BB147_73 Depth=1
	s_or_b32 exec_lo, exec_lo, s23
	s_delay_alu instid0(VALU_DEP_1)
	v_mov_b32_e32 v13, v14
.LBB147_107:                            ;   in Loop: Header=BB147_73 Depth=1
	s_or_b32 exec_lo, exec_lo, s21
	v_mul_lo_u32 v15, v15, s16
	s_mov_b32 s21, exec_lo
                                        ; implicit-def: $vgpr14
	s_delay_alu instid0(VALU_DEP_1)
	v_cmpx_lt_i32_e32 -1, v15
	s_xor_b32 s21, exec_lo, s21
	s_cbranch_execz .LBB147_113
; %bb.108:                              ;   in Loop: Header=BB147_73 Depth=1
	v_mov_b32_e32 v14, 1
	s_mov_b32 s22, exec_lo
	v_cmpx_ne_u32_e32 0, v15
	s_cbranch_execz .LBB147_112
; %bb.109:                              ;   in Loop: Header=BB147_73 Depth=1
	v_mov_b32_e32 v14, 1
	s_mov_b32 s23, 0
.LBB147_110:                            ;   Parent Loop BB147_73 Depth=1
                                        ; =>  This Inner Loop Header: Depth=2
	v_lshrrev_b32_e32 v17, 1, v15
	v_and_b32_e32 v16, 1, v15
	s_delay_alu instid0(VALU_DEP_1) | instskip(NEXT) | instid1(VALU_DEP_1)
	v_cmp_eq_u32_e64 s3, 1, v16
	v_cndmask_b32_e64 v16, 1, v11, s3
	v_mul_lo_u32 v11, v11, v11
	v_cmp_gt_u32_e64 s3, 2, v15
	v_mov_b32_e32 v15, v17
	s_delay_alu instid0(VALU_DEP_4) | instskip(NEXT) | instid1(VALU_DEP_3)
	v_mul_lo_u32 v14, v16, v14
	s_or_b32 s23, s3, s23
	s_delay_alu instid0(SALU_CYCLE_1)
	s_and_not1_b32 exec_lo, exec_lo, s23
	s_cbranch_execnz .LBB147_110
; %bb.111:                              ;   in Loop: Header=BB147_73 Depth=1
	s_or_b32 exec_lo, exec_lo, s23
.LBB147_112:                            ;   in Loop: Header=BB147_73 Depth=1
	s_delay_alu instid0(SALU_CYCLE_1)
	s_or_b32 exec_lo, exec_lo, s22
                                        ; implicit-def: $vgpr15
                                        ; implicit-def: $vgpr11
.LBB147_113:                            ;   in Loop: Header=BB147_73 Depth=1
	s_and_not1_saveexec_b32 s21, s21
	s_cbranch_execz .LBB147_120
; %bb.114:                              ;   in Loop: Header=BB147_73 Depth=1
	s_mov_b32 s22, 0
	s_mov_b32 s23, 0
	s_mov_b32 s24, exec_lo
	v_cmpx_lt_i32_e32 0, v11
	s_xor_b32 s24, exec_lo, s24
	s_cbranch_execnz .LBB147_147
; %bb.115:                              ;   in Loop: Header=BB147_73 Depth=1
	s_and_not1_saveexec_b32 s24, s24
	s_cbranch_execnz .LBB147_148
.LBB147_116:                            ;   in Loop: Header=BB147_73 Depth=1
	s_or_b32 exec_lo, exec_lo, s24
	s_and_saveexec_b32 s3, s23
	s_delay_alu instid0(SALU_CYCLE_1)
	s_xor_b32 s3, exec_lo, s3
	s_cbranch_execnz .LBB147_149
.LBB147_117:                            ;   in Loop: Header=BB147_73 Depth=1
	s_or_b32 exec_lo, exec_lo, s3
	s_and_saveexec_b32 s23, s22
.LBB147_118:                            ;   in Loop: Header=BB147_73 Depth=1
	v_and_b32_e32 v11, 1, v15
	s_delay_alu instid0(VALU_DEP_1) | instskip(NEXT) | instid1(VALU_DEP_1)
	v_cmp_eq_u32_e64 s3, 0, v11
	v_cndmask_b32_e64 v11, -1, 1, s3
.LBB147_119:                            ;   in Loop: Header=BB147_73 Depth=1
	s_or_b32 exec_lo, exec_lo, s23
	s_delay_alu instid0(VALU_DEP_1)
	v_mov_b32_e32 v14, v11
.LBB147_120:                            ;   in Loop: Header=BB147_73 Depth=1
	s_or_b32 exec_lo, exec_lo, s21
	v_mul_lo_u32 v11, v12, s16
	s_mov_b32 s21, exec_lo
                                        ; implicit-def: $vgpr12
	s_delay_alu instid0(VALU_DEP_1)
	v_cmpx_lt_i32_e32 -1, v11
	s_xor_b32 s21, exec_lo, s21
	s_cbranch_execnz .LBB147_126
; %bb.121:                              ;   in Loop: Header=BB147_73 Depth=1
	s_and_not1_saveexec_b32 s21, s21
	s_cbranch_execnz .LBB147_131
.LBB147_122:                            ;   in Loop: Header=BB147_73 Depth=1
	s_or_b32 exec_lo, exec_lo, s21
	s_and_saveexec_b32 s3, vcc_lo
	s_delay_alu instid0(SALU_CYCLE_1)
	s_xor_b32 s3, exec_lo, s3
	s_cbranch_execnz .LBB147_137
.LBB147_123:                            ;   in Loop: Header=BB147_73 Depth=1
	s_or_b32 exec_lo, exec_lo, s3
	s_and_saveexec_b32 s3, s0
	s_cbranch_execnz .LBB147_138
.LBB147_124:                            ;   in Loop: Header=BB147_73 Depth=1
	s_or_b32 exec_lo, exec_lo, s3
	s_and_saveexec_b32 s0, s1
	s_cbranch_execnz .LBB147_139
.LBB147_125:                            ;   in Loop: Header=BB147_73 Depth=1
	s_or_b32 exec_lo, exec_lo, s0
	s_and_saveexec_b32 s0, s2
	s_cbranch_execz .LBB147_72
	s_branch .LBB147_140
.LBB147_126:                            ;   in Loop: Header=BB147_73 Depth=1
	v_mov_b32_e32 v12, 1
	s_mov_b32 s22, exec_lo
	v_cmpx_ne_u32_e32 0, v11
	s_cbranch_execz .LBB147_130
; %bb.127:                              ;   in Loop: Header=BB147_73 Depth=1
	v_mov_b32_e32 v12, 1
	s_mov_b32 s23, 0
.LBB147_128:                            ;   Parent Loop BB147_73 Depth=1
                                        ; =>  This Inner Loop Header: Depth=2
	v_and_b32_e32 v15, 1, v11
	v_lshrrev_b32_e32 v16, 1, v11
	s_delay_alu instid0(VALU_DEP_2) | instskip(NEXT) | instid1(VALU_DEP_1)
	v_cmp_eq_u32_e64 s3, 1, v15
	v_cndmask_b32_e64 v15, 1, v9, s3
	v_mul_lo_u32 v9, v9, v9
	v_cmp_gt_u32_e64 s3, 2, v11
	v_mov_b32_e32 v11, v16
	s_delay_alu instid0(VALU_DEP_4) | instskip(NEXT) | instid1(VALU_DEP_3)
	v_mul_lo_u32 v12, v15, v12
	s_or_b32 s23, s3, s23
	s_delay_alu instid0(SALU_CYCLE_1)
	s_and_not1_b32 exec_lo, exec_lo, s23
	s_cbranch_execnz .LBB147_128
; %bb.129:                              ;   in Loop: Header=BB147_73 Depth=1
	s_or_b32 exec_lo, exec_lo, s23
.LBB147_130:                            ;   in Loop: Header=BB147_73 Depth=1
	s_delay_alu instid0(SALU_CYCLE_1)
	s_or_b32 exec_lo, exec_lo, s22
                                        ; implicit-def: $vgpr11
                                        ; implicit-def: $vgpr9
	s_and_not1_saveexec_b32 s21, s21
	s_cbranch_execz .LBB147_122
.LBB147_131:                            ;   in Loop: Header=BB147_73 Depth=1
	s_mov_b32 s22, 0
	s_mov_b32 s23, 0
	s_mov_b32 s24, exec_lo
	v_cmpx_lt_i32_e32 0, v9
	s_xor_b32 s24, exec_lo, s24
	s_cbranch_execnz .LBB147_150
; %bb.132:                              ;   in Loop: Header=BB147_73 Depth=1
	s_and_not1_saveexec_b32 s24, s24
	s_cbranch_execnz .LBB147_151
.LBB147_133:                            ;   in Loop: Header=BB147_73 Depth=1
	s_or_b32 exec_lo, exec_lo, s24
	s_and_saveexec_b32 s3, s23
	s_delay_alu instid0(SALU_CYCLE_1)
	s_xor_b32 s3, exec_lo, s3
	s_cbranch_execnz .LBB147_152
.LBB147_134:                            ;   in Loop: Header=BB147_73 Depth=1
	s_or_b32 exec_lo, exec_lo, s3
	s_and_saveexec_b32 s23, s22
.LBB147_135:                            ;   in Loop: Header=BB147_73 Depth=1
	v_and_b32_e32 v9, 1, v11
	s_delay_alu instid0(VALU_DEP_1) | instskip(NEXT) | instid1(VALU_DEP_1)
	v_cmp_eq_u32_e64 s3, 0, v9
	v_cndmask_b32_e64 v9, -1, 1, s3
.LBB147_136:                            ;   in Loop: Header=BB147_73 Depth=1
	s_or_b32 exec_lo, exec_lo, s23
	s_delay_alu instid0(VALU_DEP_1) | instskip(SKIP_2) | instid1(SALU_CYCLE_1)
	v_mov_b32_e32 v12, v9
	s_or_b32 exec_lo, exec_lo, s21
	s_and_saveexec_b32 s3, vcc_lo
	s_xor_b32 s3, exec_lo, s3
	s_cbranch_execz .LBB147_123
.LBB147_137:                            ;   in Loop: Header=BB147_73 Depth=1
	v_add_co_u32 v1, vcc_lo, s14, v1
	v_add_co_ci_u32_e32 v2, vcc_lo, s15, v2, vcc_lo
	global_store_b32 v[1:2], v10, off
	s_or_b32 exec_lo, exec_lo, s3
	s_and_saveexec_b32 s3, s0
	s_cbranch_execz .LBB147_124
.LBB147_138:                            ;   in Loop: Header=BB147_73 Depth=1
	v_add_co_u32 v1, vcc_lo, s14, v3
	v_add_co_ci_u32_e32 v2, vcc_lo, s15, v4, vcc_lo
	global_store_b32 v[1:2], v13, off
	s_or_b32 exec_lo, exec_lo, s3
	s_and_saveexec_b32 s0, s1
	s_cbranch_execz .LBB147_125
.LBB147_139:                            ;   in Loop: Header=BB147_73 Depth=1
	v_add_co_u32 v1, vcc_lo, s14, v5
	v_add_co_ci_u32_e32 v2, vcc_lo, s15, v6, vcc_lo
	global_store_b32 v[1:2], v14, off
	s_or_b32 exec_lo, exec_lo, s0
	s_and_saveexec_b32 s0, s2
	s_cbranch_execz .LBB147_72
.LBB147_140:                            ;   in Loop: Header=BB147_73 Depth=1
	v_add_co_u32 v1, vcc_lo, s14, v7
	v_add_co_ci_u32_e32 v2, vcc_lo, s15, v8, vcc_lo
	global_store_b32 v[1:2], v12, off
	s_branch .LBB147_72
.LBB147_141:                            ;   in Loop: Header=BB147_73 Depth=1
	v_cmp_ne_u32_e64 s3, 1, v13
	s_delay_alu instid0(VALU_DEP_1)
	s_and_b32 s23, s3, exec_lo
	s_and_not1_saveexec_b32 s24, s24
	s_cbranch_execz .LBB147_90
.LBB147_142:                            ;   in Loop: Header=BB147_73 Depth=1
	v_cmp_ne_u32_e64 s3, -1, v13
	s_and_not1_b32 s23, s23, exec_lo
	s_mov_b32 s22, exec_lo
                                        ; implicit-def: $vgpr13
	s_delay_alu instid0(VALU_DEP_1) | instskip(NEXT) | instid1(SALU_CYCLE_1)
	s_and_b32 s3, s3, exec_lo
	s_or_b32 s23, s23, s3
	s_or_b32 exec_lo, exec_lo, s24
	s_and_saveexec_b32 s3, s23
	s_delay_alu instid0(SALU_CYCLE_1)
	s_xor_b32 s3, exec_lo, s3
	s_cbranch_execz .LBB147_91
.LBB147_143:                            ;   in Loop: Header=BB147_73 Depth=1
	v_mov_b32_e32 v13, 0
	s_and_not1_b32 s22, s22, exec_lo
	s_or_b32 exec_lo, exec_lo, s3
	s_and_saveexec_b32 s23, s22
	s_cbranch_execnz .LBB147_92
	s_branch .LBB147_93
.LBB147_144:                            ;   in Loop: Header=BB147_73 Depth=1
	v_cmp_ne_u32_e64 s3, 1, v14
	s_delay_alu instid0(VALU_DEP_1)
	s_and_b32 s23, s3, exec_lo
	s_and_not1_saveexec_b32 s24, s24
	s_cbranch_execz .LBB147_103
.LBB147_145:                            ;   in Loop: Header=BB147_73 Depth=1
	v_cmp_ne_u32_e64 s3, -1, v14
	s_and_not1_b32 s23, s23, exec_lo
	s_mov_b32 s22, exec_lo
                                        ; implicit-def: $vgpr14
	s_delay_alu instid0(VALU_DEP_1) | instskip(NEXT) | instid1(SALU_CYCLE_1)
	s_and_b32 s3, s3, exec_lo
	s_or_b32 s23, s23, s3
	s_or_b32 exec_lo, exec_lo, s24
	s_and_saveexec_b32 s3, s23
	s_delay_alu instid0(SALU_CYCLE_1)
	s_xor_b32 s3, exec_lo, s3
	s_cbranch_execz .LBB147_104
.LBB147_146:                            ;   in Loop: Header=BB147_73 Depth=1
	v_mov_b32_e32 v14, 0
	s_and_not1_b32 s22, s22, exec_lo
	s_or_b32 exec_lo, exec_lo, s3
	s_and_saveexec_b32 s23, s22
	s_cbranch_execnz .LBB147_105
	s_branch .LBB147_106
.LBB147_147:                            ;   in Loop: Header=BB147_73 Depth=1
	v_cmp_ne_u32_e64 s3, 1, v11
	s_delay_alu instid0(VALU_DEP_1)
	s_and_b32 s23, s3, exec_lo
	s_and_not1_saveexec_b32 s24, s24
	s_cbranch_execz .LBB147_116
.LBB147_148:                            ;   in Loop: Header=BB147_73 Depth=1
	v_cmp_ne_u32_e64 s3, -1, v11
	s_and_not1_b32 s23, s23, exec_lo
	s_mov_b32 s22, exec_lo
                                        ; implicit-def: $vgpr11
	s_delay_alu instid0(VALU_DEP_1) | instskip(NEXT) | instid1(SALU_CYCLE_1)
	s_and_b32 s3, s3, exec_lo
	s_or_b32 s23, s23, s3
	s_or_b32 exec_lo, exec_lo, s24
	s_and_saveexec_b32 s3, s23
	s_delay_alu instid0(SALU_CYCLE_1)
	s_xor_b32 s3, exec_lo, s3
	s_cbranch_execz .LBB147_117
.LBB147_149:                            ;   in Loop: Header=BB147_73 Depth=1
	v_mov_b32_e32 v11, 0
	s_and_not1_b32 s22, s22, exec_lo
	s_or_b32 exec_lo, exec_lo, s3
	s_and_saveexec_b32 s23, s22
	s_cbranch_execnz .LBB147_118
	s_branch .LBB147_119
.LBB147_150:                            ;   in Loop: Header=BB147_73 Depth=1
	v_cmp_ne_u32_e64 s3, 1, v9
	s_delay_alu instid0(VALU_DEP_1)
	s_and_b32 s23, s3, exec_lo
	s_and_not1_saveexec_b32 s24, s24
	s_cbranch_execz .LBB147_133
.LBB147_151:                            ;   in Loop: Header=BB147_73 Depth=1
	v_cmp_ne_u32_e64 s3, -1, v9
	s_and_not1_b32 s23, s23, exec_lo
	s_mov_b32 s22, exec_lo
                                        ; implicit-def: $vgpr9
	s_delay_alu instid0(VALU_DEP_1) | instskip(NEXT) | instid1(SALU_CYCLE_1)
	s_and_b32 s3, s3, exec_lo
	s_or_b32 s23, s23, s3
	s_or_b32 exec_lo, exec_lo, s24
	s_and_saveexec_b32 s3, s23
	s_delay_alu instid0(SALU_CYCLE_1)
	s_xor_b32 s3, exec_lo, s3
	s_cbranch_execz .LBB147_134
.LBB147_152:                            ;   in Loop: Header=BB147_73 Depth=1
	v_mov_b32_e32 v9, 0
	s_and_not1_b32 s22, s22, exec_lo
	s_or_b32 exec_lo, exec_lo, s3
	s_and_saveexec_b32 s23, s22
	s_cbranch_execnz .LBB147_135
	s_branch .LBB147_136
.LBB147_153:
	s_nop 0
	s_sendmsg sendmsg(MSG_DEALLOC_VGPRS)
	s_endpgm
	.section	.rodata,"a",@progbits
	.p2align	6, 0x0
	.amdhsa_kernel _ZN2at6native12_GLOBAL__N_125multi_tensor_apply_kernelINS1_18TensorListMetadataILi3EEENS1_24BinaryOpListAlphaFunctorIiLi3ELi2ELi2EEEJNS1_13power_functorIiEEiEEEvT_T0_DpT1_
		.amdhsa_group_segment_fixed_size 0
		.amdhsa_private_segment_fixed_size 0
		.amdhsa_kernarg_size 3408
		.amdhsa_user_sgpr_count 15
		.amdhsa_user_sgpr_dispatch_ptr 0
		.amdhsa_user_sgpr_queue_ptr 0
		.amdhsa_user_sgpr_kernarg_segment_ptr 1
		.amdhsa_user_sgpr_dispatch_id 0
		.amdhsa_user_sgpr_private_segment_size 0
		.amdhsa_wavefront_size32 1
		.amdhsa_uses_dynamic_stack 0
		.amdhsa_enable_private_segment 0
		.amdhsa_system_sgpr_workgroup_id_x 1
		.amdhsa_system_sgpr_workgroup_id_y 0
		.amdhsa_system_sgpr_workgroup_id_z 0
		.amdhsa_system_sgpr_workgroup_info 0
		.amdhsa_system_vgpr_workitem_id 0
		.amdhsa_next_free_vgpr 21
		.amdhsa_next_free_sgpr 25
		.amdhsa_reserve_vcc 1
		.amdhsa_float_round_mode_32 0
		.amdhsa_float_round_mode_16_64 0
		.amdhsa_float_denorm_mode_32 3
		.amdhsa_float_denorm_mode_16_64 3
		.amdhsa_dx10_clamp 1
		.amdhsa_ieee_mode 1
		.amdhsa_fp16_overflow 0
		.amdhsa_workgroup_processor_mode 1
		.amdhsa_memory_ordered 1
		.amdhsa_forward_progress 0
		.amdhsa_shared_vgpr_count 0
		.amdhsa_exception_fp_ieee_invalid_op 0
		.amdhsa_exception_fp_denorm_src 0
		.amdhsa_exception_fp_ieee_div_zero 0
		.amdhsa_exception_fp_ieee_overflow 0
		.amdhsa_exception_fp_ieee_underflow 0
		.amdhsa_exception_fp_ieee_inexact 0
		.amdhsa_exception_int_div_zero 0
	.end_amdhsa_kernel
	.section	.text._ZN2at6native12_GLOBAL__N_125multi_tensor_apply_kernelINS1_18TensorListMetadataILi3EEENS1_24BinaryOpListAlphaFunctorIiLi3ELi2ELi2EEEJNS1_13power_functorIiEEiEEEvT_T0_DpT1_,"axG",@progbits,_ZN2at6native12_GLOBAL__N_125multi_tensor_apply_kernelINS1_18TensorListMetadataILi3EEENS1_24BinaryOpListAlphaFunctorIiLi3ELi2ELi2EEEJNS1_13power_functorIiEEiEEEvT_T0_DpT1_,comdat
.Lfunc_end147:
	.size	_ZN2at6native12_GLOBAL__N_125multi_tensor_apply_kernelINS1_18TensorListMetadataILi3EEENS1_24BinaryOpListAlphaFunctorIiLi3ELi2ELi2EEEJNS1_13power_functorIiEEiEEEvT_T0_DpT1_, .Lfunc_end147-_ZN2at6native12_GLOBAL__N_125multi_tensor_apply_kernelINS1_18TensorListMetadataILi3EEENS1_24BinaryOpListAlphaFunctorIiLi3ELi2ELi2EEEJNS1_13power_functorIiEEiEEEvT_T0_DpT1_
                                        ; -- End function
	.section	.AMDGPU.csdata,"",@progbits
; Kernel info:
; codeLenInByte = 3920
; NumSgprs: 27
; NumVgprs: 21
; ScratchSize: 0
; MemoryBound: 1
; FloatMode: 240
; IeeeMode: 1
; LDSByteSize: 0 bytes/workgroup (compile time only)
; SGPRBlocks: 3
; VGPRBlocks: 2
; NumSGPRsForWavesPerEU: 27
; NumVGPRsForWavesPerEU: 21
; Occupancy: 16
; WaveLimiterHint : 0
; COMPUTE_PGM_RSRC2:SCRATCH_EN: 0
; COMPUTE_PGM_RSRC2:USER_SGPR: 15
; COMPUTE_PGM_RSRC2:TRAP_HANDLER: 0
; COMPUTE_PGM_RSRC2:TGID_X_EN: 1
; COMPUTE_PGM_RSRC2:TGID_Y_EN: 0
; COMPUTE_PGM_RSRC2:TGID_Z_EN: 0
; COMPUTE_PGM_RSRC2:TIDIG_COMP_CNT: 0
	.section	.text._ZN2at6native12_GLOBAL__N_125multi_tensor_apply_kernelINS1_18TensorListMetadataILi3EEENS1_24BinaryOpListAlphaFunctorIlLi3ELi2ELi2EEEJNS1_13power_functorIlEElEEEvT_T0_DpT1_,"axG",@progbits,_ZN2at6native12_GLOBAL__N_125multi_tensor_apply_kernelINS1_18TensorListMetadataILi3EEENS1_24BinaryOpListAlphaFunctorIlLi3ELi2ELi2EEEJNS1_13power_functorIlEElEEEvT_T0_DpT1_,comdat
	.globl	_ZN2at6native12_GLOBAL__N_125multi_tensor_apply_kernelINS1_18TensorListMetadataILi3EEENS1_24BinaryOpListAlphaFunctorIlLi3ELi2ELi2EEEJNS1_13power_functorIlEElEEEvT_T0_DpT1_ ; -- Begin function _ZN2at6native12_GLOBAL__N_125multi_tensor_apply_kernelINS1_18TensorListMetadataILi3EEENS1_24BinaryOpListAlphaFunctorIlLi3ELi2ELi2EEEJNS1_13power_functorIlEElEEEvT_T0_DpT1_
	.p2align	8
	.type	_ZN2at6native12_GLOBAL__N_125multi_tensor_apply_kernelINS1_18TensorListMetadataILi3EEENS1_24BinaryOpListAlphaFunctorIlLi3ELi2ELi2EEEJNS1_13power_functorIlEElEEEvT_T0_DpT1_,@function
_ZN2at6native12_GLOBAL__N_125multi_tensor_apply_kernelINS1_18TensorListMetadataILi3EEENS1_24BinaryOpListAlphaFunctorIlLi3ELi2ELi2EEEJNS1_13power_functorIlEElEEEvT_T0_DpT1_: ; @_ZN2at6native12_GLOBAL__N_125multi_tensor_apply_kernelINS1_18TensorListMetadataILi3EEENS1_24BinaryOpListAlphaFunctorIlLi3ELi2ELi2EEEJNS1_13power_functorIlEElEEEvT_T0_DpT1_
; %bb.0:
	v_mov_b32_e32 v1, s15
	s_add_u32 s2, s0, s15
	s_mul_hi_u32 s3, s15, 3
	s_mul_i32 s15, s15, 3
	s_addc_u32 s4, s1, 0
	global_load_u8 v1, v1, s[0:1] offset:1536
	s_add_u32 s2, s2, s15
	s_addc_u32 s3, s4, s3
	s_mov_b32 s19, 0
	s_load_b32 s2, s[2:3], 0x740
	s_waitcnt vmcnt(0)
	v_readfirstlane_b32 s3, v1
	s_delay_alu instid0(VALU_DEP_1)
	s_lshl_b32 s3, s3, 3
	s_clause 0x3
	s_load_b64 s[4:5], s[0:1], s3 offset:0x0
	s_load_b64 s[6:7], s[0:1], s3 offset:0x180
	;; [unrolled: 1-line block ×4, first 2 shown]
	s_waitcnt lgkmcnt(0)
	s_ashr_i32 s3, s2, 31
	s_delay_alu instid0(SALU_CYCLE_1) | instskip(NEXT) | instid1(SALU_CYCLE_1)
	s_lshl_b64 s[16:17], s[2:3], 19
	s_add_u32 s12, s4, s16
	s_addc_u32 s13, s5, s17
	s_and_b32 s18, s12, 31
	s_add_u32 s14, s6, s16
	s_addc_u32 s15, s7, s17
	s_add_u32 s16, s8, s16
	s_addc_u32 s17, s9, s17
	s_or_b32 s4, s16, s14
	s_load_b64 s[6:7], s[0:1], 0xc50
	s_and_b32 s4, s4, 31
	s_mov_b32 s9, s19
	s_cmp_lg_u32 s4, 0
	s_cselect_b32 s20, -1, 0
	s_lshl_b64 s[2:3], s[2:3], 16
	s_delay_alu instid0(SALU_CYCLE_1) | instskip(SKIP_2) | instid1(SALU_CYCLE_1)
	s_sub_u32 s4, s10, s2
	s_subb_u32 s5, s11, s3
	s_and_b32 s8, s10, 3
	s_or_b64 s[2:3], s[18:19], s[8:9]
	s_delay_alu instid0(SALU_CYCLE_1) | instskip(SKIP_1) | instid1(SALU_CYCLE_1)
	s_cmp_lg_u64 s[2:3], 0
	s_cselect_b32 s2, -1, 0
	s_or_b32 s2, s20, s2
	s_delay_alu instid0(SALU_CYCLE_1)
	s_and_not1_b32 vcc_lo, exec_lo, s2
	s_mov_b32 s2, -1
	s_cbranch_vccz .LBB148_69
; %bb.1:
	v_dual_mov_b32 v18, 0 :: v_dual_lshlrev_b32 v17, 2, v0
	s_mov_b32 s8, exec_lo
	s_delay_alu instid0(VALU_DEP_1)
	v_cmpx_gt_i64_e64 s[4:5], v[17:18]
	s_cbranch_execz .LBB148_68
; %bb.2:
	s_load_b32 s2, s[0:1], 0xc64
	v_mov_b32_e32 v1, v18
	s_mov_b32 s10, 0
	s_delay_alu instid0(VALU_DEP_1)
	v_dual_mov_b32 v20, v1 :: v_dual_mov_b32 v19, v0
	s_waitcnt lgkmcnt(0)
	s_and_b32 s9, s2, 0xffff
	s_branch .LBB148_5
.LBB148_3:                              ;   in Loop: Header=BB148_5 Depth=1
	s_or_b32 exec_lo, exec_lo, s11
	s_delay_alu instid0(VALU_DEP_1)
	v_dual_mov_b32 v12, v4 :: v_dual_mov_b32 v11, v3
.LBB148_4:                              ;   in Loop: Header=BB148_5 Depth=1
	s_or_b32 exec_lo, exec_lo, s2
	v_add_co_u32 v19, vcc_lo, v19, s9
	v_add_co_ci_u32_e32 v20, vcc_lo, 0, v20, vcc_lo
	s_delay_alu instid0(VALU_DEP_1) | instskip(NEXT) | instid1(VALU_DEP_1)
	v_lshlrev_b64 v[1:2], 2, v[19:20]
	v_cmp_le_i64_e32 vcc_lo, s[4:5], v[1:2]
	v_cmp_lt_u64_e64 s2, 0xffff, v[1:2]
	v_add_co_u32 v1, s3, s16, v21
	s_delay_alu instid0(VALU_DEP_1) | instskip(SKIP_4) | instid1(SALU_CYCLE_1)
	v_add_co_ci_u32_e64 v2, s3, s17, v22, s3
	s_clause 0x1
	global_store_b128 v[1:2], v[5:8], off
	global_store_b128 v[1:2], v[9:12], off offset:16
	s_or_b32 s2, vcc_lo, s2
	s_and_b32 s2, exec_lo, s2
	s_delay_alu instid0(SALU_CYCLE_1) | instskip(NEXT) | instid1(SALU_CYCLE_1)
	s_or_b32 s10, s2, s10
	s_and_not1_b32 exec_lo, exec_lo, s10
	s_cbranch_execz .LBB148_68
.LBB148_5:                              ; =>This Loop Header: Depth=1
                                        ;     Child Loop BB148_8 Depth 2
                                        ;     Child Loop BB148_21 Depth 2
	;; [unrolled: 1-line block ×4, first 2 shown]
	s_delay_alu instid0(VALU_DEP_1) | instskip(SKIP_1) | instid1(VALU_DEP_1)
	v_lshlrev_b64 v[21:22], 5, v[19:20]
	s_mov_b32 s2, exec_lo
	v_add_co_u32 v1, vcc_lo, s14, v21
	s_delay_alu instid0(VALU_DEP_2)
	v_add_co_ci_u32_e32 v2, vcc_lo, s15, v22, vcc_lo
	v_add_co_u32 v13, vcc_lo, s12, v21
	v_add_co_ci_u32_e32 v14, vcc_lo, s13, v22, vcc_lo
	s_clause 0x1
	global_load_b128 v[5:8], v[1:2], off
	global_load_b128 v[9:12], v[1:2], off offset:16
	s_clause 0x1
	global_load_b128 v[1:4], v[13:14], off offset:16
	global_load_b128 v[13:16], v[13:14], off
	s_waitcnt vmcnt(3)
	v_mul_lo_u32 v6, v6, s6
	v_mul_lo_u32 v17, v5, s7
	v_mad_u64_u32 v[23:24], null, v5, s6, 0
	s_delay_alu instid0(VALU_DEP_1) | instskip(NEXT) | instid1(VALU_DEP_1)
	v_add3_u32 v24, v24, v17, v6
                                        ; implicit-def: $vgpr5_vgpr6
	v_cmpx_lt_i64_e32 -1, v[23:24]
	s_xor_b32 s2, exec_lo, s2
	s_cbranch_execz .LBB148_11
; %bb.6:                                ;   in Loop: Header=BB148_5 Depth=1
	v_mov_b32_e32 v5, 1
	v_mov_b32_e32 v6, 0
	s_mov_b32 s3, exec_lo
	v_cmpx_ne_u64_e32 0, v[23:24]
	s_cbranch_execz .LBB148_10
; %bb.7:                                ;   in Loop: Header=BB148_5 Depth=1
	v_mov_b32_e32 v25, 1
	v_mov_b32_e32 v26, 0
	s_mov_b32 s11, 0
	.p2align	6
.LBB148_8:                              ;   Parent Loop BB148_5 Depth=1
                                        ; =>  This Inner Loop Header: Depth=2
	v_and_b32_e32 v5, 1, v23
	s_waitcnt vmcnt(0)
	v_mul_lo_u32 v17, v13, v14
	v_mad_u64_u32 v[27:28], null, v13, v13, 0
	s_delay_alu instid0(VALU_DEP_3) | instskip(SKIP_2) | instid1(VALU_DEP_4)
	v_cmp_eq_u32_e32 vcc_lo, 1, v5
	v_dual_cndmask_b32 v14, 0, v14 :: v_dual_cndmask_b32 v29, 1, v13
	v_cmp_gt_u64_e32 vcc_lo, 2, v[23:24]
	v_add3_u32 v28, v28, v17, v17
	s_delay_alu instid0(VALU_DEP_3) | instskip(NEXT) | instid1(VALU_DEP_4)
	v_mad_u64_u32 v[5:6], null, v29, v25, 0
	v_mul_lo_u32 v25, v14, v25
	v_lshrrev_b64 v[13:14], 1, v[23:24]
	s_or_b32 s11, vcc_lo, s11
	s_delay_alu instid0(VALU_DEP_1) | instskip(SKIP_1) | instid1(VALU_DEP_3)
	v_mov_b32_e32 v24, v14
	v_mul_lo_u32 v26, v29, v26
	v_mov_b32_e32 v23, v13
	s_delay_alu instid0(VALU_DEP_2) | instskip(SKIP_1) | instid1(VALU_DEP_2)
	v_add3_u32 v6, v6, v26, v25
	v_dual_mov_b32 v13, v27 :: v_dual_mov_b32 v14, v28
	v_dual_mov_b32 v26, v6 :: v_dual_mov_b32 v25, v5
	s_and_not1_b32 exec_lo, exec_lo, s11
	s_cbranch_execnz .LBB148_8
; %bb.9:                                ;   in Loop: Header=BB148_5 Depth=1
	s_or_b32 exec_lo, exec_lo, s11
.LBB148_10:                             ;   in Loop: Header=BB148_5 Depth=1
	s_delay_alu instid0(SALU_CYCLE_1)
	s_or_b32 exec_lo, exec_lo, s3
                                        ; implicit-def: $vgpr23_vgpr24
.LBB148_11:                             ;   in Loop: Header=BB148_5 Depth=1
	s_and_not1_saveexec_b32 s2, s2
	s_cbranch_execz .LBB148_18
; %bb.12:                               ;   in Loop: Header=BB148_5 Depth=1
	s_mov_b32 s3, 0
	s_mov_b32 s11, 0
	s_mov_b32 s18, exec_lo
	s_waitcnt vmcnt(0)
	v_cmpx_lt_i64_e32 0, v[13:14]
	s_xor_b32 s18, exec_lo, s18
	s_cbranch_execnz .LBB148_55
; %bb.13:                               ;   in Loop: Header=BB148_5 Depth=1
	s_and_not1_saveexec_b32 s18, s18
	s_cbranch_execnz .LBB148_56
.LBB148_14:                             ;   in Loop: Header=BB148_5 Depth=1
	s_or_b32 exec_lo, exec_lo, s18
	s_and_saveexec_b32 s18, s11
	s_delay_alu instid0(SALU_CYCLE_1)
	s_xor_b32 s11, exec_lo, s18
	s_cbranch_execnz .LBB148_57
.LBB148_15:                             ;   in Loop: Header=BB148_5 Depth=1
	s_or_b32 exec_lo, exec_lo, s11
	s_and_saveexec_b32 s11, s3
.LBB148_16:                             ;   in Loop: Header=BB148_5 Depth=1
	v_and_b32_e32 v17, 1, v23
	s_delay_alu instid0(VALU_DEP_1)
	v_cmp_eq_u64_e32 vcc_lo, 0, v[17:18]
	v_cndmask_b32_e64 v14, -1, 0, vcc_lo
	v_cndmask_b32_e64 v13, -1, 1, vcc_lo
.LBB148_17:                             ;   in Loop: Header=BB148_5 Depth=1
	s_or_b32 exec_lo, exec_lo, s11
	s_delay_alu instid0(VALU_DEP_1)
	v_dual_mov_b32 v5, v13 :: v_dual_mov_b32 v6, v14
.LBB148_18:                             ;   in Loop: Header=BB148_5 Depth=1
	s_or_b32 exec_lo, exec_lo, s2
	v_mul_lo_u32 v8, v8, s6
	v_mul_lo_u32 v17, v7, s7
	s_waitcnt vmcnt(0)
	v_mad_u64_u32 v[13:14], null, v7, s6, 0
	s_mov_b32 s2, exec_lo
	s_delay_alu instid0(VALU_DEP_1) | instskip(NEXT) | instid1(VALU_DEP_1)
	v_add3_u32 v14, v14, v17, v8
	v_cmpx_lt_i64_e32 -1, v[13:14]
	s_xor_b32 s2, exec_lo, s2
	s_cbranch_execz .LBB148_24
; %bb.19:                               ;   in Loop: Header=BB148_5 Depth=1
	v_mov_b32_e32 v7, 1
	v_mov_b32_e32 v8, 0
	s_mov_b32 s3, exec_lo
	v_cmpx_ne_u64_e32 0, v[13:14]
	s_cbranch_execz .LBB148_23
; %bb.20:                               ;   in Loop: Header=BB148_5 Depth=1
	v_mov_b32_e32 v23, 1
	v_mov_b32_e32 v24, 0
	s_mov_b32 s11, 0
	.p2align	6
.LBB148_21:                             ;   Parent Loop BB148_5 Depth=1
                                        ; =>  This Inner Loop Header: Depth=2
	v_and_b32_e32 v7, 1, v13
	v_mul_lo_u32 v25, v15, v16
	s_delay_alu instid0(VALU_DEP_2) | instskip(SKIP_3) | instid1(VALU_DEP_3)
	v_cmp_eq_u32_e32 vcc_lo, 1, v7
	v_dual_cndmask_b32 v26, 1, v15 :: v_dual_cndmask_b32 v27, 0, v16
	v_mad_u64_u32 v[16:17], null, v15, v15, 0
	v_cmp_gt_u64_e32 vcc_lo, 2, v[13:14]
	v_mul_lo_u32 v15, v26, v24
	v_mad_u64_u32 v[7:8], null, v26, v23, 0
	v_mul_lo_u32 v26, v27, v23
	v_lshrrev_b64 v[23:24], 1, v[13:14]
	v_add3_u32 v17, v17, v25, v25
	s_or_b32 s11, vcc_lo, s11
	s_delay_alu instid0(VALU_DEP_3) | instskip(SKIP_1) | instid1(VALU_DEP_3)
	v_add3_u32 v8, v8, v15, v26
	v_mov_b32_e32 v15, v16
	v_dual_mov_b32 v13, v23 :: v_dual_mov_b32 v16, v17
	v_mov_b32_e32 v14, v24
	s_delay_alu instid0(VALU_DEP_4)
	v_dual_mov_b32 v24, v8 :: v_dual_mov_b32 v23, v7
	s_and_not1_b32 exec_lo, exec_lo, s11
	s_cbranch_execnz .LBB148_21
; %bb.22:                               ;   in Loop: Header=BB148_5 Depth=1
	s_or_b32 exec_lo, exec_lo, s11
.LBB148_23:                             ;   in Loop: Header=BB148_5 Depth=1
	s_delay_alu instid0(SALU_CYCLE_1)
	s_or_b32 exec_lo, exec_lo, s3
                                        ; implicit-def: $vgpr13_vgpr14
                                        ; implicit-def: $vgpr15_vgpr16
.LBB148_24:                             ;   in Loop: Header=BB148_5 Depth=1
	s_and_not1_saveexec_b32 s2, s2
	s_cbranch_execz .LBB148_31
; %bb.25:                               ;   in Loop: Header=BB148_5 Depth=1
	s_mov_b32 s3, 0
	s_mov_b32 s11, 0
	s_mov_b32 s18, exec_lo
	v_cmpx_lt_i64_e32 0, v[15:16]
	s_xor_b32 s18, exec_lo, s18
	s_cbranch_execnz .LBB148_58
; %bb.26:                               ;   in Loop: Header=BB148_5 Depth=1
	s_and_not1_saveexec_b32 s18, s18
	s_cbranch_execnz .LBB148_59
.LBB148_27:                             ;   in Loop: Header=BB148_5 Depth=1
	s_or_b32 exec_lo, exec_lo, s18
	s_and_saveexec_b32 s18, s11
	s_delay_alu instid0(SALU_CYCLE_1)
	s_xor_b32 s11, exec_lo, s18
	s_cbranch_execnz .LBB148_60
.LBB148_28:                             ;   in Loop: Header=BB148_5 Depth=1
	s_or_b32 exec_lo, exec_lo, s11
	s_and_saveexec_b32 s11, s3
.LBB148_29:                             ;   in Loop: Header=BB148_5 Depth=1
	v_and_b32_e32 v17, 1, v13
	s_delay_alu instid0(VALU_DEP_1)
	v_cmp_eq_u64_e32 vcc_lo, 0, v[17:18]
	v_cndmask_b32_e64 v16, -1, 0, vcc_lo
	v_cndmask_b32_e64 v15, -1, 1, vcc_lo
.LBB148_30:                             ;   in Loop: Header=BB148_5 Depth=1
	s_or_b32 exec_lo, exec_lo, s11
	s_delay_alu instid0(VALU_DEP_1)
	v_dual_mov_b32 v7, v15 :: v_dual_mov_b32 v8, v16
.LBB148_31:                             ;   in Loop: Header=BB148_5 Depth=1
	s_or_b32 exec_lo, exec_lo, s2
	v_mul_lo_u32 v10, v10, s6
	v_mul_lo_u32 v15, v9, s7
	v_mad_u64_u32 v[13:14], null, v9, s6, 0
	s_mov_b32 s2, exec_lo
	s_delay_alu instid0(VALU_DEP_1) | instskip(NEXT) | instid1(VALU_DEP_1)
	v_add3_u32 v14, v14, v15, v10
                                        ; implicit-def: $vgpr9_vgpr10
	v_cmpx_lt_i64_e32 -1, v[13:14]
	s_xor_b32 s2, exec_lo, s2
	s_cbranch_execz .LBB148_37
; %bb.32:                               ;   in Loop: Header=BB148_5 Depth=1
	v_mov_b32_e32 v9, 1
	v_mov_b32_e32 v10, 0
	s_mov_b32 s3, exec_lo
	v_cmpx_ne_u64_e32 0, v[13:14]
	s_cbranch_execz .LBB148_36
; %bb.33:                               ;   in Loop: Header=BB148_5 Depth=1
	v_mov_b32_e32 v15, 1
	v_mov_b32_e32 v16, 0
	s_mov_b32 s11, 0
	.p2align	6
.LBB148_34:                             ;   Parent Loop BB148_5 Depth=1
                                        ; =>  This Inner Loop Header: Depth=2
	v_and_b32_e32 v9, 1, v13
	v_mul_lo_u32 v17, v1, v2
	v_mad_u64_u32 v[23:24], null, v1, v1, 0
	s_delay_alu instid0(VALU_DEP_3) | instskip(SKIP_2) | instid1(VALU_DEP_4)
	v_cmp_eq_u32_e32 vcc_lo, 1, v9
	v_dual_cndmask_b32 v2, 0, v2 :: v_dual_cndmask_b32 v25, 1, v1
	v_cmp_gt_u64_e32 vcc_lo, 2, v[13:14]
	v_add3_u32 v24, v24, v17, v17
	s_delay_alu instid0(VALU_DEP_3) | instskip(NEXT) | instid1(VALU_DEP_4)
	v_mad_u64_u32 v[9:10], null, v25, v15, 0
	v_mul_lo_u32 v15, v2, v15
	v_lshrrev_b64 v[1:2], 1, v[13:14]
	s_or_b32 s11, vcc_lo, s11
	s_delay_alu instid0(VALU_DEP_1) | instskip(SKIP_1) | instid1(VALU_DEP_3)
	v_mov_b32_e32 v14, v2
	v_mul_lo_u32 v16, v25, v16
	v_mov_b32_e32 v13, v1
	s_delay_alu instid0(VALU_DEP_2) | instskip(SKIP_1) | instid1(VALU_DEP_2)
	v_add3_u32 v10, v10, v16, v15
	v_dual_mov_b32 v1, v23 :: v_dual_mov_b32 v2, v24
	v_dual_mov_b32 v16, v10 :: v_dual_mov_b32 v15, v9
	s_and_not1_b32 exec_lo, exec_lo, s11
	s_cbranch_execnz .LBB148_34
; %bb.35:                               ;   in Loop: Header=BB148_5 Depth=1
	s_or_b32 exec_lo, exec_lo, s11
.LBB148_36:                             ;   in Loop: Header=BB148_5 Depth=1
	s_delay_alu instid0(SALU_CYCLE_1)
	s_or_b32 exec_lo, exec_lo, s3
                                        ; implicit-def: $vgpr13_vgpr14
.LBB148_37:                             ;   in Loop: Header=BB148_5 Depth=1
	s_and_not1_saveexec_b32 s2, s2
	s_cbranch_execz .LBB148_44
; %bb.38:                               ;   in Loop: Header=BB148_5 Depth=1
	s_mov_b32 s3, 0
	s_mov_b32 s11, 0
	s_mov_b32 s18, exec_lo
	v_cmpx_lt_i64_e32 0, v[1:2]
	s_xor_b32 s18, exec_lo, s18
	s_cbranch_execnz .LBB148_61
; %bb.39:                               ;   in Loop: Header=BB148_5 Depth=1
	s_and_not1_saveexec_b32 s18, s18
	s_cbranch_execnz .LBB148_62
.LBB148_40:                             ;   in Loop: Header=BB148_5 Depth=1
	s_or_b32 exec_lo, exec_lo, s18
	s_and_saveexec_b32 s18, s11
	s_delay_alu instid0(SALU_CYCLE_1)
	s_xor_b32 s11, exec_lo, s18
	s_cbranch_execnz .LBB148_63
.LBB148_41:                             ;   in Loop: Header=BB148_5 Depth=1
	s_or_b32 exec_lo, exec_lo, s11
	s_and_saveexec_b32 s11, s3
.LBB148_42:                             ;   in Loop: Header=BB148_5 Depth=1
	v_and_b32_e32 v17, 1, v13
	s_delay_alu instid0(VALU_DEP_1)
	v_cmp_eq_u64_e32 vcc_lo, 0, v[17:18]
	v_cndmask_b32_e64 v2, -1, 0, vcc_lo
	v_cndmask_b32_e64 v1, -1, 1, vcc_lo
.LBB148_43:                             ;   in Loop: Header=BB148_5 Depth=1
	s_or_b32 exec_lo, exec_lo, s11
	s_delay_alu instid0(VALU_DEP_1)
	v_dual_mov_b32 v10, v2 :: v_dual_mov_b32 v9, v1
.LBB148_44:                             ;   in Loop: Header=BB148_5 Depth=1
	s_or_b32 exec_lo, exec_lo, s2
	v_mul_lo_u32 v12, v12, s6
	v_mul_lo_u32 v13, v11, s7
	v_mad_u64_u32 v[1:2], null, v11, s6, 0
	s_mov_b32 s2, exec_lo
	s_delay_alu instid0(VALU_DEP_1) | instskip(NEXT) | instid1(VALU_DEP_1)
	v_add3_u32 v2, v2, v13, v12
	v_cmpx_lt_i64_e32 -1, v[1:2]
	s_xor_b32 s2, exec_lo, s2
	s_cbranch_execz .LBB148_50
; %bb.45:                               ;   in Loop: Header=BB148_5 Depth=1
	v_mov_b32_e32 v11, 1
	v_mov_b32_e32 v12, 0
	s_mov_b32 s3, exec_lo
	v_cmpx_ne_u64_e32 0, v[1:2]
	s_cbranch_execz .LBB148_49
; %bb.46:                               ;   in Loop: Header=BB148_5 Depth=1
	v_mov_b32_e32 v13, 1
	v_mov_b32_e32 v14, 0
	s_mov_b32 s11, 0
	.p2align	6
.LBB148_47:                             ;   Parent Loop BB148_5 Depth=1
                                        ; =>  This Inner Loop Header: Depth=2
	v_and_b32_e32 v11, 1, v1
	v_mul_lo_u32 v17, v3, v4
	v_mad_u64_u32 v[15:16], null, v3, v3, 0
	s_delay_alu instid0(VALU_DEP_3) | instskip(SKIP_1) | instid1(VALU_DEP_3)
	v_cmp_eq_u32_e32 vcc_lo, 1, v11
	v_dual_cndmask_b32 v4, 0, v4 :: v_dual_cndmask_b32 v23, 1, v3
	v_add3_u32 v16, v16, v17, v17
	v_cmp_gt_u64_e32 vcc_lo, 2, v[1:2]
	s_delay_alu instid0(VALU_DEP_3) | instskip(NEXT) | instid1(VALU_DEP_4)
	v_mad_u64_u32 v[11:12], null, v23, v13, 0
	v_mul_lo_u32 v13, v4, v13
	v_lshrrev_b64 v[3:4], 1, v[1:2]
	s_or_b32 s11, vcc_lo, s11
	s_delay_alu instid0(VALU_DEP_1) | instskip(SKIP_1) | instid1(VALU_DEP_1)
	v_dual_mov_b32 v1, v3 :: v_dual_mov_b32 v2, v4
	v_mul_lo_u32 v14, v23, v14
	v_add3_u32 v12, v12, v14, v13
	v_dual_mov_b32 v3, v15 :: v_dual_mov_b32 v4, v16
	s_delay_alu instid0(VALU_DEP_2)
	v_dual_mov_b32 v14, v12 :: v_dual_mov_b32 v13, v11
	s_and_not1_b32 exec_lo, exec_lo, s11
	s_cbranch_execnz .LBB148_47
; %bb.48:                               ;   in Loop: Header=BB148_5 Depth=1
	s_or_b32 exec_lo, exec_lo, s11
.LBB148_49:                             ;   in Loop: Header=BB148_5 Depth=1
	s_delay_alu instid0(SALU_CYCLE_1)
	s_or_b32 exec_lo, exec_lo, s3
                                        ; implicit-def: $vgpr1_vgpr2
                                        ; implicit-def: $vgpr3_vgpr4
.LBB148_50:                             ;   in Loop: Header=BB148_5 Depth=1
	s_and_not1_saveexec_b32 s2, s2
	s_cbranch_execz .LBB148_4
; %bb.51:                               ;   in Loop: Header=BB148_5 Depth=1
	s_mov_b32 s3, 0
	s_mov_b32 s11, 0
	s_mov_b32 s18, exec_lo
	v_cmpx_lt_i64_e32 0, v[3:4]
	s_xor_b32 s18, exec_lo, s18
	s_cbranch_execnz .LBB148_64
; %bb.52:                               ;   in Loop: Header=BB148_5 Depth=1
	s_and_not1_saveexec_b32 s18, s18
	s_cbranch_execnz .LBB148_65
.LBB148_53:                             ;   in Loop: Header=BB148_5 Depth=1
	s_or_b32 exec_lo, exec_lo, s18
	s_and_saveexec_b32 s18, s11
	s_delay_alu instid0(SALU_CYCLE_1)
	s_xor_b32 s11, exec_lo, s18
	s_cbranch_execnz .LBB148_66
.LBB148_54:                             ;   in Loop: Header=BB148_5 Depth=1
	s_or_b32 exec_lo, exec_lo, s11
	s_and_saveexec_b32 s11, s3
	s_cbranch_execz .LBB148_3
	s_branch .LBB148_67
.LBB148_55:                             ;   in Loop: Header=BB148_5 Depth=1
	v_cmp_ne_u64_e32 vcc_lo, 1, v[13:14]
	s_and_b32 s11, vcc_lo, exec_lo
	s_and_not1_saveexec_b32 s18, s18
	s_cbranch_execz .LBB148_14
.LBB148_56:                             ;   in Loop: Header=BB148_5 Depth=1
	v_cmp_ne_u64_e32 vcc_lo, -1, v[13:14]
	s_and_not1_b32 s11, s11, exec_lo
	s_mov_b32 s3, exec_lo
	s_and_b32 s19, vcc_lo, exec_lo
	s_delay_alu instid0(SALU_CYCLE_1) | instskip(SKIP_2) | instid1(SALU_CYCLE_1)
	s_or_b32 s11, s11, s19
	s_or_b32 exec_lo, exec_lo, s18
	s_and_saveexec_b32 s18, s11
	s_xor_b32 s11, exec_lo, s18
	s_cbranch_execz .LBB148_15
.LBB148_57:                             ;   in Loop: Header=BB148_5 Depth=1
	v_mov_b32_e32 v13, 0
	v_mov_b32_e32 v14, 0
	s_and_not1_b32 s3, s3, exec_lo
	s_or_b32 exec_lo, exec_lo, s11
	s_and_saveexec_b32 s11, s3
	s_cbranch_execnz .LBB148_16
	s_branch .LBB148_17
.LBB148_58:                             ;   in Loop: Header=BB148_5 Depth=1
	v_cmp_ne_u64_e32 vcc_lo, 1, v[15:16]
	s_and_b32 s11, vcc_lo, exec_lo
	s_and_not1_saveexec_b32 s18, s18
	s_cbranch_execz .LBB148_27
.LBB148_59:                             ;   in Loop: Header=BB148_5 Depth=1
	v_cmp_ne_u64_e32 vcc_lo, -1, v[15:16]
	s_and_not1_b32 s11, s11, exec_lo
	s_mov_b32 s3, exec_lo
                                        ; implicit-def: $vgpr15_vgpr16
	s_and_b32 s19, vcc_lo, exec_lo
	s_delay_alu instid0(SALU_CYCLE_1) | instskip(SKIP_2) | instid1(SALU_CYCLE_1)
	s_or_b32 s11, s11, s19
	s_or_b32 exec_lo, exec_lo, s18
	s_and_saveexec_b32 s18, s11
	s_xor_b32 s11, exec_lo, s18
	s_cbranch_execz .LBB148_28
.LBB148_60:                             ;   in Loop: Header=BB148_5 Depth=1
	v_mov_b32_e32 v15, 0
	v_mov_b32_e32 v16, 0
	s_and_not1_b32 s3, s3, exec_lo
	s_or_b32 exec_lo, exec_lo, s11
	s_and_saveexec_b32 s11, s3
	s_cbranch_execnz .LBB148_29
	s_branch .LBB148_30
.LBB148_61:                             ;   in Loop: Header=BB148_5 Depth=1
	v_cmp_ne_u64_e32 vcc_lo, 1, v[1:2]
	s_and_b32 s11, vcc_lo, exec_lo
	s_and_not1_saveexec_b32 s18, s18
	s_cbranch_execz .LBB148_40
.LBB148_62:                             ;   in Loop: Header=BB148_5 Depth=1
	v_cmp_ne_u64_e32 vcc_lo, -1, v[1:2]
	s_and_not1_b32 s11, s11, exec_lo
	s_mov_b32 s3, exec_lo
	s_and_b32 s19, vcc_lo, exec_lo
	s_delay_alu instid0(SALU_CYCLE_1) | instskip(SKIP_2) | instid1(SALU_CYCLE_1)
	s_or_b32 s11, s11, s19
	s_or_b32 exec_lo, exec_lo, s18
	s_and_saveexec_b32 s18, s11
	s_xor_b32 s11, exec_lo, s18
	s_cbranch_execz .LBB148_41
.LBB148_63:                             ;   in Loop: Header=BB148_5 Depth=1
	v_mov_b32_e32 v1, 0
	v_mov_b32_e32 v2, 0
	s_and_not1_b32 s3, s3, exec_lo
	s_or_b32 exec_lo, exec_lo, s11
	s_and_saveexec_b32 s11, s3
	s_cbranch_execnz .LBB148_42
	s_branch .LBB148_43
.LBB148_64:                             ;   in Loop: Header=BB148_5 Depth=1
	v_cmp_ne_u64_e32 vcc_lo, 1, v[3:4]
	s_and_b32 s11, vcc_lo, exec_lo
	s_and_not1_saveexec_b32 s18, s18
	s_cbranch_execz .LBB148_53
.LBB148_65:                             ;   in Loop: Header=BB148_5 Depth=1
	v_cmp_ne_u64_e32 vcc_lo, -1, v[3:4]
	s_and_not1_b32 s11, s11, exec_lo
	s_mov_b32 s3, exec_lo
                                        ; implicit-def: $vgpr3_vgpr4
	s_and_b32 s19, vcc_lo, exec_lo
	s_delay_alu instid0(SALU_CYCLE_1) | instskip(SKIP_2) | instid1(SALU_CYCLE_1)
	s_or_b32 s11, s11, s19
	s_or_b32 exec_lo, exec_lo, s18
	s_and_saveexec_b32 s18, s11
	s_xor_b32 s11, exec_lo, s18
	s_cbranch_execz .LBB148_54
.LBB148_66:                             ;   in Loop: Header=BB148_5 Depth=1
	v_mov_b32_e32 v3, 0
	v_mov_b32_e32 v4, 0
	s_and_not1_b32 s3, s3, exec_lo
	s_or_b32 exec_lo, exec_lo, s11
	s_and_saveexec_b32 s11, s3
	s_cbranch_execz .LBB148_3
.LBB148_67:                             ;   in Loop: Header=BB148_5 Depth=1
	v_and_b32_e32 v17, 1, v1
	s_delay_alu instid0(VALU_DEP_1)
	v_cmp_eq_u64_e32 vcc_lo, 0, v[17:18]
	v_cndmask_b32_e64 v4, -1, 0, vcc_lo
	v_cndmask_b32_e64 v3, -1, 1, vcc_lo
	s_branch .LBB148_3
.LBB148_68:
	s_or_b32 exec_lo, exec_lo, s8
	s_mov_b32 s2, 0
.LBB148_69:
	s_delay_alu instid0(SALU_CYCLE_1)
	s_and_not1_b32 vcc_lo, exec_lo, s2
	s_cbranch_vccnz .LBB148_153
; %bb.70:
	v_cmp_lt_i64_e64 s2, s[4:5], 1
	s_delay_alu instid0(VALU_DEP_1)
	s_and_b32 vcc_lo, exec_lo, s2
	s_cbranch_vccnz .LBB148_153
; %bb.71:
	s_load_b32 s0, s[0:1], 0xc64
	v_cmp_gt_u64_e64 s1, 0x10000, s[4:5]
	v_mov_b32_e32 v2, 0
	s_mov_b64 s[10:11], 0
	s_waitcnt lgkmcnt(0)
	s_and_b32 s18, s0, 0xffff
	s_delay_alu instid0(VALU_DEP_2)
	s_and_b32 s0, s1, exec_lo
	s_cselect_b32 s9, s5, 0
	s_cselect_b32 s8, s4, 0x10000
	s_lshl_b32 s19, s18, 1
	s_mul_i32 s20, s18, 3
	s_lshl_b32 s21, s18, 2
	s_branch .LBB148_73
.LBB148_72:                             ;   in Loop: Header=BB148_73 Depth=1
	s_or_b32 exec_lo, exec_lo, s0
	s_add_u32 s10, s10, s21
	s_addc_u32 s11, s11, 0
	s_delay_alu instid0(SALU_CYCLE_1) | instskip(SKIP_1) | instid1(VALU_DEP_1)
	v_cmp_ge_i64_e64 s0, s[10:11], s[4:5]
	v_cmp_lt_u64_e64 s1, 0xffff, s[10:11]
	s_or_b32 s0, s0, s1
	s_delay_alu instid0(SALU_CYCLE_1)
	s_and_b32 vcc_lo, exec_lo, s0
	s_cbranch_vccnz .LBB148_153
.LBB148_73:                             ; =>This Loop Header: Depth=1
                                        ;     Child Loop BB148_84 Depth 2
                                        ;     Child Loop BB148_97 Depth 2
	;; [unrolled: 1-line block ×4, first 2 shown]
	v_add_co_u32 v9, s0, s10, v0
	s_delay_alu instid0(VALU_DEP_1) | instskip(SKIP_2) | instid1(VALU_DEP_2)
	v_add_co_ci_u32_e64 v10, null, s11, 0, s0
	v_mov_b32_e32 v21, 0
	v_mov_b32_e32 v22, 0
	;; [unrolled: 1-line block ×3, first 2 shown]
	s_delay_alu instid0(VALU_DEP_4) | instskip(SKIP_1) | instid1(VALU_DEP_4)
	v_cmp_gt_u64_e32 vcc_lo, s[8:9], v[9:10]
	v_lshlrev_b64 v[3:4], 3, v[9:10]
	v_mov_b32_e32 v14, v22
	v_dual_mov_b32 v26, v22 :: v_dual_mov_b32 v25, v21
	s_and_saveexec_b32 s1, vcc_lo
	s_cbranch_execz .LBB148_75
; %bb.74:                               ;   in Loop: Header=BB148_73 Depth=1
	s_delay_alu instid0(VALU_DEP_3) | instskip(NEXT) | instid1(VALU_DEP_1)
	v_add_co_u32 v5, s0, s12, v3
	v_add_co_ci_u32_e64 v6, s0, s13, v4, s0
	v_add_co_u32 v7, s0, s14, v3
	s_delay_alu instid0(VALU_DEP_1)
	v_add_co_ci_u32_e64 v8, s0, s15, v4, s0
	global_load_b64 v[25:26], v[5:6], off
	global_load_b64 v[13:14], v[7:8], off
.LBB148_75:                             ;   in Loop: Header=BB148_73 Depth=1
	s_or_b32 exec_lo, exec_lo, s1
	v_add_co_u32 v5, s0, v9, s18
	s_delay_alu instid0(VALU_DEP_1) | instskip(SKIP_1) | instid1(VALU_DEP_2)
	v_add_co_ci_u32_e64 v6, s0, 0, v10, s0
	v_dual_mov_b32 v19, v21 :: v_dual_mov_b32 v20, v22
	v_cmp_gt_u64_e64 s0, s[8:9], v[5:6]
	v_lshlrev_b64 v[5:6], 3, v[5:6]
	s_delay_alu instid0(VALU_DEP_2)
	s_and_saveexec_b32 s2, s0
	s_cbranch_execz .LBB148_77
; %bb.76:                               ;   in Loop: Header=BB148_73 Depth=1
	s_delay_alu instid0(VALU_DEP_1) | instskip(NEXT) | instid1(VALU_DEP_1)
	v_add_co_u32 v7, s1, s12, v5
	v_add_co_ci_u32_e64 v8, s1, s13, v6, s1
	v_add_co_u32 v11, s1, s14, v5
	s_delay_alu instid0(VALU_DEP_1)
	v_add_co_ci_u32_e64 v12, s1, s15, v6, s1
	global_load_b64 v[21:22], v[7:8], off
	global_load_b64 v[19:20], v[11:12], off
.LBB148_77:                             ;   in Loop: Header=BB148_73 Depth=1
	s_or_b32 exec_lo, exec_lo, s2
	v_add_co_u32 v7, s1, v9, s19
	s_delay_alu instid0(VALU_DEP_1) | instskip(SKIP_2) | instid1(VALU_DEP_3)
	v_add_co_ci_u32_e64 v8, s1, 0, v10, s1
	v_mov_b32_e32 v11, 0
	v_mov_b32_e32 v12, 0
	v_cmp_gt_u64_e64 s1, s[8:9], v[7:8]
	v_lshlrev_b64 v[7:8], 3, v[7:8]
	s_delay_alu instid0(VALU_DEP_3) | instskip(SKIP_1) | instid1(VALU_DEP_4)
	v_dual_mov_b32 v18, v12 :: v_dual_mov_b32 v17, v11
	v_dual_mov_b32 v24, v12 :: v_dual_mov_b32 v23, v11
	s_and_saveexec_b32 s3, s1
	s_cbranch_execz .LBB148_79
; %bb.78:                               ;   in Loop: Header=BB148_73 Depth=1
	s_delay_alu instid0(VALU_DEP_3) | instskip(NEXT) | instid1(VALU_DEP_1)
	v_add_co_u32 v15, s2, s12, v7
	v_add_co_ci_u32_e64 v16, s2, s13, v8, s2
	v_add_co_u32 v23, s2, s14, v7
	s_delay_alu instid0(VALU_DEP_1)
	v_add_co_ci_u32_e64 v24, s2, s15, v8, s2
	global_load_b64 v[17:18], v[15:16], off
	global_load_b64 v[23:24], v[23:24], off
.LBB148_79:                             ;   in Loop: Header=BB148_73 Depth=1
	s_or_b32 exec_lo, exec_lo, s3
	v_add_co_u32 v9, s2, v9, s20
	s_delay_alu instid0(VALU_DEP_1) | instskip(SKIP_1) | instid1(VALU_DEP_2)
	v_add_co_ci_u32_e64 v10, s2, 0, v10, s2
	v_dual_mov_b32 v16, v12 :: v_dual_mov_b32 v15, v11
	v_cmp_gt_u64_e64 s2, s[8:9], v[9:10]
	v_lshlrev_b64 v[9:10], 3, v[9:10]
	s_delay_alu instid0(VALU_DEP_2)
	s_and_saveexec_b32 s22, s2
	s_cbranch_execz .LBB148_81
; %bb.80:                               ;   in Loop: Header=BB148_73 Depth=1
	s_delay_alu instid0(VALU_DEP_1) | instskip(NEXT) | instid1(VALU_DEP_1)
	v_add_co_u32 v11, s3, s12, v9
	v_add_co_ci_u32_e64 v12, s3, s13, v10, s3
	v_add_co_u32 v15, s3, s14, v9
	s_delay_alu instid0(VALU_DEP_1)
	v_add_co_ci_u32_e64 v16, s3, s15, v10, s3
	global_load_b64 v[11:12], v[11:12], off
	global_load_b64 v[15:16], v[15:16], off
.LBB148_81:                             ;   in Loop: Header=BB148_73 Depth=1
	s_or_b32 exec_lo, exec_lo, s22
	s_waitcnt vmcnt(0)
	v_mul_lo_u32 v1, v14, s6
	v_mul_lo_u32 v14, v13, s7
	v_mad_u64_u32 v[27:28], null, v13, s6, 0
	s_mov_b32 s22, exec_lo
	s_delay_alu instid0(VALU_DEP_1) | instskip(NEXT) | instid1(VALU_DEP_1)
	v_add3_u32 v28, v28, v14, v1
                                        ; implicit-def: $vgpr13_vgpr14
	v_cmpx_lt_i64_e32 -1, v[27:28]
	s_xor_b32 s22, exec_lo, s22
	s_cbranch_execz .LBB148_87
; %bb.82:                               ;   in Loop: Header=BB148_73 Depth=1
	v_mov_b32_e32 v13, 1
	v_mov_b32_e32 v14, 0
	s_mov_b32 s23, exec_lo
	v_cmpx_ne_u64_e32 0, v[27:28]
	s_cbranch_execz .LBB148_86
; %bb.83:                               ;   in Loop: Header=BB148_73 Depth=1
	v_mov_b32_e32 v29, 1
	v_mov_b32_e32 v30, 0
	s_mov_b32 s24, 0
	s_set_inst_prefetch_distance 0x1
	.p2align	6
.LBB148_84:                             ;   Parent Loop BB148_73 Depth=1
                                        ; =>  This Inner Loop Header: Depth=2
	v_and_b32_e32 v1, 1, v27
	v_mad_u64_u32 v[31:32], null, v25, v25, 0
	s_delay_alu instid0(VALU_DEP_2) | instskip(SKIP_1) | instid1(VALU_DEP_2)
	v_cmp_eq_u32_e64 s3, 1, v1
	v_mul_lo_u32 v1, v25, v26
	v_cndmask_b32_e64 v33, 1, v25, s3
	v_cndmask_b32_e64 v26, 0, v26, s3
	v_cmp_gt_u64_e64 s3, 2, v[27:28]
	s_delay_alu instid0(VALU_DEP_4) | instskip(NEXT) | instid1(VALU_DEP_4)
	v_add3_u32 v32, v32, v1, v1
	v_mul_lo_u32 v30, v33, v30
	v_mad_u64_u32 v[13:14], null, v33, v29, 0
	v_mul_lo_u32 v29, v26, v29
	v_lshrrev_b64 v[25:26], 1, v[27:28]
	s_or_b32 s24, s3, s24
	s_delay_alu instid0(VALU_DEP_1) | instskip(NEXT) | instid1(VALU_DEP_3)
	v_mov_b32_e32 v28, v26
	v_add3_u32 v14, v14, v30, v29
	s_delay_alu instid0(VALU_DEP_3) | instskip(SKIP_1) | instid1(VALU_DEP_3)
	v_mov_b32_e32 v27, v25
	v_dual_mov_b32 v25, v31 :: v_dual_mov_b32 v26, v32
	v_dual_mov_b32 v30, v14 :: v_dual_mov_b32 v29, v13
	s_and_not1_b32 exec_lo, exec_lo, s24
	s_cbranch_execnz .LBB148_84
; %bb.85:                               ;   in Loop: Header=BB148_73 Depth=1
	s_set_inst_prefetch_distance 0x2
	s_or_b32 exec_lo, exec_lo, s24
.LBB148_86:                             ;   in Loop: Header=BB148_73 Depth=1
	s_delay_alu instid0(SALU_CYCLE_1)
	s_or_b32 exec_lo, exec_lo, s23
                                        ; implicit-def: $vgpr27_vgpr28
                                        ; implicit-def: $vgpr25_vgpr26
.LBB148_87:                             ;   in Loop: Header=BB148_73 Depth=1
	s_and_not1_saveexec_b32 s22, s22
	s_cbranch_execz .LBB148_94
; %bb.88:                               ;   in Loop: Header=BB148_73 Depth=1
	s_mov_b32 s23, 0
	s_mov_b32 s24, 0
	s_mov_b32 s25, exec_lo
	v_cmpx_lt_i64_e32 0, v[25:26]
	s_xor_b32 s25, exec_lo, s25
	s_cbranch_execnz .LBB148_141
; %bb.89:                               ;   in Loop: Header=BB148_73 Depth=1
	s_and_not1_saveexec_b32 s25, s25
	s_cbranch_execnz .LBB148_142
.LBB148_90:                             ;   in Loop: Header=BB148_73 Depth=1
	s_or_b32 exec_lo, exec_lo, s25
	s_and_saveexec_b32 s3, s24
	s_delay_alu instid0(SALU_CYCLE_1)
	s_xor_b32 s3, exec_lo, s3
	s_cbranch_execnz .LBB148_143
.LBB148_91:                             ;   in Loop: Header=BB148_73 Depth=1
	s_or_b32 exec_lo, exec_lo, s3
	s_and_saveexec_b32 s24, s23
.LBB148_92:                             ;   in Loop: Header=BB148_73 Depth=1
	v_and_b32_e32 v1, 1, v27
	s_delay_alu instid0(VALU_DEP_1) | instskip(NEXT) | instid1(VALU_DEP_1)
	v_cmp_eq_u64_e64 s3, 0, v[1:2]
	v_cndmask_b32_e64 v26, -1, 0, s3
	v_cndmask_b32_e64 v25, -1, 1, s3
.LBB148_93:                             ;   in Loop: Header=BB148_73 Depth=1
	s_or_b32 exec_lo, exec_lo, s24
	s_delay_alu instid0(VALU_DEP_1)
	v_dual_mov_b32 v13, v25 :: v_dual_mov_b32 v14, v26
.LBB148_94:                             ;   in Loop: Header=BB148_73 Depth=1
	s_or_b32 exec_lo, exec_lo, s22
	v_mul_lo_u32 v1, v20, s6
	v_mul_lo_u32 v20, v19, s7
	v_mad_u64_u32 v[25:26], null, v19, s6, 0
	s_mov_b32 s22, exec_lo
	s_delay_alu instid0(VALU_DEP_1) | instskip(NEXT) | instid1(VALU_DEP_1)
	v_add3_u32 v26, v26, v20, v1
                                        ; implicit-def: $vgpr19_vgpr20
	v_cmpx_lt_i64_e32 -1, v[25:26]
	s_xor_b32 s22, exec_lo, s22
	s_cbranch_execz .LBB148_100
; %bb.95:                               ;   in Loop: Header=BB148_73 Depth=1
	v_mov_b32_e32 v19, 1
	v_mov_b32_e32 v20, 0
	s_mov_b32 s23, exec_lo
	v_cmpx_ne_u64_e32 0, v[25:26]
	s_cbranch_execz .LBB148_99
; %bb.96:                               ;   in Loop: Header=BB148_73 Depth=1
	v_mov_b32_e32 v27, 1
	v_mov_b32_e32 v28, 0
	s_mov_b32 s24, 0
	s_set_inst_prefetch_distance 0x1
	.p2align	6
.LBB148_97:                             ;   Parent Loop BB148_73 Depth=1
                                        ; =>  This Inner Loop Header: Depth=2
	v_and_b32_e32 v1, 1, v25
	v_mad_u64_u32 v[29:30], null, v21, v21, 0
	s_delay_alu instid0(VALU_DEP_2) | instskip(SKIP_1) | instid1(VALU_DEP_2)
	v_cmp_eq_u32_e64 s3, 1, v1
	v_mul_lo_u32 v1, v21, v22
	v_cndmask_b32_e64 v31, 1, v21, s3
	v_cndmask_b32_e64 v22, 0, v22, s3
	v_cmp_gt_u64_e64 s3, 2, v[25:26]
	s_delay_alu instid0(VALU_DEP_4) | instskip(NEXT) | instid1(VALU_DEP_4)
	v_add3_u32 v30, v30, v1, v1
	v_mul_lo_u32 v28, v31, v28
	v_mad_u64_u32 v[19:20], null, v31, v27, 0
	v_mul_lo_u32 v27, v22, v27
	v_lshrrev_b64 v[21:22], 1, v[25:26]
	s_or_b32 s24, s3, s24
	s_delay_alu instid0(VALU_DEP_1) | instskip(NEXT) | instid1(VALU_DEP_3)
	v_mov_b32_e32 v26, v22
	v_add3_u32 v20, v20, v28, v27
	s_delay_alu instid0(VALU_DEP_3) | instskip(SKIP_1) | instid1(VALU_DEP_3)
	v_mov_b32_e32 v25, v21
	v_dual_mov_b32 v21, v29 :: v_dual_mov_b32 v22, v30
	v_dual_mov_b32 v28, v20 :: v_dual_mov_b32 v27, v19
	s_and_not1_b32 exec_lo, exec_lo, s24
	s_cbranch_execnz .LBB148_97
; %bb.98:                               ;   in Loop: Header=BB148_73 Depth=1
	s_set_inst_prefetch_distance 0x2
	s_or_b32 exec_lo, exec_lo, s24
.LBB148_99:                             ;   in Loop: Header=BB148_73 Depth=1
	s_delay_alu instid0(SALU_CYCLE_1)
	s_or_b32 exec_lo, exec_lo, s23
                                        ; implicit-def: $vgpr25_vgpr26
                                        ; implicit-def: $vgpr21_vgpr22
.LBB148_100:                            ;   in Loop: Header=BB148_73 Depth=1
	s_and_not1_saveexec_b32 s22, s22
	s_cbranch_execz .LBB148_107
; %bb.101:                              ;   in Loop: Header=BB148_73 Depth=1
	s_mov_b32 s23, 0
	s_mov_b32 s24, 0
	s_mov_b32 s25, exec_lo
	v_cmpx_lt_i64_e32 0, v[21:22]
	s_xor_b32 s25, exec_lo, s25
	s_cbranch_execnz .LBB148_144
; %bb.102:                              ;   in Loop: Header=BB148_73 Depth=1
	s_and_not1_saveexec_b32 s25, s25
	s_cbranch_execnz .LBB148_145
.LBB148_103:                            ;   in Loop: Header=BB148_73 Depth=1
	s_or_b32 exec_lo, exec_lo, s25
	s_and_saveexec_b32 s3, s24
	s_delay_alu instid0(SALU_CYCLE_1)
	s_xor_b32 s3, exec_lo, s3
	s_cbranch_execnz .LBB148_146
.LBB148_104:                            ;   in Loop: Header=BB148_73 Depth=1
	s_or_b32 exec_lo, exec_lo, s3
	s_and_saveexec_b32 s24, s23
.LBB148_105:                            ;   in Loop: Header=BB148_73 Depth=1
	v_and_b32_e32 v1, 1, v25
	s_delay_alu instid0(VALU_DEP_1) | instskip(NEXT) | instid1(VALU_DEP_1)
	v_cmp_eq_u64_e64 s3, 0, v[1:2]
	v_cndmask_b32_e64 v22, -1, 0, s3
	v_cndmask_b32_e64 v21, -1, 1, s3
.LBB148_106:                            ;   in Loop: Header=BB148_73 Depth=1
	s_or_b32 exec_lo, exec_lo, s24
	s_delay_alu instid0(VALU_DEP_1)
	v_dual_mov_b32 v19, v21 :: v_dual_mov_b32 v20, v22
.LBB148_107:                            ;   in Loop: Header=BB148_73 Depth=1
	s_or_b32 exec_lo, exec_lo, s22
	v_mul_lo_u32 v1, v24, s6
	v_mul_lo_u32 v21, v23, s7
	v_mad_u64_u32 v[24:25], null, v23, s6, 0
	s_mov_b32 s22, exec_lo
	s_delay_alu instid0(VALU_DEP_1) | instskip(NEXT) | instid1(VALU_DEP_1)
	v_add3_u32 v25, v25, v21, v1
                                        ; implicit-def: $vgpr21_vgpr22
	v_cmpx_lt_i64_e32 -1, v[24:25]
	s_xor_b32 s22, exec_lo, s22
	s_cbranch_execz .LBB148_113
; %bb.108:                              ;   in Loop: Header=BB148_73 Depth=1
	v_mov_b32_e32 v21, 1
	v_mov_b32_e32 v22, 0
	s_mov_b32 s23, exec_lo
	v_cmpx_ne_u64_e32 0, v[24:25]
	s_cbranch_execz .LBB148_112
; %bb.109:                              ;   in Loop: Header=BB148_73 Depth=1
	v_mov_b32_e32 v26, 1
	v_mov_b32_e32 v27, 0
	s_mov_b32 s24, 0
	s_set_inst_prefetch_distance 0x1
	.p2align	6
.LBB148_110:                            ;   Parent Loop BB148_73 Depth=1
                                        ; =>  This Inner Loop Header: Depth=2
	v_and_b32_e32 v1, 1, v24
	v_mad_u64_u32 v[28:29], null, v17, v17, 0
	s_delay_alu instid0(VALU_DEP_2) | instskip(SKIP_1) | instid1(VALU_DEP_2)
	v_cmp_eq_u32_e64 s3, 1, v1
	v_mul_lo_u32 v1, v17, v18
	v_cndmask_b32_e64 v23, 1, v17, s3
	v_cndmask_b32_e64 v18, 0, v18, s3
	v_cmp_gt_u64_e64 s3, 2, v[24:25]
	s_delay_alu instid0(VALU_DEP_4) | instskip(NEXT) | instid1(VALU_DEP_4)
	v_add3_u32 v29, v29, v1, v1
	v_mul_lo_u32 v27, v23, v27
	v_mad_u64_u32 v[21:22], null, v23, v26, 0
	v_mul_lo_u32 v23, v18, v26
	v_lshrrev_b64 v[17:18], 1, v[24:25]
	s_or_b32 s24, s3, s24
	s_delay_alu instid0(VALU_DEP_1) | instskip(NEXT) | instid1(VALU_DEP_3)
	v_mov_b32_e32 v25, v18
	v_add3_u32 v22, v22, v27, v23
	s_delay_alu instid0(VALU_DEP_3) | instskip(NEXT) | instid1(VALU_DEP_2)
	v_dual_mov_b32 v24, v17 :: v_dual_mov_b32 v17, v28
	v_dual_mov_b32 v18, v29 :: v_dual_mov_b32 v27, v22
	v_mov_b32_e32 v26, v21
	s_and_not1_b32 exec_lo, exec_lo, s24
	s_cbranch_execnz .LBB148_110
; %bb.111:                              ;   in Loop: Header=BB148_73 Depth=1
	s_set_inst_prefetch_distance 0x2
	s_or_b32 exec_lo, exec_lo, s24
.LBB148_112:                            ;   in Loop: Header=BB148_73 Depth=1
	s_delay_alu instid0(SALU_CYCLE_1)
	s_or_b32 exec_lo, exec_lo, s23
                                        ; implicit-def: $vgpr24_vgpr25
                                        ; implicit-def: $vgpr17_vgpr18
.LBB148_113:                            ;   in Loop: Header=BB148_73 Depth=1
	s_and_not1_saveexec_b32 s22, s22
	s_cbranch_execz .LBB148_120
; %bb.114:                              ;   in Loop: Header=BB148_73 Depth=1
	s_mov_b32 s23, 0
	s_mov_b32 s24, 0
	s_mov_b32 s25, exec_lo
	v_cmpx_lt_i64_e32 0, v[17:18]
	s_xor_b32 s25, exec_lo, s25
	s_cbranch_execnz .LBB148_147
; %bb.115:                              ;   in Loop: Header=BB148_73 Depth=1
	s_and_not1_saveexec_b32 s25, s25
	s_cbranch_execnz .LBB148_148
.LBB148_116:                            ;   in Loop: Header=BB148_73 Depth=1
	s_or_b32 exec_lo, exec_lo, s25
	s_and_saveexec_b32 s3, s24
	s_delay_alu instid0(SALU_CYCLE_1)
	s_xor_b32 s3, exec_lo, s3
	s_cbranch_execnz .LBB148_149
.LBB148_117:                            ;   in Loop: Header=BB148_73 Depth=1
	s_or_b32 exec_lo, exec_lo, s3
	s_and_saveexec_b32 s24, s23
.LBB148_118:                            ;   in Loop: Header=BB148_73 Depth=1
	v_and_b32_e32 v1, 1, v24
	s_delay_alu instid0(VALU_DEP_1) | instskip(NEXT) | instid1(VALU_DEP_1)
	v_cmp_eq_u64_e64 s3, 0, v[1:2]
	v_cndmask_b32_e64 v18, -1, 0, s3
	v_cndmask_b32_e64 v17, -1, 1, s3
.LBB148_119:                            ;   in Loop: Header=BB148_73 Depth=1
	s_or_b32 exec_lo, exec_lo, s24
	s_delay_alu instid0(VALU_DEP_1)
	v_dual_mov_b32 v22, v18 :: v_dual_mov_b32 v21, v17
.LBB148_120:                            ;   in Loop: Header=BB148_73 Depth=1
	s_or_b32 exec_lo, exec_lo, s22
	v_mul_lo_u32 v1, v16, s6
	v_mul_lo_u32 v18, v15, s7
	v_mad_u64_u32 v[16:17], null, v15, s6, 0
	s_mov_b32 s22, exec_lo
                                        ; implicit-def: $vgpr23_vgpr24
	s_delay_alu instid0(VALU_DEP_1) | instskip(NEXT) | instid1(VALU_DEP_1)
	v_add3_u32 v17, v17, v18, v1
	v_cmpx_lt_i64_e32 -1, v[16:17]
	s_xor_b32 s22, exec_lo, s22
	s_cbranch_execnz .LBB148_126
; %bb.121:                              ;   in Loop: Header=BB148_73 Depth=1
	s_and_not1_saveexec_b32 s22, s22
	s_cbranch_execnz .LBB148_131
.LBB148_122:                            ;   in Loop: Header=BB148_73 Depth=1
	s_or_b32 exec_lo, exec_lo, s22
	s_and_saveexec_b32 s3, vcc_lo
	s_delay_alu instid0(SALU_CYCLE_1)
	s_xor_b32 s3, exec_lo, s3
	s_cbranch_execnz .LBB148_137
.LBB148_123:                            ;   in Loop: Header=BB148_73 Depth=1
	s_or_b32 exec_lo, exec_lo, s3
	s_and_saveexec_b32 s3, s0
	s_cbranch_execnz .LBB148_138
.LBB148_124:                            ;   in Loop: Header=BB148_73 Depth=1
	s_or_b32 exec_lo, exec_lo, s3
	s_and_saveexec_b32 s0, s1
	s_cbranch_execnz .LBB148_139
.LBB148_125:                            ;   in Loop: Header=BB148_73 Depth=1
	s_or_b32 exec_lo, exec_lo, s0
	s_and_saveexec_b32 s0, s2
	s_cbranch_execz .LBB148_72
	s_branch .LBB148_140
.LBB148_126:                            ;   in Loop: Header=BB148_73 Depth=1
	v_mov_b32_e32 v23, 1
	v_mov_b32_e32 v24, 0
	s_mov_b32 s23, exec_lo
	v_cmpx_ne_u64_e32 0, v[16:17]
	s_cbranch_execz .LBB148_130
; %bb.127:                              ;   in Loop: Header=BB148_73 Depth=1
	v_mov_b32_e32 v25, 1
	v_mov_b32_e32 v26, 0
	s_mov_b32 s24, 0
	s_set_inst_prefetch_distance 0x1
	.p2align	6
.LBB148_128:                            ;   Parent Loop BB148_73 Depth=1
                                        ; =>  This Inner Loop Header: Depth=2
	v_and_b32_e32 v1, 1, v16
	v_mad_u64_u32 v[27:28], null, v11, v11, 0
	s_delay_alu instid0(VALU_DEP_2) | instskip(SKIP_1) | instid1(VALU_DEP_2)
	v_cmp_eq_u32_e64 s3, 1, v1
	v_mul_lo_u32 v1, v11, v12
	v_cndmask_b32_e64 v15, 1, v11, s3
	v_cndmask_b32_e64 v12, 0, v12, s3
	v_cmp_gt_u64_e64 s3, 2, v[16:17]
	s_delay_alu instid0(VALU_DEP_4) | instskip(NEXT) | instid1(VALU_DEP_4)
	v_add3_u32 v28, v28, v1, v1
	v_mul_lo_u32 v18, v15, v26
	v_mad_u64_u32 v[23:24], null, v15, v25, 0
	v_mul_lo_u32 v15, v12, v25
	v_lshrrev_b64 v[11:12], 1, v[16:17]
	s_or_b32 s24, s3, s24
	s_delay_alu instid0(VALU_DEP_1) | instskip(NEXT) | instid1(VALU_DEP_3)
	v_dual_mov_b32 v17, v12 :: v_dual_mov_b32 v16, v11
	v_add3_u32 v24, v24, v18, v15
	v_dual_mov_b32 v11, v27 :: v_dual_mov_b32 v12, v28
	s_delay_alu instid0(VALU_DEP_2)
	v_dual_mov_b32 v26, v24 :: v_dual_mov_b32 v25, v23
	s_and_not1_b32 exec_lo, exec_lo, s24
	s_cbranch_execnz .LBB148_128
; %bb.129:                              ;   in Loop: Header=BB148_73 Depth=1
	s_set_inst_prefetch_distance 0x2
	s_or_b32 exec_lo, exec_lo, s24
.LBB148_130:                            ;   in Loop: Header=BB148_73 Depth=1
	s_delay_alu instid0(SALU_CYCLE_1)
	s_or_b32 exec_lo, exec_lo, s23
                                        ; implicit-def: $vgpr16_vgpr17
                                        ; implicit-def: $vgpr11_vgpr12
	s_and_not1_saveexec_b32 s22, s22
	s_cbranch_execz .LBB148_122
.LBB148_131:                            ;   in Loop: Header=BB148_73 Depth=1
	s_mov_b32 s23, 0
	s_mov_b32 s24, 0
	s_mov_b32 s25, exec_lo
	v_cmpx_lt_i64_e32 0, v[11:12]
	s_xor_b32 s25, exec_lo, s25
	s_cbranch_execnz .LBB148_150
; %bb.132:                              ;   in Loop: Header=BB148_73 Depth=1
	s_and_not1_saveexec_b32 s25, s25
	s_cbranch_execnz .LBB148_151
.LBB148_133:                            ;   in Loop: Header=BB148_73 Depth=1
	s_or_b32 exec_lo, exec_lo, s25
	s_and_saveexec_b32 s3, s24
	s_delay_alu instid0(SALU_CYCLE_1)
	s_xor_b32 s3, exec_lo, s3
	s_cbranch_execnz .LBB148_152
.LBB148_134:                            ;   in Loop: Header=BB148_73 Depth=1
	s_or_b32 exec_lo, exec_lo, s3
	s_and_saveexec_b32 s24, s23
.LBB148_135:                            ;   in Loop: Header=BB148_73 Depth=1
	v_and_b32_e32 v1, 1, v16
	s_delay_alu instid0(VALU_DEP_1) | instskip(NEXT) | instid1(VALU_DEP_1)
	v_cmp_eq_u64_e64 s3, 0, v[1:2]
	v_cndmask_b32_e64 v12, -1, 0, s3
	v_cndmask_b32_e64 v11, -1, 1, s3
.LBB148_136:                            ;   in Loop: Header=BB148_73 Depth=1
	s_or_b32 exec_lo, exec_lo, s24
	s_delay_alu instid0(VALU_DEP_1) | instskip(SKIP_2) | instid1(SALU_CYCLE_1)
	v_dual_mov_b32 v24, v12 :: v_dual_mov_b32 v23, v11
	s_or_b32 exec_lo, exec_lo, s22
	s_and_saveexec_b32 s3, vcc_lo
	s_xor_b32 s3, exec_lo, s3
	s_cbranch_execz .LBB148_123
.LBB148_137:                            ;   in Loop: Header=BB148_73 Depth=1
	v_add_co_u32 v3, vcc_lo, s16, v3
	v_add_co_ci_u32_e32 v4, vcc_lo, s17, v4, vcc_lo
	global_store_b64 v[3:4], v[13:14], off
	s_or_b32 exec_lo, exec_lo, s3
	s_and_saveexec_b32 s3, s0
	s_cbranch_execz .LBB148_124
.LBB148_138:                            ;   in Loop: Header=BB148_73 Depth=1
	v_add_co_u32 v3, vcc_lo, s16, v5
	v_add_co_ci_u32_e32 v4, vcc_lo, s17, v6, vcc_lo
	global_store_b64 v[3:4], v[19:20], off
	s_or_b32 exec_lo, exec_lo, s3
	s_and_saveexec_b32 s0, s1
	s_cbranch_execz .LBB148_125
.LBB148_139:                            ;   in Loop: Header=BB148_73 Depth=1
	v_add_co_u32 v3, vcc_lo, s16, v7
	v_add_co_ci_u32_e32 v4, vcc_lo, s17, v8, vcc_lo
	global_store_b64 v[3:4], v[21:22], off
	s_or_b32 exec_lo, exec_lo, s0
	s_and_saveexec_b32 s0, s2
	s_cbranch_execz .LBB148_72
.LBB148_140:                            ;   in Loop: Header=BB148_73 Depth=1
	v_add_co_u32 v3, vcc_lo, s16, v9
	v_add_co_ci_u32_e32 v4, vcc_lo, s17, v10, vcc_lo
	global_store_b64 v[3:4], v[23:24], off
	s_branch .LBB148_72
.LBB148_141:                            ;   in Loop: Header=BB148_73 Depth=1
	v_cmp_ne_u64_e64 s3, 1, v[25:26]
	s_delay_alu instid0(VALU_DEP_1)
	s_and_b32 s24, s3, exec_lo
	s_and_not1_saveexec_b32 s25, s25
	s_cbranch_execz .LBB148_90
.LBB148_142:                            ;   in Loop: Header=BB148_73 Depth=1
	v_cmp_ne_u64_e64 s3, -1, v[25:26]
	s_and_not1_b32 s24, s24, exec_lo
	s_mov_b32 s23, exec_lo
                                        ; implicit-def: $vgpr25_vgpr26
	s_delay_alu instid0(VALU_DEP_1) | instskip(NEXT) | instid1(SALU_CYCLE_1)
	s_and_b32 s3, s3, exec_lo
	s_or_b32 s24, s24, s3
	s_or_b32 exec_lo, exec_lo, s25
	s_and_saveexec_b32 s3, s24
	s_delay_alu instid0(SALU_CYCLE_1)
	s_xor_b32 s3, exec_lo, s3
	s_cbranch_execz .LBB148_91
.LBB148_143:                            ;   in Loop: Header=BB148_73 Depth=1
	v_mov_b32_e32 v25, 0
	v_mov_b32_e32 v26, 0
	s_and_not1_b32 s23, s23, exec_lo
	s_or_b32 exec_lo, exec_lo, s3
	s_and_saveexec_b32 s24, s23
	s_cbranch_execnz .LBB148_92
	s_branch .LBB148_93
.LBB148_144:                            ;   in Loop: Header=BB148_73 Depth=1
	v_cmp_ne_u64_e64 s3, 1, v[21:22]
	s_delay_alu instid0(VALU_DEP_1)
	s_and_b32 s24, s3, exec_lo
	s_and_not1_saveexec_b32 s25, s25
	s_cbranch_execz .LBB148_103
.LBB148_145:                            ;   in Loop: Header=BB148_73 Depth=1
	v_cmp_ne_u64_e64 s3, -1, v[21:22]
	s_and_not1_b32 s24, s24, exec_lo
	s_mov_b32 s23, exec_lo
                                        ; implicit-def: $vgpr21_vgpr22
	s_delay_alu instid0(VALU_DEP_1) | instskip(NEXT) | instid1(SALU_CYCLE_1)
	s_and_b32 s3, s3, exec_lo
	s_or_b32 s24, s24, s3
	s_or_b32 exec_lo, exec_lo, s25
	s_and_saveexec_b32 s3, s24
	s_delay_alu instid0(SALU_CYCLE_1)
	s_xor_b32 s3, exec_lo, s3
	s_cbranch_execz .LBB148_104
.LBB148_146:                            ;   in Loop: Header=BB148_73 Depth=1
	v_mov_b32_e32 v21, 0
	v_mov_b32_e32 v22, 0
	s_and_not1_b32 s23, s23, exec_lo
	s_or_b32 exec_lo, exec_lo, s3
	s_and_saveexec_b32 s24, s23
	s_cbranch_execnz .LBB148_105
	s_branch .LBB148_106
.LBB148_147:                            ;   in Loop: Header=BB148_73 Depth=1
	v_cmp_ne_u64_e64 s3, 1, v[17:18]
	s_delay_alu instid0(VALU_DEP_1)
	s_and_b32 s24, s3, exec_lo
	s_and_not1_saveexec_b32 s25, s25
	s_cbranch_execz .LBB148_116
.LBB148_148:                            ;   in Loop: Header=BB148_73 Depth=1
	v_cmp_ne_u64_e64 s3, -1, v[17:18]
	s_and_not1_b32 s24, s24, exec_lo
	s_mov_b32 s23, exec_lo
                                        ; implicit-def: $vgpr17_vgpr18
	s_delay_alu instid0(VALU_DEP_1) | instskip(NEXT) | instid1(SALU_CYCLE_1)
	s_and_b32 s3, s3, exec_lo
	s_or_b32 s24, s24, s3
	s_or_b32 exec_lo, exec_lo, s25
	s_and_saveexec_b32 s3, s24
	s_delay_alu instid0(SALU_CYCLE_1)
	s_xor_b32 s3, exec_lo, s3
	s_cbranch_execz .LBB148_117
.LBB148_149:                            ;   in Loop: Header=BB148_73 Depth=1
	v_mov_b32_e32 v17, 0
	v_mov_b32_e32 v18, 0
	s_and_not1_b32 s23, s23, exec_lo
	s_or_b32 exec_lo, exec_lo, s3
	s_and_saveexec_b32 s24, s23
	s_cbranch_execnz .LBB148_118
	s_branch .LBB148_119
.LBB148_150:                            ;   in Loop: Header=BB148_73 Depth=1
	v_cmp_ne_u64_e64 s3, 1, v[11:12]
	s_delay_alu instid0(VALU_DEP_1)
	s_and_b32 s24, s3, exec_lo
	s_and_not1_saveexec_b32 s25, s25
	s_cbranch_execz .LBB148_133
.LBB148_151:                            ;   in Loop: Header=BB148_73 Depth=1
	v_cmp_ne_u64_e64 s3, -1, v[11:12]
	s_and_not1_b32 s24, s24, exec_lo
	s_mov_b32 s23, exec_lo
                                        ; implicit-def: $vgpr11_vgpr12
	s_delay_alu instid0(VALU_DEP_1) | instskip(NEXT) | instid1(SALU_CYCLE_1)
	s_and_b32 s3, s3, exec_lo
	s_or_b32 s24, s24, s3
	s_or_b32 exec_lo, exec_lo, s25
	s_and_saveexec_b32 s3, s24
	s_delay_alu instid0(SALU_CYCLE_1)
	s_xor_b32 s3, exec_lo, s3
	s_cbranch_execz .LBB148_134
.LBB148_152:                            ;   in Loop: Header=BB148_73 Depth=1
	v_mov_b32_e32 v11, 0
	v_mov_b32_e32 v12, 0
	s_and_not1_b32 s23, s23, exec_lo
	s_or_b32 exec_lo, exec_lo, s3
	s_and_saveexec_b32 s24, s23
	s_cbranch_execnz .LBB148_135
	s_branch .LBB148_136
.LBB148_153:
	s_nop 0
	s_sendmsg sendmsg(MSG_DEALLOC_VGPRS)
	s_endpgm
	.section	.rodata,"a",@progbits
	.p2align	6, 0x0
	.amdhsa_kernel _ZN2at6native12_GLOBAL__N_125multi_tensor_apply_kernelINS1_18TensorListMetadataILi3EEENS1_24BinaryOpListAlphaFunctorIlLi3ELi2ELi2EEEJNS1_13power_functorIlEElEEEvT_T0_DpT1_
		.amdhsa_group_segment_fixed_size 0
		.amdhsa_private_segment_fixed_size 0
		.amdhsa_kernarg_size 3416
		.amdhsa_user_sgpr_count 15
		.amdhsa_user_sgpr_dispatch_ptr 0
		.amdhsa_user_sgpr_queue_ptr 0
		.amdhsa_user_sgpr_kernarg_segment_ptr 1
		.amdhsa_user_sgpr_dispatch_id 0
		.amdhsa_user_sgpr_private_segment_size 0
		.amdhsa_wavefront_size32 1
		.amdhsa_uses_dynamic_stack 0
		.amdhsa_enable_private_segment 0
		.amdhsa_system_sgpr_workgroup_id_x 1
		.amdhsa_system_sgpr_workgroup_id_y 0
		.amdhsa_system_sgpr_workgroup_id_z 0
		.amdhsa_system_sgpr_workgroup_info 0
		.amdhsa_system_vgpr_workitem_id 0
		.amdhsa_next_free_vgpr 34
		.amdhsa_next_free_sgpr 26
		.amdhsa_reserve_vcc 1
		.amdhsa_float_round_mode_32 0
		.amdhsa_float_round_mode_16_64 0
		.amdhsa_float_denorm_mode_32 3
		.amdhsa_float_denorm_mode_16_64 3
		.amdhsa_dx10_clamp 1
		.amdhsa_ieee_mode 1
		.amdhsa_fp16_overflow 0
		.amdhsa_workgroup_processor_mode 1
		.amdhsa_memory_ordered 1
		.amdhsa_forward_progress 0
		.amdhsa_shared_vgpr_count 0
		.amdhsa_exception_fp_ieee_invalid_op 0
		.amdhsa_exception_fp_denorm_src 0
		.amdhsa_exception_fp_ieee_div_zero 0
		.amdhsa_exception_fp_ieee_overflow 0
		.amdhsa_exception_fp_ieee_underflow 0
		.amdhsa_exception_fp_ieee_inexact 0
		.amdhsa_exception_int_div_zero 0
	.end_amdhsa_kernel
	.section	.text._ZN2at6native12_GLOBAL__N_125multi_tensor_apply_kernelINS1_18TensorListMetadataILi3EEENS1_24BinaryOpListAlphaFunctorIlLi3ELi2ELi2EEEJNS1_13power_functorIlEElEEEvT_T0_DpT1_,"axG",@progbits,_ZN2at6native12_GLOBAL__N_125multi_tensor_apply_kernelINS1_18TensorListMetadataILi3EEENS1_24BinaryOpListAlphaFunctorIlLi3ELi2ELi2EEEJNS1_13power_functorIlEElEEEvT_T0_DpT1_,comdat
.Lfunc_end148:
	.size	_ZN2at6native12_GLOBAL__N_125multi_tensor_apply_kernelINS1_18TensorListMetadataILi3EEENS1_24BinaryOpListAlphaFunctorIlLi3ELi2ELi2EEEJNS1_13power_functorIlEElEEEvT_T0_DpT1_, .Lfunc_end148-_ZN2at6native12_GLOBAL__N_125multi_tensor_apply_kernelINS1_18TensorListMetadataILi3EEENS1_24BinaryOpListAlphaFunctorIlLi3ELi2ELi2EEEJNS1_13power_functorIlEElEEEvT_T0_DpT1_
                                        ; -- End function
	.section	.AMDGPU.csdata,"",@progbits
; Kernel info:
; codeLenInByte = 5012
; NumSgprs: 28
; NumVgprs: 34
; ScratchSize: 0
; MemoryBound: 1
; FloatMode: 240
; IeeeMode: 1
; LDSByteSize: 0 bytes/workgroup (compile time only)
; SGPRBlocks: 3
; VGPRBlocks: 4
; NumSGPRsForWavesPerEU: 28
; NumVGPRsForWavesPerEU: 34
; Occupancy: 16
; WaveLimiterHint : 0
; COMPUTE_PGM_RSRC2:SCRATCH_EN: 0
; COMPUTE_PGM_RSRC2:USER_SGPR: 15
; COMPUTE_PGM_RSRC2:TRAP_HANDLER: 0
; COMPUTE_PGM_RSRC2:TGID_X_EN: 1
; COMPUTE_PGM_RSRC2:TGID_Y_EN: 0
; COMPUTE_PGM_RSRC2:TGID_Z_EN: 0
; COMPUTE_PGM_RSRC2:TIDIG_COMP_CNT: 0
	.section	.text._ZN2at6native12_GLOBAL__N_125multi_tensor_apply_kernelINS1_18TensorListMetadataILi3EEENS1_24BinaryOpListAlphaFunctorIsLi3ELi2ELi2EEEJNS1_13power_functorIsEEsEEEvT_T0_DpT1_,"axG",@progbits,_ZN2at6native12_GLOBAL__N_125multi_tensor_apply_kernelINS1_18TensorListMetadataILi3EEENS1_24BinaryOpListAlphaFunctorIsLi3ELi2ELi2EEEJNS1_13power_functorIsEEsEEEvT_T0_DpT1_,comdat
	.globl	_ZN2at6native12_GLOBAL__N_125multi_tensor_apply_kernelINS1_18TensorListMetadataILi3EEENS1_24BinaryOpListAlphaFunctorIsLi3ELi2ELi2EEEJNS1_13power_functorIsEEsEEEvT_T0_DpT1_ ; -- Begin function _ZN2at6native12_GLOBAL__N_125multi_tensor_apply_kernelINS1_18TensorListMetadataILi3EEENS1_24BinaryOpListAlphaFunctorIsLi3ELi2ELi2EEEJNS1_13power_functorIsEEsEEEvT_T0_DpT1_
	.p2align	8
	.type	_ZN2at6native12_GLOBAL__N_125multi_tensor_apply_kernelINS1_18TensorListMetadataILi3EEENS1_24BinaryOpListAlphaFunctorIsLi3ELi2ELi2EEEJNS1_13power_functorIsEEsEEEvT_T0_DpT1_,@function
_ZN2at6native12_GLOBAL__N_125multi_tensor_apply_kernelINS1_18TensorListMetadataILi3EEENS1_24BinaryOpListAlphaFunctorIsLi3ELi2ELi2EEEJNS1_13power_functorIsEEsEEEvT_T0_DpT1_: ; @_ZN2at6native12_GLOBAL__N_125multi_tensor_apply_kernelINS1_18TensorListMetadataILi3EEENS1_24BinaryOpListAlphaFunctorIsLi3ELi2ELi2EEEJNS1_13power_functorIsEEsEEEvT_T0_DpT1_
; %bb.0:
	v_mov_b32_e32 v1, s15
	s_mul_i32 s4, s15, 3
	s_mul_hi_u32 s3, s15, 3
	s_mov_b32 s21, 0
	s_load_b32 s2, s[0:1], 0xc48
	global_load_u8 v1, v1, s[0:1] offset:1536
	s_waitcnt lgkmcnt(0)
	s_lshr_b32 s10, s2, 16
	s_add_u32 s2, s0, s15
	s_addc_u32 s5, s1, 0
	s_add_u32 s2, s2, s4
	s_addc_u32 s3, s5, s3
	s_load_b32 s2, s[2:3], 0x740
	s_waitcnt vmcnt(0)
	v_readfirstlane_b32 s4, v1
	s_delay_alu instid0(VALU_DEP_1)
	s_lshl_b32 s3, s4, 3
	s_clause 0x3
	s_load_b64 s[4:5], s[0:1], s3 offset:0x0
	s_load_b64 s[6:7], s[0:1], s3 offset:0x180
	;; [unrolled: 1-line block ×4, first 2 shown]
	s_waitcnt lgkmcnt(0)
	s_ashr_i32 s3, s2, 31
	s_delay_alu instid0(SALU_CYCLE_1) | instskip(NEXT) | instid1(SALU_CYCLE_1)
	s_lshl_b64 s[16:17], s[2:3], 17
	s_add_u32 s11, s4, s16
	s_addc_u32 s12, s5, s17
	s_and_b32 s20, s11, 7
	s_add_u32 s13, s6, s16
	s_addc_u32 s14, s7, s17
	s_add_u32 s15, s8, s16
	s_addc_u32 s16, s9, s17
	s_or_b32 s4, s15, s13
	s_mov_b32 s7, s21
	s_and_b32 s4, s4, 7
	s_delay_alu instid0(SALU_CYCLE_1) | instskip(SKIP_2) | instid1(SALU_CYCLE_1)
	s_cmp_lg_u32 s4, 0
	s_cselect_b32 s8, -1, 0
	s_lshl_b64 s[2:3], s[2:3], 16
	s_sub_u32 s4, s18, s2
	s_subb_u32 s5, s19, s3
	s_and_b32 s6, s18, 3
	s_delay_alu instid0(SALU_CYCLE_1) | instskip(NEXT) | instid1(SALU_CYCLE_1)
	s_or_b64 s[2:3], s[20:21], s[6:7]
	s_cmp_lg_u64 s[2:3], 0
	s_cselect_b32 s2, -1, 0
	s_delay_alu instid0(SALU_CYCLE_1) | instskip(NEXT) | instid1(SALU_CYCLE_1)
	s_or_b32 s2, s8, s2
	s_and_not1_b32 vcc_lo, exec_lo, s2
	s_mov_b32 s2, -1
	s_cbranch_vccz .LBB149_69
; %bb.1:
	v_dual_mov_b32 v2, 0 :: v_dual_lshlrev_b32 v1, 2, v0
	s_mov_b32 s3, exec_lo
	s_delay_alu instid0(VALU_DEP_1)
	v_cmpx_gt_i64_e64 s[4:5], v[1:2]
	s_cbranch_execz .LBB149_68
; %bb.2:
	s_load_b32 s2, s[0:1], 0xc5c
	v_mov_b32_e32 v1, v2
	s_mov_b32 s7, 0
	s_delay_alu instid0(VALU_DEP_1)
	v_mov_b32_e32 v2, v1
	v_mov_b32_e32 v1, v0
	s_waitcnt lgkmcnt(0)
	s_and_b32 s6, s2, 0xffff
	s_branch .LBB149_5
.LBB149_3:                              ;   in Loop: Header=BB149_5 Depth=1
	s_or_b32 exec_lo, exec_lo, s9
	s_delay_alu instid0(VALU_DEP_1)
	v_mov_b32_e32 v10, v8
.LBB149_4:                              ;   in Loop: Header=BB149_5 Depth=1
	s_or_b32 exec_lo, exec_lo, s2
	v_add_co_u32 v1, vcc_lo, v1, s6
	v_add_co_ci_u32_e32 v2, vcc_lo, 0, v2, vcc_lo
	v_and_b32_e32 v8, 0xffff, v9
	v_lshlrev_b32_e32 v9, 16, v5
	v_and_b32_e32 v7, 0xffff, v7
	s_delay_alu instid0(VALU_DEP_4) | instskip(SKIP_1) | instid1(VALU_DEP_4)
	v_lshlrev_b64 v[5:6], 2, v[1:2]
	v_lshlrev_b32_e32 v10, 16, v10
	v_or_b32_e32 v8, v9, v8
	s_delay_alu instid0(VALU_DEP_3) | instskip(SKIP_1) | instid1(VALU_DEP_4)
	v_cmp_le_i64_e32 vcc_lo, s[4:5], v[5:6]
	v_cmp_lt_u64_e64 s2, 0xffff, v[5:6]
	v_or3_b32 v6, v7, 0, v10
	s_delay_alu instid0(VALU_DEP_4) | instskip(NEXT) | instid1(VALU_DEP_3)
	v_or3_b32 v5, 0, v8, 0
	s_or_b32 s2, vcc_lo, s2
	v_add_co_u32 v3, vcc_lo, s15, v3
	v_add_co_ci_u32_e32 v4, vcc_lo, s16, v4, vcc_lo
	s_and_b32 s2, exec_lo, s2
	s_delay_alu instid0(SALU_CYCLE_1)
	s_or_b32 s7, s2, s7
	global_store_b64 v[3:4], v[5:6], off
	s_and_not1_b32 exec_lo, exec_lo, s7
	s_cbranch_execz .LBB149_68
.LBB149_5:                              ; =>This Loop Header: Depth=1
                                        ;     Child Loop BB149_8 Depth 2
                                        ;     Child Loop BB149_24 Depth 2
	;; [unrolled: 1-line block ×4, first 2 shown]
	s_delay_alu instid0(VALU_DEP_1) | instskip(SKIP_1) | instid1(VALU_DEP_1)
	v_lshlrev_b64 v[3:4], 3, v[1:2]
	s_mov_b32 s2, exec_lo
                                        ; implicit-def: $vgpr9
	v_add_co_u32 v5, vcc_lo, s13, v3
	s_delay_alu instid0(VALU_DEP_2)
	v_add_co_ci_u32_e32 v6, vcc_lo, s14, v4, vcc_lo
	v_add_co_u32 v7, vcc_lo, s11, v3
	v_add_co_ci_u32_e32 v8, vcc_lo, s12, v4, vcc_lo
	global_load_b64 v[5:6], v[5:6], off
	global_load_b64 v[7:8], v[7:8], off
	s_waitcnt vmcnt(1)
	v_mul_lo_u16 v10, v5, s10
	s_delay_alu instid0(VALU_DEP_1)
	v_cmpx_lt_i16_e32 -1, v10
	s_xor_b32 s2, exec_lo, s2
	s_cbranch_execz .LBB149_11
; %bb.6:                                ;   in Loop: Header=BB149_5 Depth=1
	v_mov_b32_e32 v9, 1
	s_mov_b32 s8, exec_lo
	v_cmpx_ne_u16_e32 0, v10
	s_cbranch_execz .LBB149_10
; %bb.7:                                ;   in Loop: Header=BB149_5 Depth=1
	v_mov_b32_e32 v9, 1
	s_waitcnt vmcnt(0)
	v_mov_b32_e32 v11, v7
	s_mov_b32 s9, 0
	.p2align	6
.LBB149_8:                              ;   Parent Loop BB149_5 Depth=1
                                        ; =>  This Inner Loop Header: Depth=2
	v_lshrrev_b16 v12, 15, v10
	s_delay_alu instid0(VALU_DEP_1) | instskip(NEXT) | instid1(VALU_DEP_1)
	v_add_nc_u16 v12, v10, v12
	v_ashrrev_i16 v12, 1, v12
	v_and_b32_e32 v13, 1, v10
	v_add_nc_u16 v10, v10, 1
	s_delay_alu instid0(VALU_DEP_2) | instskip(SKIP_1) | instid1(VALU_DEP_3)
	v_cmp_eq_u32_e32 vcc_lo, 1, v13
	v_cndmask_b32_e32 v13, 1, v11, vcc_lo
	v_cmp_gt_u16_e32 vcc_lo, 3, v10
	v_mov_b32_e32 v10, v12
	v_mul_lo_u16 v11, v11, v11
	s_delay_alu instid0(VALU_DEP_4) | instskip(SKIP_1) | instid1(SALU_CYCLE_1)
	v_mul_lo_u16 v9, v13, v9
	s_or_b32 s9, vcc_lo, s9
	s_and_not1_b32 exec_lo, exec_lo, s9
	s_cbranch_execnz .LBB149_8
; %bb.9:                                ;   in Loop: Header=BB149_5 Depth=1
	s_or_b32 exec_lo, exec_lo, s9
.LBB149_10:                             ;   in Loop: Header=BB149_5 Depth=1
	s_delay_alu instid0(SALU_CYCLE_1)
	s_or_b32 exec_lo, exec_lo, s8
                                        ; implicit-def: $vgpr10
.LBB149_11:                             ;   in Loop: Header=BB149_5 Depth=1
	s_and_not1_saveexec_b32 s2, s2
	s_cbranch_execz .LBB149_21
; %bb.12:                               ;   in Loop: Header=BB149_5 Depth=1
	s_mov_b32 s8, 0
	s_mov_b32 s9, 0
	s_mov_b32 s17, exec_lo
	s_waitcnt vmcnt(0)
	v_cmpx_lt_i16_e32 0, v7
	s_xor_b32 s17, exec_lo, s17
; %bb.13:                               ;   in Loop: Header=BB149_5 Depth=1
	v_cmp_ne_u16_e32 vcc_lo, 1, v7
	s_and_b32 s9, vcc_lo, exec_lo
; %bb.14:                               ;   in Loop: Header=BB149_5 Depth=1
	s_and_not1_saveexec_b32 s17, s17
; %bb.15:                               ;   in Loop: Header=BB149_5 Depth=1
	v_cmp_ne_u16_e32 vcc_lo, -1, v7
	s_and_not1_b32 s9, s9, exec_lo
	s_mov_b32 s8, exec_lo
	s_and_b32 s18, vcc_lo, exec_lo
	s_delay_alu instid0(SALU_CYCLE_1)
	s_or_b32 s9, s9, s18
; %bb.16:                               ;   in Loop: Header=BB149_5 Depth=1
	s_or_b32 exec_lo, exec_lo, s17
	v_mov_b32_e32 v9, v7
	s_and_saveexec_b32 s17, s9
	s_delay_alu instid0(SALU_CYCLE_1)
	s_xor_b32 s9, exec_lo, s17
; %bb.17:                               ;   in Loop: Header=BB149_5 Depth=1
	v_mov_b32_e32 v9, 0
	s_and_not1_b32 s8, s8, exec_lo
; %bb.18:                               ;   in Loop: Header=BB149_5 Depth=1
	s_or_b32 exec_lo, exec_lo, s9
	s_and_saveexec_b32 s9, s8
; %bb.19:                               ;   in Loop: Header=BB149_5 Depth=1
	v_and_b32_e32 v9, 1, v10
	s_delay_alu instid0(VALU_DEP_1)
	v_cmp_eq_u16_e32 vcc_lo, 0, v9
	v_cndmask_b32_e64 v9, -1, 1, vcc_lo
; %bb.20:                               ;   in Loop: Header=BB149_5 Depth=1
	s_or_b32 exec_lo, exec_lo, s9
.LBB149_21:                             ;   in Loop: Header=BB149_5 Depth=1
	s_delay_alu instid0(SALU_CYCLE_1) | instskip(SKIP_4) | instid1(VALU_DEP_2)
	s_or_b32 exec_lo, exec_lo, s2
	v_lshrrev_b32_e32 v5, 16, v5
	s_waitcnt vmcnt(0)
	v_lshrrev_b32_e32 v7, 16, v7
	s_mov_b32 s2, exec_lo
	v_mul_lo_u16 v10, v5, s10
                                        ; implicit-def: $vgpr5
	s_delay_alu instid0(VALU_DEP_1)
	v_cmpx_lt_i16_e32 -1, v10
	s_xor_b32 s2, exec_lo, s2
	s_cbranch_execz .LBB149_27
; %bb.22:                               ;   in Loop: Header=BB149_5 Depth=1
	v_mov_b32_e32 v5, 1
	s_mov_b32 s8, exec_lo
	v_cmpx_ne_u16_e32 0, v10
	s_cbranch_execz .LBB149_26
; %bb.23:                               ;   in Loop: Header=BB149_5 Depth=1
	v_perm_b32 v5, v7, 1, 0x5040100
	s_mov_b32 s9, 0
	.p2align	6
.LBB149_24:                             ;   Parent Loop BB149_5 Depth=1
                                        ; =>  This Inner Loop Header: Depth=2
	s_delay_alu instid0(VALU_DEP_1) | instskip(NEXT) | instid1(VALU_DEP_2)
	v_and_b32_e32 v7, 1, v10
	v_lshrrev_b32_e32 v11, 16, v5
	v_lshrrev_b16 v12, 15, v10
	s_delay_alu instid0(VALU_DEP_3) | instskip(NEXT) | instid1(VALU_DEP_3)
	v_cmp_eq_u32_e32 vcc_lo, 1, v7
	v_cndmask_b32_e32 v7, 1, v11, vcc_lo
	s_delay_alu instid0(VALU_DEP_3) | instskip(SKIP_1) | instid1(VALU_DEP_3)
	v_add_nc_u16 v11, v10, v12
	v_add_nc_u16 v10, v10, 1
	v_bfi_b32 v7, 0xffff, v7, v5
	s_delay_alu instid0(VALU_DEP_3) | instskip(NEXT) | instid1(VALU_DEP_3)
	v_ashrrev_i16 v11, 1, v11
	v_cmp_gt_u16_e32 vcc_lo, 3, v10
	s_delay_alu instid0(VALU_DEP_3) | instskip(NEXT) | instid1(VALU_DEP_3)
	v_pk_mul_lo_u16 v5, v7, v5
	v_mov_b32_e32 v10, v11
	s_or_b32 s9, vcc_lo, s9
	s_delay_alu instid0(SALU_CYCLE_1)
	s_and_not1_b32 exec_lo, exec_lo, s9
	s_cbranch_execnz .LBB149_24
; %bb.25:                               ;   in Loop: Header=BB149_5 Depth=1
	s_or_b32 exec_lo, exec_lo, s9
.LBB149_26:                             ;   in Loop: Header=BB149_5 Depth=1
	s_delay_alu instid0(SALU_CYCLE_1)
	s_or_b32 exec_lo, exec_lo, s8
                                        ; implicit-def: $vgpr10
                                        ; implicit-def: $vgpr7
.LBB149_27:                             ;   in Loop: Header=BB149_5 Depth=1
	s_and_not1_saveexec_b32 s2, s2
	s_cbranch_execz .LBB149_34
; %bb.28:                               ;   in Loop: Header=BB149_5 Depth=1
	s_mov_b32 s8, 0
	s_mov_b32 s9, 0
	s_mov_b32 s17, exec_lo
	v_cmpx_lt_i16_e32 0, v7
	s_xor_b32 s17, exec_lo, s17
	s_cbranch_execnz .LBB149_61
; %bb.29:                               ;   in Loop: Header=BB149_5 Depth=1
	s_and_not1_saveexec_b32 s17, s17
	s_cbranch_execnz .LBB149_62
.LBB149_30:                             ;   in Loop: Header=BB149_5 Depth=1
	s_or_b32 exec_lo, exec_lo, s17
	s_and_saveexec_b32 s17, s9
	s_delay_alu instid0(SALU_CYCLE_1)
	s_xor_b32 s9, exec_lo, s17
	s_cbranch_execnz .LBB149_63
.LBB149_31:                             ;   in Loop: Header=BB149_5 Depth=1
	s_or_b32 exec_lo, exec_lo, s9
	s_and_saveexec_b32 s9, s8
.LBB149_32:                             ;   in Loop: Header=BB149_5 Depth=1
	v_and_b32_e32 v5, 1, v10
	s_delay_alu instid0(VALU_DEP_1)
	v_cmp_eq_u16_e32 vcc_lo, 0, v5
	v_cndmask_b32_e64 v7, -1, 1, vcc_lo
.LBB149_33:                             ;   in Loop: Header=BB149_5 Depth=1
	s_or_b32 exec_lo, exec_lo, s9
	s_delay_alu instid0(VALU_DEP_1)
	v_mov_b32_e32 v5, v7
.LBB149_34:                             ;   in Loop: Header=BB149_5 Depth=1
	s_or_b32 exec_lo, exec_lo, s2
	v_mul_lo_u16 v10, v6, s10
	s_mov_b32 s2, exec_lo
                                        ; implicit-def: $vgpr7
	s_delay_alu instid0(VALU_DEP_1)
	v_cmpx_lt_i16_e32 -1, v10
	s_xor_b32 s2, exec_lo, s2
	s_cbranch_execz .LBB149_40
; %bb.35:                               ;   in Loop: Header=BB149_5 Depth=1
	v_mov_b32_e32 v7, 1
	s_mov_b32 s8, exec_lo
	v_cmpx_ne_u16_e32 0, v10
	s_cbranch_execz .LBB149_39
; %bb.36:                               ;   in Loop: Header=BB149_5 Depth=1
	v_perm_b32 v7, v8, 1, 0x5040100
	s_mov_b32 s9, 0
	.p2align	6
.LBB149_37:                             ;   Parent Loop BB149_5 Depth=1
                                        ; =>  This Inner Loop Header: Depth=2
	s_delay_alu instid0(VALU_DEP_1) | instskip(NEXT) | instid1(VALU_DEP_2)
	v_and_b32_e32 v11, 1, v10
	v_lshrrev_b32_e32 v12, 16, v7
	v_lshrrev_b16 v13, 15, v10
	s_delay_alu instid0(VALU_DEP_3) | instskip(NEXT) | instid1(VALU_DEP_3)
	v_cmp_eq_u32_e32 vcc_lo, 1, v11
	v_cndmask_b32_e32 v11, 1, v12, vcc_lo
	s_delay_alu instid0(VALU_DEP_3) | instskip(SKIP_1) | instid1(VALU_DEP_3)
	v_add_nc_u16 v12, v10, v13
	v_add_nc_u16 v10, v10, 1
	v_bfi_b32 v11, 0xffff, v11, v7
	s_delay_alu instid0(VALU_DEP_3) | instskip(NEXT) | instid1(VALU_DEP_3)
	v_ashrrev_i16 v12, 1, v12
	v_cmp_gt_u16_e32 vcc_lo, 3, v10
	s_delay_alu instid0(VALU_DEP_3) | instskip(NEXT) | instid1(VALU_DEP_3)
	v_pk_mul_lo_u16 v7, v11, v7
	v_mov_b32_e32 v10, v12
	s_or_b32 s9, vcc_lo, s9
	s_delay_alu instid0(SALU_CYCLE_1)
	s_and_not1_b32 exec_lo, exec_lo, s9
	s_cbranch_execnz .LBB149_37
; %bb.38:                               ;   in Loop: Header=BB149_5 Depth=1
	s_or_b32 exec_lo, exec_lo, s9
.LBB149_39:                             ;   in Loop: Header=BB149_5 Depth=1
	s_delay_alu instid0(SALU_CYCLE_1)
	s_or_b32 exec_lo, exec_lo, s8
                                        ; implicit-def: $vgpr10
.LBB149_40:                             ;   in Loop: Header=BB149_5 Depth=1
	s_and_not1_saveexec_b32 s2, s2
	s_cbranch_execz .LBB149_50
; %bb.41:                               ;   in Loop: Header=BB149_5 Depth=1
	s_mov_b32 s8, 0
	s_mov_b32 s9, 0
	s_mov_b32 s17, exec_lo
	v_cmpx_lt_i16_e32 0, v8
	s_xor_b32 s17, exec_lo, s17
; %bb.42:                               ;   in Loop: Header=BB149_5 Depth=1
	v_cmp_ne_u16_e32 vcc_lo, 1, v8
	s_and_b32 s9, vcc_lo, exec_lo
; %bb.43:                               ;   in Loop: Header=BB149_5 Depth=1
	s_and_not1_saveexec_b32 s17, s17
; %bb.44:                               ;   in Loop: Header=BB149_5 Depth=1
	v_cmp_ne_u16_e32 vcc_lo, -1, v8
	s_and_not1_b32 s9, s9, exec_lo
	s_mov_b32 s8, exec_lo
	s_and_b32 s18, vcc_lo, exec_lo
	s_delay_alu instid0(SALU_CYCLE_1)
	s_or_b32 s9, s9, s18
; %bb.45:                               ;   in Loop: Header=BB149_5 Depth=1
	s_or_b32 exec_lo, exec_lo, s17
	v_mov_b32_e32 v7, v8
	s_and_saveexec_b32 s17, s9
	s_delay_alu instid0(SALU_CYCLE_1)
	s_xor_b32 s9, exec_lo, s17
; %bb.46:                               ;   in Loop: Header=BB149_5 Depth=1
	v_mov_b32_e32 v7, 0
	s_and_not1_b32 s8, s8, exec_lo
; %bb.47:                               ;   in Loop: Header=BB149_5 Depth=1
	s_or_b32 exec_lo, exec_lo, s9
	s_and_saveexec_b32 s9, s8
; %bb.48:                               ;   in Loop: Header=BB149_5 Depth=1
	v_and_b32_e32 v7, 1, v10
	s_delay_alu instid0(VALU_DEP_1)
	v_cmp_eq_u16_e32 vcc_lo, 0, v7
	v_cndmask_b32_e64 v7, -1, 1, vcc_lo
; %bb.49:                               ;   in Loop: Header=BB149_5 Depth=1
	s_or_b32 exec_lo, exec_lo, s9
.LBB149_50:                             ;   in Loop: Header=BB149_5 Depth=1
	s_delay_alu instid0(SALU_CYCLE_1) | instskip(SKIP_3) | instid1(VALU_DEP_2)
	s_or_b32 exec_lo, exec_lo, s2
	v_lshrrev_b32_e32 v6, 16, v6
	v_lshrrev_b32_e32 v8, 16, v8
	s_mov_b32 s2, exec_lo
                                        ; implicit-def: $vgpr10
	v_mul_lo_u16 v6, v6, s10
	s_delay_alu instid0(VALU_DEP_1)
	v_cmpx_lt_i16_e32 -1, v6
	s_xor_b32 s2, exec_lo, s2
	s_cbranch_execz .LBB149_56
; %bb.51:                               ;   in Loop: Header=BB149_5 Depth=1
	v_mov_b32_e32 v10, 1
	s_mov_b32 s8, exec_lo
	v_cmpx_ne_u16_e32 0, v6
	s_cbranch_execz .LBB149_55
; %bb.52:                               ;   in Loop: Header=BB149_5 Depth=1
	v_perm_b32 v10, v8, 1, 0x5040100
	s_mov_b32 s9, 0
	.p2align	6
.LBB149_53:                             ;   Parent Loop BB149_5 Depth=1
                                        ; =>  This Inner Loop Header: Depth=2
	s_delay_alu instid0(VALU_DEP_1) | instskip(NEXT) | instid1(VALU_DEP_2)
	v_and_b32_e32 v8, 1, v6
	v_lshrrev_b32_e32 v11, 16, v10
	v_lshrrev_b16 v12, 15, v6
	s_delay_alu instid0(VALU_DEP_3) | instskip(NEXT) | instid1(VALU_DEP_3)
	v_cmp_eq_u32_e32 vcc_lo, 1, v8
	v_cndmask_b32_e32 v8, 1, v11, vcc_lo
	s_delay_alu instid0(VALU_DEP_3) | instskip(SKIP_1) | instid1(VALU_DEP_3)
	v_add_nc_u16 v11, v6, v12
	v_add_nc_u16 v6, v6, 1
	v_bfi_b32 v8, 0xffff, v8, v10
	s_delay_alu instid0(VALU_DEP_3) | instskip(NEXT) | instid1(VALU_DEP_3)
	v_ashrrev_i16 v11, 1, v11
	v_cmp_gt_u16_e32 vcc_lo, 3, v6
	s_delay_alu instid0(VALU_DEP_3) | instskip(NEXT) | instid1(VALU_DEP_3)
	v_pk_mul_lo_u16 v10, v8, v10
	v_mov_b32_e32 v6, v11
	s_or_b32 s9, vcc_lo, s9
	s_delay_alu instid0(SALU_CYCLE_1)
	s_and_not1_b32 exec_lo, exec_lo, s9
	s_cbranch_execnz .LBB149_53
; %bb.54:                               ;   in Loop: Header=BB149_5 Depth=1
	s_or_b32 exec_lo, exec_lo, s9
.LBB149_55:                             ;   in Loop: Header=BB149_5 Depth=1
	s_delay_alu instid0(SALU_CYCLE_1)
	s_or_b32 exec_lo, exec_lo, s8
                                        ; implicit-def: $vgpr6
                                        ; implicit-def: $vgpr8
.LBB149_56:                             ;   in Loop: Header=BB149_5 Depth=1
	s_and_not1_saveexec_b32 s2, s2
	s_cbranch_execz .LBB149_4
; %bb.57:                               ;   in Loop: Header=BB149_5 Depth=1
	s_mov_b32 s8, 0
	s_mov_b32 s9, 0
	s_mov_b32 s17, exec_lo
	v_cmpx_lt_i16_e32 0, v8
	s_xor_b32 s17, exec_lo, s17
	s_cbranch_execnz .LBB149_64
; %bb.58:                               ;   in Loop: Header=BB149_5 Depth=1
	s_and_not1_saveexec_b32 s17, s17
	s_cbranch_execnz .LBB149_65
.LBB149_59:                             ;   in Loop: Header=BB149_5 Depth=1
	s_or_b32 exec_lo, exec_lo, s17
	s_and_saveexec_b32 s17, s9
	s_delay_alu instid0(SALU_CYCLE_1)
	s_xor_b32 s9, exec_lo, s17
	s_cbranch_execnz .LBB149_66
.LBB149_60:                             ;   in Loop: Header=BB149_5 Depth=1
	s_or_b32 exec_lo, exec_lo, s9
	s_and_saveexec_b32 s9, s8
	s_cbranch_execz .LBB149_3
	s_branch .LBB149_67
.LBB149_61:                             ;   in Loop: Header=BB149_5 Depth=1
	v_cmp_ne_u16_e32 vcc_lo, 1, v7
	s_and_b32 s9, vcc_lo, exec_lo
	s_and_not1_saveexec_b32 s17, s17
	s_cbranch_execz .LBB149_30
.LBB149_62:                             ;   in Loop: Header=BB149_5 Depth=1
	v_cmp_ne_u16_e32 vcc_lo, -1, v7
	s_and_not1_b32 s9, s9, exec_lo
	s_mov_b32 s8, exec_lo
                                        ; implicit-def: $vgpr7
	s_and_b32 s18, vcc_lo, exec_lo
	s_delay_alu instid0(SALU_CYCLE_1) | instskip(SKIP_2) | instid1(SALU_CYCLE_1)
	s_or_b32 s9, s9, s18
	s_or_b32 exec_lo, exec_lo, s17
	s_and_saveexec_b32 s17, s9
	s_xor_b32 s9, exec_lo, s17
	s_cbranch_execz .LBB149_31
.LBB149_63:                             ;   in Loop: Header=BB149_5 Depth=1
	v_mov_b32_e32 v7, 0
	s_and_not1_b32 s8, s8, exec_lo
	s_or_b32 exec_lo, exec_lo, s9
	s_and_saveexec_b32 s9, s8
	s_cbranch_execnz .LBB149_32
	s_branch .LBB149_33
.LBB149_64:                             ;   in Loop: Header=BB149_5 Depth=1
	v_cmp_ne_u16_e32 vcc_lo, 1, v8
	s_and_b32 s9, vcc_lo, exec_lo
	s_and_not1_saveexec_b32 s17, s17
	s_cbranch_execz .LBB149_59
.LBB149_65:                             ;   in Loop: Header=BB149_5 Depth=1
	v_cmp_ne_u16_e32 vcc_lo, -1, v8
	s_and_not1_b32 s9, s9, exec_lo
	s_mov_b32 s8, exec_lo
                                        ; implicit-def: $vgpr8
	s_and_b32 s18, vcc_lo, exec_lo
	s_delay_alu instid0(SALU_CYCLE_1) | instskip(SKIP_2) | instid1(SALU_CYCLE_1)
	s_or_b32 s9, s9, s18
	s_or_b32 exec_lo, exec_lo, s17
	s_and_saveexec_b32 s17, s9
	s_xor_b32 s9, exec_lo, s17
	s_cbranch_execz .LBB149_60
.LBB149_66:                             ;   in Loop: Header=BB149_5 Depth=1
	v_mov_b32_e32 v8, 0
	s_and_not1_b32 s8, s8, exec_lo
	s_or_b32 exec_lo, exec_lo, s9
	s_and_saveexec_b32 s9, s8
	s_cbranch_execz .LBB149_3
.LBB149_67:                             ;   in Loop: Header=BB149_5 Depth=1
	v_and_b32_e32 v6, 1, v6
	s_delay_alu instid0(VALU_DEP_1)
	v_cmp_eq_u16_e32 vcc_lo, 0, v6
	v_cndmask_b32_e64 v8, -1, 1, vcc_lo
	s_branch .LBB149_3
.LBB149_68:
	s_or_b32 exec_lo, exec_lo, s3
	s_mov_b32 s2, 0
.LBB149_69:
	s_delay_alu instid0(SALU_CYCLE_1)
	s_and_not1_b32 vcc_lo, exec_lo, s2
	s_cbranch_vccnz .LBB149_153
; %bb.70:
	v_cmp_lt_i64_e64 s2, s[4:5], 1
	s_delay_alu instid0(VALU_DEP_1)
	s_and_b32 vcc_lo, exec_lo, s2
	s_cbranch_vccnz .LBB149_153
; %bb.71:
	s_load_b32 s0, s[0:1], 0xc5c
	v_cmp_gt_u64_e64 s1, 0x10000, s[4:5]
	s_mov_b32 s17, 0
	s_mov_b64 s[8:9], 0
	s_waitcnt lgkmcnt(0)
	s_and_b32 s18, s0, 0xffff
	s_delay_alu instid0(VALU_DEP_1)
	s_and_b32 s0, s1, exec_lo
	s_cselect_b32 s7, s5, 0
	s_cselect_b32 s6, s4, 0x10000
	s_lshl_b32 s19, s18, 1
	s_mul_i32 s20, s18, 3
	s_lshl_b32 s21, s18, 2
	s_branch .LBB149_73
.LBB149_72:                             ;   in Loop: Header=BB149_73 Depth=1
	s_or_b32 exec_lo, exec_lo, s0
	s_add_u32 s8, s8, s21
	s_addc_u32 s9, s9, 0
	s_delay_alu instid0(SALU_CYCLE_1) | instskip(SKIP_1) | instid1(VALU_DEP_1)
	v_cmp_ge_i64_e64 s0, s[8:9], s[4:5]
	v_cmp_lt_u64_e64 s1, 0xffff, s[8:9]
	s_or_b32 s0, s0, s1
	s_delay_alu instid0(SALU_CYCLE_1)
	s_and_b32 vcc_lo, exec_lo, s0
	s_cbranch_vccnz .LBB149_153
.LBB149_73:                             ; =>This Loop Header: Depth=1
                                        ;     Child Loop BB149_84 Depth 2
                                        ;     Child Loop BB149_100 Depth 2
	;; [unrolled: 1-line block ×4, first 2 shown]
	v_add_co_u32 v7, s0, s8, v0
	s_delay_alu instid0(VALU_DEP_1) | instskip(SKIP_2) | instid1(VALU_DEP_3)
	v_add_co_ci_u32_e64 v8, null, s9, 0, s0
	v_mov_b32_e32 v9, 0
	v_dual_mov_b32 v10, 0 :: v_dual_mov_b32 v11, 0
	v_cmp_gt_u64_e32 vcc_lo, s[6:7], v[7:8]
	v_lshlrev_b64 v[1:2], 1, v[7:8]
	s_and_saveexec_b32 s1, vcc_lo
	s_cbranch_execz .LBB149_75
; %bb.74:                               ;   in Loop: Header=BB149_73 Depth=1
	s_delay_alu instid0(VALU_DEP_1) | instskip(NEXT) | instid1(VALU_DEP_1)
	v_add_co_u32 v3, s0, s11, v1
	v_add_co_ci_u32_e64 v4, s0, s12, v2, s0
	v_mov_b32_e32 v10, s17
	global_load_u16 v5, v[3:4], off
	v_add_co_u32 v3, s0, s13, v1
	s_delay_alu instid0(VALU_DEP_1)
	v_add_co_ci_u32_e64 v4, s0, s14, v2, s0
	global_load_u16 v11, v[3:4], off
	s_waitcnt vmcnt(1)
	v_and_b32_e32 v9, 0xffff, v5
.LBB149_75:                             ;   in Loop: Header=BB149_73 Depth=1
	s_or_b32 exec_lo, exec_lo, s1
	v_add_co_u32 v3, s0, v7, s18
	s_delay_alu instid0(VALU_DEP_1) | instskip(SKIP_1) | instid1(VALU_DEP_2)
	v_add_co_ci_u32_e64 v4, s0, 0, v8, s0
	v_dual_mov_b32 v13, 0 :: v_dual_mov_b32 v14, 0
	v_cmp_gt_u64_e64 s0, s[6:7], v[3:4]
	v_lshlrev_b64 v[3:4], 1, v[3:4]
	s_delay_alu instid0(VALU_DEP_2)
	s_and_saveexec_b32 s2, s0
	s_cbranch_execz .LBB149_77
; %bb.76:                               ;   in Loop: Header=BB149_73 Depth=1
	s_delay_alu instid0(VALU_DEP_1) | instskip(NEXT) | instid1(VALU_DEP_1)
	v_add_co_u32 v5, s1, s11, v3
	v_add_co_ci_u32_e64 v6, s1, s12, v4, s1
	global_load_u16 v12, v[5:6], off
	v_add_co_u32 v5, s1, s13, v3
	s_delay_alu instid0(VALU_DEP_1)
	v_add_co_ci_u32_e64 v6, s1, s14, v4, s1
	global_load_u16 v14, v[5:6], off
	s_waitcnt vmcnt(1)
	v_lshl_or_b32 v9, v12, 16, v9
.LBB149_77:                             ;   in Loop: Header=BB149_73 Depth=1
	s_or_b32 exec_lo, exec_lo, s2
	v_add_co_u32 v5, s1, v7, s19
	s_delay_alu instid0(VALU_DEP_1) | instskip(NEXT) | instid1(VALU_DEP_1)
	v_add_co_ci_u32_e64 v6, s1, 0, v8, s1
	v_cmp_gt_u64_e64 s1, s[6:7], v[5:6]
	v_lshlrev_b64 v[5:6], 1, v[5:6]
	s_delay_alu instid0(VALU_DEP_2)
	s_and_saveexec_b32 s3, s1
	s_cbranch_execz .LBB149_79
; %bb.78:                               ;   in Loop: Header=BB149_73 Depth=1
	s_delay_alu instid0(VALU_DEP_1) | instskip(NEXT) | instid1(VALU_DEP_1)
	v_add_co_u32 v12, s2, s11, v5
	v_add_co_ci_u32_e64 v13, s2, s12, v6, s2
	global_load_u16 v15, v[12:13], off
	v_add_co_u32 v12, s2, s13, v5
	s_delay_alu instid0(VALU_DEP_1)
	v_add_co_ci_u32_e64 v13, s2, s14, v6, s2
	global_load_u16 v13, v[12:13], off
	s_waitcnt vmcnt(1)
	v_or_b32_e32 v10, v15, v10
.LBB149_79:                             ;   in Loop: Header=BB149_73 Depth=1
	s_or_b32 exec_lo, exec_lo, s3
	v_add_co_u32 v7, s2, v7, s20
	s_delay_alu instid0(VALU_DEP_1) | instskip(SKIP_1) | instid1(VALU_DEP_2)
	v_add_co_ci_u32_e64 v8, s2, 0, v8, s2
	v_mov_b32_e32 v12, 0
	v_cmp_gt_u64_e64 s2, s[6:7], v[7:8]
	v_lshlrev_b64 v[7:8], 1, v[7:8]
	s_delay_alu instid0(VALU_DEP_2)
	s_and_saveexec_b32 s22, s2
	s_cbranch_execz .LBB149_81
; %bb.80:                               ;   in Loop: Header=BB149_73 Depth=1
	s_delay_alu instid0(VALU_DEP_1) | instskip(NEXT) | instid1(VALU_DEP_1)
	v_add_co_u32 v15, s3, s11, v7
	v_add_co_ci_u32_e64 v16, s3, s12, v8, s3
	v_mov_b32_e32 v17, 0
	global_load_d16_hi_b16 v17, v[15:16], off
	v_add_co_u32 v15, s3, s13, v7
	s_delay_alu instid0(VALU_DEP_1)
	v_add_co_ci_u32_e64 v16, s3, s14, v8, s3
	global_load_u16 v12, v[15:16], off
	s_waitcnt vmcnt(1)
	v_or_b32_e32 v10, v17, v10
.LBB149_81:                             ;   in Loop: Header=BB149_73 Depth=1
	s_or_b32 exec_lo, exec_lo, s22
	s_waitcnt vmcnt(0)
	v_mul_lo_u16 v15, v11, s10
	s_mov_b32 s22, exec_lo
                                        ; implicit-def: $vgpr11
	s_delay_alu instid0(VALU_DEP_1)
	v_cmpx_lt_i16_e32 -1, v15
	s_xor_b32 s22, exec_lo, s22
	s_cbranch_execz .LBB149_87
; %bb.82:                               ;   in Loop: Header=BB149_73 Depth=1
	v_mov_b32_e32 v11, 1
	s_mov_b32 s23, exec_lo
	v_cmpx_ne_u16_e32 0, v15
	s_cbranch_execz .LBB149_86
; %bb.83:                               ;   in Loop: Header=BB149_73 Depth=1
	v_perm_b32 v11, v9, 1, 0x5040100
	s_mov_b32 s24, 0
	.p2align	6
.LBB149_84:                             ;   Parent Loop BB149_73 Depth=1
                                        ; =>  This Inner Loop Header: Depth=2
	s_delay_alu instid0(VALU_DEP_1) | instskip(NEXT) | instid1(VALU_DEP_2)
	v_and_b32_e32 v16, 1, v15
	v_lshrrev_b32_e32 v17, 16, v11
	v_lshrrev_b16 v18, 15, v15
	s_delay_alu instid0(VALU_DEP_3) | instskip(NEXT) | instid1(VALU_DEP_1)
	v_cmp_eq_u32_e64 s3, 1, v16
	v_cndmask_b32_e64 v16, 1, v17, s3
	s_delay_alu instid0(VALU_DEP_3) | instskip(SKIP_1) | instid1(VALU_DEP_3)
	v_add_nc_u16 v17, v15, v18
	v_add_nc_u16 v15, v15, 1
	v_bfi_b32 v16, 0xffff, v16, v11
	s_delay_alu instid0(VALU_DEP_3) | instskip(NEXT) | instid1(VALU_DEP_3)
	v_ashrrev_i16 v17, 1, v17
	v_cmp_gt_u16_e64 s3, 3, v15
	s_delay_alu instid0(VALU_DEP_3) | instskip(NEXT) | instid1(VALU_DEP_3)
	v_pk_mul_lo_u16 v11, v16, v11
	v_mov_b32_e32 v15, v17
	s_delay_alu instid0(VALU_DEP_3) | instskip(NEXT) | instid1(SALU_CYCLE_1)
	s_or_b32 s24, s3, s24
	s_and_not1_b32 exec_lo, exec_lo, s24
	s_cbranch_execnz .LBB149_84
; %bb.85:                               ;   in Loop: Header=BB149_73 Depth=1
	s_or_b32 exec_lo, exec_lo, s24
.LBB149_86:                             ;   in Loop: Header=BB149_73 Depth=1
	s_delay_alu instid0(SALU_CYCLE_1)
	s_or_b32 exec_lo, exec_lo, s23
                                        ; implicit-def: $vgpr15
.LBB149_87:                             ;   in Loop: Header=BB149_73 Depth=1
	s_and_not1_saveexec_b32 s22, s22
	s_cbranch_execz .LBB149_97
; %bb.88:                               ;   in Loop: Header=BB149_73 Depth=1
	s_mov_b32 s23, 0
	s_mov_b32 s24, 0
	s_mov_b32 s25, exec_lo
	v_cmpx_lt_i16_e32 0, v9
	s_xor_b32 s25, exec_lo, s25
; %bb.89:                               ;   in Loop: Header=BB149_73 Depth=1
	v_cmp_ne_u16_e64 s3, 1, v9
	s_delay_alu instid0(VALU_DEP_1)
	s_and_b32 s24, s3, exec_lo
; %bb.90:                               ;   in Loop: Header=BB149_73 Depth=1
	s_and_not1_saveexec_b32 s25, s25
; %bb.91:                               ;   in Loop: Header=BB149_73 Depth=1
	v_cmp_ne_u16_e64 s3, -1, v9
	s_and_not1_b32 s24, s24, exec_lo
	s_mov_b32 s23, exec_lo
	s_delay_alu instid0(VALU_DEP_1) | instskip(NEXT) | instid1(SALU_CYCLE_1)
	s_and_b32 s3, s3, exec_lo
	s_or_b32 s24, s24, s3
; %bb.92:                               ;   in Loop: Header=BB149_73 Depth=1
	s_or_b32 exec_lo, exec_lo, s25
	v_mov_b32_e32 v11, v9
	s_and_saveexec_b32 s3, s24
	s_delay_alu instid0(SALU_CYCLE_1)
	s_xor_b32 s3, exec_lo, s3
; %bb.93:                               ;   in Loop: Header=BB149_73 Depth=1
	v_mov_b32_e32 v11, 0
	s_and_not1_b32 s23, s23, exec_lo
; %bb.94:                               ;   in Loop: Header=BB149_73 Depth=1
	s_or_b32 exec_lo, exec_lo, s3
	s_and_saveexec_b32 s24, s23
; %bb.95:                               ;   in Loop: Header=BB149_73 Depth=1
	v_and_b32_e32 v11, 1, v15
	s_delay_alu instid0(VALU_DEP_1) | instskip(NEXT) | instid1(VALU_DEP_1)
	v_cmp_eq_u16_e64 s3, 0, v11
	v_cndmask_b32_e64 v11, -1, 1, s3
; %bb.96:                               ;   in Loop: Header=BB149_73 Depth=1
	s_or_b32 exec_lo, exec_lo, s24
.LBB149_97:                             ;   in Loop: Header=BB149_73 Depth=1
	s_delay_alu instid0(SALU_CYCLE_1) | instskip(SKIP_3) | instid1(VALU_DEP_2)
	s_or_b32 exec_lo, exec_lo, s22
	v_mul_lo_u16 v14, v14, s10
	v_lshrrev_b32_e32 v15, 16, v9
	s_mov_b32 s22, exec_lo
                                        ; implicit-def: $vgpr9
	v_cmpx_lt_i16_e32 -1, v14
	s_xor_b32 s22, exec_lo, s22
	s_cbranch_execz .LBB149_103
; %bb.98:                               ;   in Loop: Header=BB149_73 Depth=1
	v_mov_b32_e32 v9, 1
	s_mov_b32 s23, exec_lo
	v_cmpx_ne_u16_e32 0, v14
	s_cbranch_execz .LBB149_102
; %bb.99:                               ;   in Loop: Header=BB149_73 Depth=1
	v_perm_b32 v9, v15, 1, 0x5040100
	s_mov_b32 s24, 0
	.p2align	6
.LBB149_100:                            ;   Parent Loop BB149_73 Depth=1
                                        ; =>  This Inner Loop Header: Depth=2
	s_delay_alu instid0(VALU_DEP_1) | instskip(NEXT) | instid1(VALU_DEP_2)
	v_and_b32_e32 v15, 1, v14
	v_lshrrev_b32_e32 v16, 16, v9
	v_lshrrev_b16 v17, 15, v14
	s_delay_alu instid0(VALU_DEP_3) | instskip(NEXT) | instid1(VALU_DEP_1)
	v_cmp_eq_u32_e64 s3, 1, v15
	v_cndmask_b32_e64 v15, 1, v16, s3
	s_delay_alu instid0(VALU_DEP_3) | instskip(SKIP_1) | instid1(VALU_DEP_3)
	v_add_nc_u16 v16, v14, v17
	v_add_nc_u16 v14, v14, 1
	v_bfi_b32 v15, 0xffff, v15, v9
	s_delay_alu instid0(VALU_DEP_3) | instskip(NEXT) | instid1(VALU_DEP_3)
	v_ashrrev_i16 v16, 1, v16
	v_cmp_gt_u16_e64 s3, 3, v14
	s_delay_alu instid0(VALU_DEP_3) | instskip(NEXT) | instid1(VALU_DEP_3)
	v_pk_mul_lo_u16 v9, v15, v9
	v_mov_b32_e32 v14, v16
	s_delay_alu instid0(VALU_DEP_3) | instskip(NEXT) | instid1(SALU_CYCLE_1)
	s_or_b32 s24, s3, s24
	s_and_not1_b32 exec_lo, exec_lo, s24
	s_cbranch_execnz .LBB149_100
; %bb.101:                              ;   in Loop: Header=BB149_73 Depth=1
	s_or_b32 exec_lo, exec_lo, s24
.LBB149_102:                            ;   in Loop: Header=BB149_73 Depth=1
	s_delay_alu instid0(SALU_CYCLE_1)
	s_or_b32 exec_lo, exec_lo, s23
                                        ; implicit-def: $vgpr14
                                        ; implicit-def: $vgpr15
.LBB149_103:                            ;   in Loop: Header=BB149_73 Depth=1
	s_and_not1_saveexec_b32 s22, s22
	s_cbranch_execz .LBB149_110
; %bb.104:                              ;   in Loop: Header=BB149_73 Depth=1
	s_mov_b32 s23, 0
	s_mov_b32 s24, 0
	s_mov_b32 s25, exec_lo
	v_cmpx_lt_i16_e32 0, v15
	s_xor_b32 s25, exec_lo, s25
	s_cbranch_execnz .LBB149_147
; %bb.105:                              ;   in Loop: Header=BB149_73 Depth=1
	s_and_not1_saveexec_b32 s25, s25
	s_cbranch_execnz .LBB149_148
.LBB149_106:                            ;   in Loop: Header=BB149_73 Depth=1
	s_or_b32 exec_lo, exec_lo, s25
	s_and_saveexec_b32 s3, s24
	s_delay_alu instid0(SALU_CYCLE_1)
	s_xor_b32 s3, exec_lo, s3
	s_cbranch_execnz .LBB149_149
.LBB149_107:                            ;   in Loop: Header=BB149_73 Depth=1
	s_or_b32 exec_lo, exec_lo, s3
	s_and_saveexec_b32 s24, s23
.LBB149_108:                            ;   in Loop: Header=BB149_73 Depth=1
	v_and_b32_e32 v9, 1, v14
	s_delay_alu instid0(VALU_DEP_1) | instskip(NEXT) | instid1(VALU_DEP_1)
	v_cmp_eq_u16_e64 s3, 0, v9
	v_cndmask_b32_e64 v15, -1, 1, s3
.LBB149_109:                            ;   in Loop: Header=BB149_73 Depth=1
	s_or_b32 exec_lo, exec_lo, s24
	s_delay_alu instid0(VALU_DEP_1)
	v_mov_b32_e32 v9, v15
.LBB149_110:                            ;   in Loop: Header=BB149_73 Depth=1
	s_or_b32 exec_lo, exec_lo, s22
	v_mul_lo_u16 v14, v13, s10
	s_mov_b32 s22, exec_lo
                                        ; implicit-def: $vgpr13
	s_delay_alu instid0(VALU_DEP_1)
	v_cmpx_lt_i16_e32 -1, v14
	s_xor_b32 s22, exec_lo, s22
	s_cbranch_execz .LBB149_116
; %bb.111:                              ;   in Loop: Header=BB149_73 Depth=1
	v_mov_b32_e32 v13, 1
	s_mov_b32 s23, exec_lo
	v_cmpx_ne_u16_e32 0, v14
	s_cbranch_execz .LBB149_115
; %bb.112:                              ;   in Loop: Header=BB149_73 Depth=1
	v_perm_b32 v13, v10, 1, 0x5040100
	s_mov_b32 s24, 0
	.p2align	6
.LBB149_113:                            ;   Parent Loop BB149_73 Depth=1
                                        ; =>  This Inner Loop Header: Depth=2
	s_delay_alu instid0(VALU_DEP_1) | instskip(NEXT) | instid1(VALU_DEP_2)
	v_and_b32_e32 v15, 1, v14
	v_lshrrev_b32_e32 v16, 16, v13
	v_lshrrev_b16 v17, 15, v14
	s_delay_alu instid0(VALU_DEP_3) | instskip(NEXT) | instid1(VALU_DEP_1)
	v_cmp_eq_u32_e64 s3, 1, v15
	v_cndmask_b32_e64 v15, 1, v16, s3
	s_delay_alu instid0(VALU_DEP_3) | instskip(SKIP_1) | instid1(VALU_DEP_3)
	v_add_nc_u16 v16, v14, v17
	v_add_nc_u16 v14, v14, 1
	v_bfi_b32 v15, 0xffff, v15, v13
	s_delay_alu instid0(VALU_DEP_3) | instskip(NEXT) | instid1(VALU_DEP_3)
	v_ashrrev_i16 v16, 1, v16
	v_cmp_gt_u16_e64 s3, 3, v14
	s_delay_alu instid0(VALU_DEP_3) | instskip(NEXT) | instid1(VALU_DEP_3)
	v_pk_mul_lo_u16 v13, v15, v13
	v_mov_b32_e32 v14, v16
	s_delay_alu instid0(VALU_DEP_3) | instskip(NEXT) | instid1(SALU_CYCLE_1)
	s_or_b32 s24, s3, s24
	s_and_not1_b32 exec_lo, exec_lo, s24
	s_cbranch_execnz .LBB149_113
; %bb.114:                              ;   in Loop: Header=BB149_73 Depth=1
	s_or_b32 exec_lo, exec_lo, s24
.LBB149_115:                            ;   in Loop: Header=BB149_73 Depth=1
	s_delay_alu instid0(SALU_CYCLE_1)
	s_or_b32 exec_lo, exec_lo, s23
                                        ; implicit-def: $vgpr14
.LBB149_116:                            ;   in Loop: Header=BB149_73 Depth=1
	s_and_not1_saveexec_b32 s22, s22
	s_cbranch_execz .LBB149_126
; %bb.117:                              ;   in Loop: Header=BB149_73 Depth=1
	s_mov_b32 s23, 0
	s_mov_b32 s24, 0
	s_mov_b32 s25, exec_lo
	v_cmpx_lt_i16_e32 0, v10
	s_xor_b32 s25, exec_lo, s25
; %bb.118:                              ;   in Loop: Header=BB149_73 Depth=1
	v_cmp_ne_u16_e64 s3, 1, v10
	s_delay_alu instid0(VALU_DEP_1)
	s_and_b32 s24, s3, exec_lo
; %bb.119:                              ;   in Loop: Header=BB149_73 Depth=1
	s_and_not1_saveexec_b32 s25, s25
; %bb.120:                              ;   in Loop: Header=BB149_73 Depth=1
	v_cmp_ne_u16_e64 s3, -1, v10
	s_and_not1_b32 s24, s24, exec_lo
	s_mov_b32 s23, exec_lo
	s_delay_alu instid0(VALU_DEP_1) | instskip(NEXT) | instid1(SALU_CYCLE_1)
	s_and_b32 s3, s3, exec_lo
	s_or_b32 s24, s24, s3
; %bb.121:                              ;   in Loop: Header=BB149_73 Depth=1
	s_or_b32 exec_lo, exec_lo, s25
	v_mov_b32_e32 v13, v10
	s_and_saveexec_b32 s3, s24
	s_delay_alu instid0(SALU_CYCLE_1)
	s_xor_b32 s3, exec_lo, s3
; %bb.122:                              ;   in Loop: Header=BB149_73 Depth=1
	v_mov_b32_e32 v13, 0
	s_and_not1_b32 s23, s23, exec_lo
; %bb.123:                              ;   in Loop: Header=BB149_73 Depth=1
	s_or_b32 exec_lo, exec_lo, s3
	s_and_saveexec_b32 s24, s23
; %bb.124:                              ;   in Loop: Header=BB149_73 Depth=1
	v_and_b32_e32 v13, 1, v14
	s_delay_alu instid0(VALU_DEP_1) | instskip(NEXT) | instid1(VALU_DEP_1)
	v_cmp_eq_u16_e64 s3, 0, v13
	v_cndmask_b32_e64 v13, -1, 1, s3
; %bb.125:                              ;   in Loop: Header=BB149_73 Depth=1
	s_or_b32 exec_lo, exec_lo, s24
.LBB149_126:                            ;   in Loop: Header=BB149_73 Depth=1
	s_delay_alu instid0(SALU_CYCLE_1) | instskip(SKIP_3) | instid1(VALU_DEP_2)
	s_or_b32 exec_lo, exec_lo, s22
	v_mul_lo_u16 v12, v12, s10
	v_lshrrev_b32_e32 v14, 16, v10
	s_mov_b32 s22, exec_lo
                                        ; implicit-def: $vgpr10
	v_cmpx_lt_i16_e32 -1, v12
	s_xor_b32 s22, exec_lo, s22
	s_cbranch_execnz .LBB149_132
; %bb.127:                              ;   in Loop: Header=BB149_73 Depth=1
	s_and_not1_saveexec_b32 s22, s22
	s_cbranch_execnz .LBB149_137
.LBB149_128:                            ;   in Loop: Header=BB149_73 Depth=1
	s_or_b32 exec_lo, exec_lo, s22
	s_and_saveexec_b32 s3, vcc_lo
	s_delay_alu instid0(SALU_CYCLE_1)
	s_xor_b32 s3, exec_lo, s3
	s_cbranch_execnz .LBB149_143
.LBB149_129:                            ;   in Loop: Header=BB149_73 Depth=1
	s_or_b32 exec_lo, exec_lo, s3
	s_and_saveexec_b32 s3, s0
	s_cbranch_execnz .LBB149_144
.LBB149_130:                            ;   in Loop: Header=BB149_73 Depth=1
	s_or_b32 exec_lo, exec_lo, s3
	s_and_saveexec_b32 s0, s1
	s_cbranch_execnz .LBB149_145
.LBB149_131:                            ;   in Loop: Header=BB149_73 Depth=1
	s_or_b32 exec_lo, exec_lo, s0
	s_and_saveexec_b32 s0, s2
	s_cbranch_execz .LBB149_72
	s_branch .LBB149_146
.LBB149_132:                            ;   in Loop: Header=BB149_73 Depth=1
	v_mov_b32_e32 v10, 1
	s_mov_b32 s23, exec_lo
	v_cmpx_ne_u16_e32 0, v12
	s_cbranch_execz .LBB149_136
; %bb.133:                              ;   in Loop: Header=BB149_73 Depth=1
	v_perm_b32 v10, v14, 1, 0x5040100
	s_mov_b32 s24, 0
	.p2align	6
.LBB149_134:                            ;   Parent Loop BB149_73 Depth=1
                                        ; =>  This Inner Loop Header: Depth=2
	s_delay_alu instid0(VALU_DEP_1) | instskip(NEXT) | instid1(VALU_DEP_2)
	v_and_b32_e32 v14, 1, v12
	v_lshrrev_b32_e32 v15, 16, v10
	v_lshrrev_b16 v16, 15, v12
	s_delay_alu instid0(VALU_DEP_3) | instskip(NEXT) | instid1(VALU_DEP_1)
	v_cmp_eq_u32_e64 s3, 1, v14
	v_cndmask_b32_e64 v14, 1, v15, s3
	s_delay_alu instid0(VALU_DEP_3) | instskip(SKIP_1) | instid1(VALU_DEP_3)
	v_add_nc_u16 v15, v12, v16
	v_add_nc_u16 v12, v12, 1
	v_bfi_b32 v14, 0xffff, v14, v10
	s_delay_alu instid0(VALU_DEP_3) | instskip(NEXT) | instid1(VALU_DEP_3)
	v_ashrrev_i16 v15, 1, v15
	v_cmp_gt_u16_e64 s3, 3, v12
	s_delay_alu instid0(VALU_DEP_3) | instskip(NEXT) | instid1(VALU_DEP_3)
	v_pk_mul_lo_u16 v10, v14, v10
	v_mov_b32_e32 v12, v15
	s_delay_alu instid0(VALU_DEP_3) | instskip(NEXT) | instid1(SALU_CYCLE_1)
	s_or_b32 s24, s3, s24
	s_and_not1_b32 exec_lo, exec_lo, s24
	s_cbranch_execnz .LBB149_134
; %bb.135:                              ;   in Loop: Header=BB149_73 Depth=1
	s_or_b32 exec_lo, exec_lo, s24
.LBB149_136:                            ;   in Loop: Header=BB149_73 Depth=1
	s_delay_alu instid0(SALU_CYCLE_1)
	s_or_b32 exec_lo, exec_lo, s23
                                        ; implicit-def: $vgpr12
                                        ; implicit-def: $vgpr14
	s_and_not1_saveexec_b32 s22, s22
	s_cbranch_execz .LBB149_128
.LBB149_137:                            ;   in Loop: Header=BB149_73 Depth=1
	s_mov_b32 s23, 0
	s_mov_b32 s24, 0
	s_mov_b32 s25, exec_lo
	v_cmpx_lt_i16_e32 0, v14
	s_xor_b32 s25, exec_lo, s25
	s_cbranch_execnz .LBB149_150
; %bb.138:                              ;   in Loop: Header=BB149_73 Depth=1
	s_and_not1_saveexec_b32 s25, s25
	s_cbranch_execnz .LBB149_151
.LBB149_139:                            ;   in Loop: Header=BB149_73 Depth=1
	s_or_b32 exec_lo, exec_lo, s25
	s_and_saveexec_b32 s3, s24
	s_delay_alu instid0(SALU_CYCLE_1)
	s_xor_b32 s3, exec_lo, s3
	s_cbranch_execnz .LBB149_152
.LBB149_140:                            ;   in Loop: Header=BB149_73 Depth=1
	s_or_b32 exec_lo, exec_lo, s3
	s_and_saveexec_b32 s24, s23
.LBB149_141:                            ;   in Loop: Header=BB149_73 Depth=1
	v_and_b32_e32 v10, 1, v12
	s_delay_alu instid0(VALU_DEP_1) | instskip(NEXT) | instid1(VALU_DEP_1)
	v_cmp_eq_u16_e64 s3, 0, v10
	v_cndmask_b32_e64 v14, -1, 1, s3
.LBB149_142:                            ;   in Loop: Header=BB149_73 Depth=1
	s_or_b32 exec_lo, exec_lo, s24
	s_delay_alu instid0(VALU_DEP_1) | instskip(SKIP_2) | instid1(SALU_CYCLE_1)
	v_mov_b32_e32 v10, v14
	s_or_b32 exec_lo, exec_lo, s22
	s_and_saveexec_b32 s3, vcc_lo
	s_xor_b32 s3, exec_lo, s3
	s_cbranch_execz .LBB149_129
.LBB149_143:                            ;   in Loop: Header=BB149_73 Depth=1
	v_add_co_u32 v1, vcc_lo, s15, v1
	v_add_co_ci_u32_e32 v2, vcc_lo, s16, v2, vcc_lo
	global_store_b16 v[1:2], v11, off
	s_or_b32 exec_lo, exec_lo, s3
	s_and_saveexec_b32 s3, s0
	s_cbranch_execz .LBB149_130
.LBB149_144:                            ;   in Loop: Header=BB149_73 Depth=1
	v_add_co_u32 v1, vcc_lo, s15, v3
	v_add_co_ci_u32_e32 v2, vcc_lo, s16, v4, vcc_lo
	global_store_b16 v[1:2], v9, off
	s_or_b32 exec_lo, exec_lo, s3
	s_and_saveexec_b32 s0, s1
	s_cbranch_execz .LBB149_131
.LBB149_145:                            ;   in Loop: Header=BB149_73 Depth=1
	v_add_co_u32 v1, vcc_lo, s15, v5
	v_add_co_ci_u32_e32 v2, vcc_lo, s16, v6, vcc_lo
	global_store_b16 v[1:2], v13, off
	s_or_b32 exec_lo, exec_lo, s0
	s_and_saveexec_b32 s0, s2
	s_cbranch_execz .LBB149_72
.LBB149_146:                            ;   in Loop: Header=BB149_73 Depth=1
	v_add_co_u32 v1, vcc_lo, s15, v7
	v_add_co_ci_u32_e32 v2, vcc_lo, s16, v8, vcc_lo
	global_store_b16 v[1:2], v10, off
	s_branch .LBB149_72
.LBB149_147:                            ;   in Loop: Header=BB149_73 Depth=1
	v_cmp_ne_u16_e64 s3, 1, v15
	s_delay_alu instid0(VALU_DEP_1)
	s_and_b32 s24, s3, exec_lo
	s_and_not1_saveexec_b32 s25, s25
	s_cbranch_execz .LBB149_106
.LBB149_148:                            ;   in Loop: Header=BB149_73 Depth=1
	v_cmp_ne_u16_e64 s3, -1, v15
	s_and_not1_b32 s24, s24, exec_lo
	s_mov_b32 s23, exec_lo
                                        ; implicit-def: $vgpr15
	s_delay_alu instid0(VALU_DEP_1) | instskip(NEXT) | instid1(SALU_CYCLE_1)
	s_and_b32 s3, s3, exec_lo
	s_or_b32 s24, s24, s3
	s_or_b32 exec_lo, exec_lo, s25
	s_and_saveexec_b32 s3, s24
	s_delay_alu instid0(SALU_CYCLE_1)
	s_xor_b32 s3, exec_lo, s3
	s_cbranch_execz .LBB149_107
.LBB149_149:                            ;   in Loop: Header=BB149_73 Depth=1
	v_mov_b32_e32 v15, 0
	s_and_not1_b32 s23, s23, exec_lo
	s_or_b32 exec_lo, exec_lo, s3
	s_and_saveexec_b32 s24, s23
	s_cbranch_execnz .LBB149_108
	s_branch .LBB149_109
.LBB149_150:                            ;   in Loop: Header=BB149_73 Depth=1
	v_cmp_ne_u16_e64 s3, 1, v14
	s_delay_alu instid0(VALU_DEP_1)
	s_and_b32 s24, s3, exec_lo
	s_and_not1_saveexec_b32 s25, s25
	s_cbranch_execz .LBB149_139
.LBB149_151:                            ;   in Loop: Header=BB149_73 Depth=1
	v_cmp_ne_u16_e64 s3, -1, v14
	s_and_not1_b32 s24, s24, exec_lo
	s_mov_b32 s23, exec_lo
                                        ; implicit-def: $vgpr14
	s_delay_alu instid0(VALU_DEP_1) | instskip(NEXT) | instid1(SALU_CYCLE_1)
	s_and_b32 s3, s3, exec_lo
	s_or_b32 s24, s24, s3
	s_or_b32 exec_lo, exec_lo, s25
	s_and_saveexec_b32 s3, s24
	s_delay_alu instid0(SALU_CYCLE_1)
	s_xor_b32 s3, exec_lo, s3
	s_cbranch_execz .LBB149_140
.LBB149_152:                            ;   in Loop: Header=BB149_73 Depth=1
	v_mov_b32_e32 v14, 0
	s_and_not1_b32 s23, s23, exec_lo
	s_or_b32 exec_lo, exec_lo, s3
	s_and_saveexec_b32 s24, s23
	s_cbranch_execnz .LBB149_141
	s_branch .LBB149_142
.LBB149_153:
	s_nop 0
	s_sendmsg sendmsg(MSG_DEALLOC_VGPRS)
	s_endpgm
	.section	.rodata,"a",@progbits
	.p2align	6, 0x0
	.amdhsa_kernel _ZN2at6native12_GLOBAL__N_125multi_tensor_apply_kernelINS1_18TensorListMetadataILi3EEENS1_24BinaryOpListAlphaFunctorIsLi3ELi2ELi2EEEJNS1_13power_functorIsEEsEEEvT_T0_DpT1_
		.amdhsa_group_segment_fixed_size 0
		.amdhsa_private_segment_fixed_size 0
		.amdhsa_kernarg_size 3408
		.amdhsa_user_sgpr_count 15
		.amdhsa_user_sgpr_dispatch_ptr 0
		.amdhsa_user_sgpr_queue_ptr 0
		.amdhsa_user_sgpr_kernarg_segment_ptr 1
		.amdhsa_user_sgpr_dispatch_id 0
		.amdhsa_user_sgpr_private_segment_size 0
		.amdhsa_wavefront_size32 1
		.amdhsa_uses_dynamic_stack 0
		.amdhsa_enable_private_segment 0
		.amdhsa_system_sgpr_workgroup_id_x 1
		.amdhsa_system_sgpr_workgroup_id_y 0
		.amdhsa_system_sgpr_workgroup_id_z 0
		.amdhsa_system_sgpr_workgroup_info 0
		.amdhsa_system_vgpr_workitem_id 0
		.amdhsa_next_free_vgpr 19
		.amdhsa_next_free_sgpr 26
		.amdhsa_reserve_vcc 1
		.amdhsa_float_round_mode_32 0
		.amdhsa_float_round_mode_16_64 0
		.amdhsa_float_denorm_mode_32 3
		.amdhsa_float_denorm_mode_16_64 3
		.amdhsa_dx10_clamp 1
		.amdhsa_ieee_mode 1
		.amdhsa_fp16_overflow 0
		.amdhsa_workgroup_processor_mode 1
		.amdhsa_memory_ordered 1
		.amdhsa_forward_progress 0
		.amdhsa_shared_vgpr_count 0
		.amdhsa_exception_fp_ieee_invalid_op 0
		.amdhsa_exception_fp_denorm_src 0
		.amdhsa_exception_fp_ieee_div_zero 0
		.amdhsa_exception_fp_ieee_overflow 0
		.amdhsa_exception_fp_ieee_underflow 0
		.amdhsa_exception_fp_ieee_inexact 0
		.amdhsa_exception_int_div_zero 0
	.end_amdhsa_kernel
	.section	.text._ZN2at6native12_GLOBAL__N_125multi_tensor_apply_kernelINS1_18TensorListMetadataILi3EEENS1_24BinaryOpListAlphaFunctorIsLi3ELi2ELi2EEEJNS1_13power_functorIsEEsEEEvT_T0_DpT1_,"axG",@progbits,_ZN2at6native12_GLOBAL__N_125multi_tensor_apply_kernelINS1_18TensorListMetadataILi3EEENS1_24BinaryOpListAlphaFunctorIsLi3ELi2ELi2EEEJNS1_13power_functorIsEEsEEEvT_T0_DpT1_,comdat
.Lfunc_end149:
	.size	_ZN2at6native12_GLOBAL__N_125multi_tensor_apply_kernelINS1_18TensorListMetadataILi3EEENS1_24BinaryOpListAlphaFunctorIsLi3ELi2ELi2EEEJNS1_13power_functorIsEEsEEEvT_T0_DpT1_, .Lfunc_end149-_ZN2at6native12_GLOBAL__N_125multi_tensor_apply_kernelINS1_18TensorListMetadataILi3EEENS1_24BinaryOpListAlphaFunctorIsLi3ELi2ELi2EEEJNS1_13power_functorIsEEsEEEvT_T0_DpT1_
                                        ; -- End function
	.section	.AMDGPU.csdata,"",@progbits
; Kernel info:
; codeLenInByte = 4252
; NumSgprs: 28
; NumVgprs: 19
; ScratchSize: 0
; MemoryBound: 0
; FloatMode: 240
; IeeeMode: 1
; LDSByteSize: 0 bytes/workgroup (compile time only)
; SGPRBlocks: 3
; VGPRBlocks: 2
; NumSGPRsForWavesPerEU: 28
; NumVGPRsForWavesPerEU: 19
; Occupancy: 16
; WaveLimiterHint : 0
; COMPUTE_PGM_RSRC2:SCRATCH_EN: 0
; COMPUTE_PGM_RSRC2:USER_SGPR: 15
; COMPUTE_PGM_RSRC2:TRAP_HANDLER: 0
; COMPUTE_PGM_RSRC2:TGID_X_EN: 1
; COMPUTE_PGM_RSRC2:TGID_Y_EN: 0
; COMPUTE_PGM_RSRC2:TGID_Z_EN: 0
; COMPUTE_PGM_RSRC2:TIDIG_COMP_CNT: 0
	.section	.text._ZN2at6native12_GLOBAL__N_125multi_tensor_apply_kernelINS1_18TensorListMetadataILi3EEENS1_24BinaryOpListAlphaFunctorIdLi3ELi2ELi2EEEJNS1_13power_functorIdEEdEEEvT_T0_DpT1_,"axG",@progbits,_ZN2at6native12_GLOBAL__N_125multi_tensor_apply_kernelINS1_18TensorListMetadataILi3EEENS1_24BinaryOpListAlphaFunctorIdLi3ELi2ELi2EEEJNS1_13power_functorIdEEdEEEvT_T0_DpT1_,comdat
	.globl	_ZN2at6native12_GLOBAL__N_125multi_tensor_apply_kernelINS1_18TensorListMetadataILi3EEENS1_24BinaryOpListAlphaFunctorIdLi3ELi2ELi2EEEJNS1_13power_functorIdEEdEEEvT_T0_DpT1_ ; -- Begin function _ZN2at6native12_GLOBAL__N_125multi_tensor_apply_kernelINS1_18TensorListMetadataILi3EEENS1_24BinaryOpListAlphaFunctorIdLi3ELi2ELi2EEEJNS1_13power_functorIdEEdEEEvT_T0_DpT1_
	.p2align	8
	.type	_ZN2at6native12_GLOBAL__N_125multi_tensor_apply_kernelINS1_18TensorListMetadataILi3EEENS1_24BinaryOpListAlphaFunctorIdLi3ELi2ELi2EEEJNS1_13power_functorIdEEdEEEvT_T0_DpT1_,@function
_ZN2at6native12_GLOBAL__N_125multi_tensor_apply_kernelINS1_18TensorListMetadataILi3EEENS1_24BinaryOpListAlphaFunctorIdLi3ELi2ELi2EEEJNS1_13power_functorIdEEdEEEvT_T0_DpT1_: ; @_ZN2at6native12_GLOBAL__N_125multi_tensor_apply_kernelINS1_18TensorListMetadataILi3EEENS1_24BinaryOpListAlphaFunctorIdLi3ELi2ELi2EEEJNS1_13power_functorIdEEdEEEvT_T0_DpT1_
; %bb.0:
	v_mov_b32_e32 v1, s15
	s_add_u32 s2, s0, s15
	s_mul_hi_u32 s3, s15, 3
	s_mul_i32 s15, s15, 3
	s_addc_u32 s4, s1, 0
	global_load_u8 v1, v1, s[0:1] offset:1536
	s_load_b64 s[28:29], s[0:1], 0xc50
	s_add_u32 s2, s2, s15
	s_addc_u32 s3, s4, s3
	s_load_b32 s2, s[2:3], 0x740
	s_waitcnt vmcnt(0)
	v_readfirstlane_b32 s3, v1
	s_delay_alu instid0(VALU_DEP_1)
	s_lshl_b32 s3, s3, 3
	s_clause 0x3
	s_load_b64 s[30:31], s[0:1], s3 offset:0x0
	s_load_b64 s[34:35], s[0:1], s3 offset:0x180
	;; [unrolled: 1-line block ×4, first 2 shown]
	s_waitcnt lgkmcnt(0)
	s_ashr_i32 s3, s2, 31
	s_delay_alu instid0(SALU_CYCLE_1) | instskip(NEXT) | instid1(SALU_CYCLE_1)
	s_lshl_b64 s[24:25], s[2:3], 19
	s_add_u32 s23, s30, s24
	s_addc_u32 s33, s31, s25
	s_and_b32 s6, s23, 31
	s_add_u32 s92, s34, s24
	s_addc_u32 s93, s35, s25
	s_add_u32 s94, s36, s24
	s_addc_u32 s95, s37, s25
	s_or_b32 s7, s94, s92
	s_delay_alu instid0(SALU_CYCLE_1) | instskip(NEXT) | instid1(SALU_CYCLE_1)
	s_and_b32 s7, s7, 31
	s_cmp_lg_u32 s7, 0
	s_mov_b32 s7, 0
	s_cselect_b32 s10, -1, 0
	s_lshl_b64 s[2:3], s[2:3], 16
	s_mov_b32 s9, s7
	s_sub_u32 s26, s4, s2
	s_subb_u32 s27, s5, s3
	s_and_b32 s8, s4, 3
	s_delay_alu instid0(SALU_CYCLE_1) | instskip(NEXT) | instid1(SALU_CYCLE_1)
	s_or_b64 s[2:3], s[6:7], s[8:9]
	s_cmp_lg_u64 s[2:3], 0
	s_cselect_b32 s2, -1, 0
	s_delay_alu instid0(SALU_CYCLE_1) | instskip(NEXT) | instid1(SALU_CYCLE_1)
	s_or_b32 s2, s10, s2
	s_and_not1_b32 vcc_lo, exec_lo, s2
	s_mov_b32 s2, -1
	s_cbranch_vccz .LBB150_5
; %bb.1:
	v_mov_b32_e32 v9, 0
	v_lshlrev_b32_e32 v1, 2, v0
	s_mov_b32 s96, exec_lo
	s_delay_alu instid0(VALU_DEP_2) | instskip(NEXT) | instid1(VALU_DEP_1)
	v_mov_b32_e32 v2, v9
	v_cmpx_gt_i64_e64 s[26:27], v[1:2]
	s_cbranch_execz .LBB150_4
; %bb.2:
	s_load_b32 s2, s[0:1], 0xc64
	v_dual_mov_b32 v12, v9 :: v_dual_lshlrev_b32 v53, 5, v0
	s_mov_b32 s38, 0x55555555
	s_mov_b32 s40, 0x968915a9
	;; [unrolled: 1-line block ×17, first 2 shown]
	s_waitcnt lgkmcnt(0)
	s_and_b32 s2, s2, 0xffff
	s_mov_b32 s74, 0x7c89e6b0
	v_add_lshl_u32 v11, v0, s2, 2
	s_mov_b32 s76, 0x14761f6e
	s_mov_b32 s78, 0x1852b7b0
	;; [unrolled: 1-line block ×14, first 2 shown]
	s_lshl_b32 s98, s2, 2
	s_lshl_b32 s99, s2, 5
	s_mov_b32 s53, 0x3fcc71c7
	s_mov_b32 s55, 0x3fd24924
	;; [unrolled: 1-line block ×23, first 2 shown]
.LBB150_3:                              ; =>This Inner Loop Header: Depth=1
	v_add_co_u32 v15, s2, s92, v53
	v_add_co_u32 v17, s3, s23, v53
	s_delay_alu instid0(VALU_DEP_1)
	v_add_co_ci_u32_e64 v18, null, s33, 0, s3
	v_add_co_ci_u32_e64 v16, null, s93, 0, s2
	global_load_b128 v[1:4], v[17:18], off
	s_clause 0x1
	global_load_b128 v[5:8], v[15:16], off
	global_load_b128 v[25:28], v[15:16], off offset:16
	s_waitcnt vmcnt(2)
	v_cmp_eq_f64_e32 vcc_lo, 1.0, v[1:2]
	v_cmp_eq_f64_e64 s5, 1.0, v[3:4]
	s_waitcnt vmcnt(1)
	v_mul_f64 v[13:14], v[5:6], s[28:29]
	v_mul_f64 v[23:24], v[7:8], s[28:29]
	s_waitcnt vmcnt(0)
	v_mul_f64 v[27:28], v[27:28], s[28:29]
	s_delay_alu instid0(VALU_DEP_3) | instskip(NEXT) | instid1(VALU_DEP_4)
	v_cndmask_b32_e64 v20, v14, 0x3ff00000, vcc_lo
	v_cndmask_b32_e64 v19, v13, 0, vcc_lo
	;; [unrolled: 1-line block ×3, first 2 shown]
	v_and_b32_e32 v14, 0x7fffffff, v14
	s_delay_alu instid0(VALU_DEP_3) | instskip(SKIP_1) | instid1(VALU_DEP_3)
	v_mul_f64 v[5:6], v[19:20], 0.5
	v_cmp_eq_f64_e64 s9, 0, v[19:20]
	v_cndmask_b32_e64 v14, v14, 0x3ff00000, vcc_lo
	v_cmp_gt_f64_e32 vcc_lo, 0, v[19:20]
	s_delay_alu instid0(VALU_DEP_4) | instskip(NEXT) | instid1(VALU_DEP_1)
	v_trunc_f64_e32 v[21:22], v[5:6]
	v_cmp_neq_f64_e64 s3, v[21:22], v[5:6]
	v_cndmask_b32_e64 v22, v24, 0x3ff00000, s5
	v_cndmask_b32_e64 v21, v23, 0, s5
	s_delay_alu instid0(VALU_DEP_1) | instskip(SKIP_1) | instid1(VALU_DEP_2)
	v_mul_f64 v[5:6], v[21:22], 0.5
	v_cmp_eq_f64_e64 s10, 0, v[21:22]
	v_trunc_f64_e32 v[7:8], v[5:6]
	s_delay_alu instid0(VALU_DEP_1)
	v_cmp_neq_f64_e64 s4, v[7:8], v[5:6]
	global_load_b128 v[5:8], v[17:18], off offset:16
	v_mul_f64 v[17:18], v[25:26], s[28:29]
	s_waitcnt vmcnt(0)
	v_cmp_eq_f64_e64 s2, 1.0, v[5:6]
	v_cmp_eq_f64_e64 s8, 1.0, v[7:8]
	s_delay_alu instid0(VALU_DEP_2) | instskip(NEXT) | instid1(VALU_DEP_4)
	v_cndmask_b32_e64 v16, v18, 0x3ff00000, s2
	v_cndmask_b32_e64 v15, v17, 0, s2
	;; [unrolled: 1-line block ×3, first 2 shown]
	v_and_b32_e32 v18, 0x7fffffff, v18
	s_delay_alu instid0(VALU_DEP_3) | instskip(NEXT) | instid1(VALU_DEP_2)
	v_mul_f64 v[25:26], v[15:16], 0.5
	v_cndmask_b32_e64 v18, v18, 0x3ff00000, s2
	v_cmp_gt_f64_e64 s2, 0, v[15:16]
	s_delay_alu instid0(VALU_DEP_3) | instskip(NEXT) | instid1(VALU_DEP_1)
	v_trunc_f64_e32 v[29:30], v[25:26]
	v_cmp_neq_f64_e64 s6, v[29:30], v[25:26]
	v_cndmask_b32_e64 v26, v28, 0x3ff00000, s8
	v_cndmask_b32_e64 v25, v27, 0, s8
	s_delay_alu instid0(VALU_DEP_1) | instskip(SKIP_1) | instid1(VALU_DEP_2)
	v_mul_f64 v[29:30], v[25:26], 0.5
	v_cmp_eq_f64_e64 s13, 0, v[25:26]
	v_trunc_f64_e32 v[31:32], v[29:30]
	s_delay_alu instid0(VALU_DEP_1) | instskip(SKIP_4) | instid1(VALU_DEP_4)
	v_cmp_neq_f64_e64 s7, v[31:32], v[29:30]
	v_cndmask_b32_e64 v29, v1, 0, s9
	v_and_b32_e32 v10, 0x7fffffff, v2
	v_and_b32_e32 v1, 0x7fffffff, v4
	v_cndmask_b32_e64 v30, v2, 0x3ff00000, s9
	v_mov_b32_e32 v31, v29
	s_delay_alu instid0(VALU_DEP_4) | instskip(SKIP_1) | instid1(VALU_DEP_2)
	v_cndmask_b32_e64 v32, v10, 0x3ff00000, s9
	v_cmp_eq_f64_e64 s9, 0, v[15:16]
	v_frexp_mant_f64_e32 v[33:34], v[31:32]
	v_cmp_gt_f64_e64 s17, 1.0, v[31:32]
	v_cmp_eq_f64_e64 s18, 1.0, v[31:32]
	v_cmp_eq_f64_e64 s19, 0x7ff00000, v[31:32]
	s_delay_alu instid0(VALU_DEP_4) | instskip(NEXT) | instid1(VALU_DEP_1)
	v_cmp_gt_f64_e64 s12, s[38:39], v[33:34]
	v_cndmask_b32_e64 v10, 0x3ff00000, 2.0, s12
	s_delay_alu instid0(VALU_DEP_1) | instskip(NEXT) | instid1(VALU_DEP_1)
	v_mul_f64 v[33:34], v[33:34], v[9:10]
	v_add_f64 v[35:36], v[33:34], 1.0
	s_delay_alu instid0(VALU_DEP_1) | instskip(SKIP_2) | instid1(VALU_DEP_1)
	v_rcp_f64_e32 v[37:38], v[35:36]
	s_waitcnt_depctr 0xfff
	v_fma_f64 v[39:40], -v[35:36], v[37:38], 1.0
	v_fma_f64 v[37:38], v[39:40], v[37:38], v[37:38]
	s_delay_alu instid0(VALU_DEP_1) | instskip(NEXT) | instid1(VALU_DEP_1)
	v_fma_f64 v[39:40], -v[35:36], v[37:38], 1.0
	v_fma_f64 v[37:38], v[39:40], v[37:38], v[37:38]
	v_add_f64 v[39:40], v[35:36], -1.0
	s_delay_alu instid0(VALU_DEP_1) | instskip(SKIP_1) | instid1(VALU_DEP_1)
	v_add_f64 v[39:40], v[33:34], -v[39:40]
	v_add_f64 v[33:34], v[33:34], -1.0
	v_mul_f64 v[41:42], v[33:34], v[37:38]
	s_delay_alu instid0(VALU_DEP_1) | instskip(NEXT) | instid1(VALU_DEP_1)
	v_mul_f64 v[43:44], v[35:36], v[41:42]
	v_fma_f64 v[35:36], v[41:42], v[35:36], -v[43:44]
	s_delay_alu instid0(VALU_DEP_1) | instskip(NEXT) | instid1(VALU_DEP_1)
	v_fma_f64 v[35:36], v[41:42], v[39:40], v[35:36]
	v_add_f64 v[39:40], v[43:44], v[35:36]
	s_delay_alu instid0(VALU_DEP_1) | instskip(NEXT) | instid1(VALU_DEP_1)
	v_add_f64 v[43:44], v[39:40], -v[43:44]
	v_add_f64 v[35:36], v[43:44], -v[35:36]
	;; [unrolled: 1-line block ×3, first 2 shown]
	s_delay_alu instid0(VALU_DEP_1) | instskip(NEXT) | instid1(VALU_DEP_1)
	v_add_f64 v[33:34], v[33:34], -v[43:44]
	v_add_f64 v[33:34], v[33:34], -v[39:40]
	s_delay_alu instid0(VALU_DEP_1) | instskip(NEXT) | instid1(VALU_DEP_1)
	v_add_f64 v[33:34], v[35:36], v[33:34]
	v_add_f64 v[33:34], v[43:44], v[33:34]
	s_delay_alu instid0(VALU_DEP_1) | instskip(NEXT) | instid1(VALU_DEP_1)
	v_mul_f64 v[33:34], v[37:38], v[33:34]
	v_add_f64 v[54:55], v[41:42], v[33:34]
	s_delay_alu instid0(VALU_DEP_1) | instskip(NEXT) | instid1(VALU_DEP_1)
	v_add_f64 v[35:36], v[54:55], -v[41:42]
	v_add_f64 v[56:57], v[33:34], -v[35:36]
	v_mul_f64 v[33:34], v[54:55], v[54:55]
	s_delay_alu instid0(VALU_DEP_2) | instskip(NEXT) | instid1(VALU_DEP_2)
	v_add_f64 v[37:38], v[56:57], v[56:57]
	v_fma_f64 v[35:36], v[54:55], v[54:55], -v[33:34]
	s_delay_alu instid0(VALU_DEP_1) | instskip(NEXT) | instid1(VALU_DEP_1)
	v_fma_f64 v[35:36], v[54:55], v[37:38], v[35:36]
	v_add_f64 v[37:38], v[33:34], v[35:36]
	s_delay_alu instid0(VALU_DEP_1) | instskip(SKIP_1) | instid1(VALU_DEP_2)
	v_add_f64 v[33:34], v[37:38], -v[33:34]
	v_mul_f64 v[39:40], v[54:55], v[37:38]
	v_add_f64 v[33:34], v[35:36], -v[33:34]
	v_fma_f64 v[35:36], v[37:38], s[42:43], s[40:41]
	s_delay_alu instid0(VALU_DEP_3) | instskip(NEXT) | instid1(VALU_DEP_2)
	v_fma_f64 v[41:42], v[37:38], v[54:55], -v[39:40]
	v_fma_f64 v[35:36], v[37:38], v[35:36], s[44:45]
	s_delay_alu instid0(VALU_DEP_2) | instskip(SKIP_1) | instid1(VALU_DEP_3)
	v_fma_f64 v[41:42], v[37:38], v[56:57], v[41:42]
	v_ldexp_f64 v[56:57], v[56:57], 1
	v_fma_f64 v[35:36], v[37:38], v[35:36], s[46:47]
	s_delay_alu instid0(VALU_DEP_1) | instskip(NEXT) | instid1(VALU_DEP_1)
	v_fma_f64 v[35:36], v[37:38], v[35:36], s[48:49]
	v_fma_f64 v[35:36], v[37:38], v[35:36], s[50:51]
	s_delay_alu instid0(VALU_DEP_1) | instskip(NEXT) | instid1(VALU_DEP_1)
	v_fma_f64 v[35:36], v[37:38], v[35:36], s[52:53]
	;; [unrolled: 3-line block ×3, first 2 shown]
	v_mul_f64 v[43:44], v[37:38], v[35:36]
	s_delay_alu instid0(VALU_DEP_1) | instskip(NEXT) | instid1(VALU_DEP_1)
	v_fma_f64 v[37:38], v[37:38], v[35:36], -v[43:44]
	v_fma_f64 v[35:36], v[33:34], v[35:36], v[37:38]
	v_fma_f64 v[33:34], v[33:34], v[54:55], v[41:42]
	v_ldexp_f64 v[54:55], v[54:55], 1
	s_delay_alu instid0(VALU_DEP_3) | instskip(NEXT) | instid1(VALU_DEP_1)
	v_add_f64 v[37:38], v[43:44], v[35:36]
	v_add_f64 v[41:42], v[37:38], -v[43:44]
	s_delay_alu instid0(VALU_DEP_1) | instskip(SKIP_1) | instid1(VALU_DEP_2)
	v_add_f64 v[35:36], v[35:36], -v[41:42]
	v_add_f64 v[41:42], v[37:38], s[38:39]
	v_add_f64 v[35:36], v[35:36], s[64:65]
	s_delay_alu instid0(VALU_DEP_2) | instskip(NEXT) | instid1(VALU_DEP_1)
	v_add_f64 v[43:44], v[41:42], s[62:63]
	v_add_f64 v[37:38], v[37:38], -v[43:44]
	s_delay_alu instid0(VALU_DEP_1) | instskip(NEXT) | instid1(VALU_DEP_1)
	v_add_f64 v[35:36], v[35:36], v[37:38]
	v_add_f64 v[37:38], v[41:42], v[35:36]
	s_delay_alu instid0(VALU_DEP_1) | instskip(NEXT) | instid1(VALU_DEP_1)
	v_add_f64 v[41:42], v[41:42], -v[37:38]
	v_add_f64 v[35:36], v[35:36], v[41:42]
	v_add_f64 v[41:42], v[39:40], v[33:34]
	s_delay_alu instid0(VALU_DEP_1) | instskip(SKIP_1) | instid1(VALU_DEP_2)
	v_mul_f64 v[58:59], v[41:42], v[37:38]
	v_add_f64 v[39:40], v[41:42], -v[39:40]
	v_fma_f64 v[43:44], v[41:42], v[37:38], -v[58:59]
	s_delay_alu instid0(VALU_DEP_2) | instskip(NEXT) | instid1(VALU_DEP_2)
	v_add_f64 v[33:34], v[33:34], -v[39:40]
	v_fma_f64 v[35:36], v[41:42], v[35:36], v[43:44]
	v_cndmask_b32_e64 v44, v1, 0x3ff00000, s10
	s_delay_alu instid0(VALU_DEP_2) | instskip(SKIP_2) | instid1(VALU_DEP_2)
	v_fma_f64 v[60:61], v[33:34], v[37:38], v[35:36]
	v_cndmask_b32_e64 v37, v3, 0, s10
	v_cndmask_b32_e64 v38, v4, 0x3ff00000, s10
	v_mov_b32_e32 v43, v37
	s_delay_alu instid0(VALU_DEP_2) | instskip(NEXT) | instid1(VALU_DEP_2)
	v_cmp_o_f64_e64 s16, v[37:38], v[21:22]
	v_frexp_mant_f64_e32 v[1:2], v[43:44]
	v_cmp_eq_f64_e64 s20, 0x7ff00000, v[43:44]
	s_delay_alu instid0(VALU_DEP_2) | instskip(NEXT) | instid1(VALU_DEP_1)
	v_cmp_gt_f64_e64 s11, s[38:39], v[1:2]
	v_cndmask_b32_e64 v10, 0x3ff00000, 2.0, s11
	s_delay_alu instid0(VALU_DEP_1) | instskip(NEXT) | instid1(VALU_DEP_1)
	v_mul_f64 v[1:2], v[1:2], v[9:10]
	v_add_f64 v[3:4], v[1:2], 1.0
	s_delay_alu instid0(VALU_DEP_1) | instskip(SKIP_2) | instid1(VALU_DEP_1)
	v_rcp_f64_e32 v[33:34], v[3:4]
	s_waitcnt_depctr 0xfff
	v_fma_f64 v[35:36], -v[3:4], v[33:34], 1.0
	v_fma_f64 v[33:34], v[35:36], v[33:34], v[33:34]
	s_delay_alu instid0(VALU_DEP_1) | instskip(NEXT) | instid1(VALU_DEP_1)
	v_fma_f64 v[35:36], -v[3:4], v[33:34], 1.0
	v_fma_f64 v[33:34], v[35:36], v[33:34], v[33:34]
	v_add_f64 v[35:36], v[3:4], -1.0
	s_delay_alu instid0(VALU_DEP_1) | instskip(SKIP_1) | instid1(VALU_DEP_1)
	v_add_f64 v[35:36], v[1:2], -v[35:36]
	v_add_f64 v[1:2], v[1:2], -1.0
	v_mul_f64 v[39:40], v[1:2], v[33:34]
	s_delay_alu instid0(VALU_DEP_1) | instskip(NEXT) | instid1(VALU_DEP_1)
	v_mul_f64 v[41:42], v[3:4], v[39:40]
	v_fma_f64 v[3:4], v[39:40], v[3:4], -v[41:42]
	s_delay_alu instid0(VALU_DEP_1) | instskip(NEXT) | instid1(VALU_DEP_1)
	v_fma_f64 v[3:4], v[39:40], v[35:36], v[3:4]
	v_add_f64 v[35:36], v[41:42], v[3:4]
	s_delay_alu instid0(VALU_DEP_1) | instskip(NEXT) | instid1(VALU_DEP_1)
	v_add_f64 v[41:42], v[35:36], -v[41:42]
	v_add_f64 v[3:4], v[41:42], -v[3:4]
	;; [unrolled: 1-line block ×3, first 2 shown]
	s_delay_alu instid0(VALU_DEP_1) | instskip(NEXT) | instid1(VALU_DEP_1)
	v_add_f64 v[1:2], v[1:2], -v[41:42]
	v_add_f64 v[1:2], v[1:2], -v[35:36]
	s_delay_alu instid0(VALU_DEP_1) | instskip(NEXT) | instid1(VALU_DEP_1)
	v_add_f64 v[1:2], v[3:4], v[1:2]
	v_add_f64 v[1:2], v[41:42], v[1:2]
	s_delay_alu instid0(VALU_DEP_1) | instskip(NEXT) | instid1(VALU_DEP_1)
	v_mul_f64 v[1:2], v[33:34], v[1:2]
	v_add_f64 v[62:63], v[39:40], v[1:2]
	s_delay_alu instid0(VALU_DEP_1) | instskip(NEXT) | instid1(VALU_DEP_1)
	v_add_f64 v[3:4], v[62:63], -v[39:40]
	v_add_f64 v[64:65], v[1:2], -v[3:4]
	v_mul_f64 v[1:2], v[62:63], v[62:63]
	s_delay_alu instid0(VALU_DEP_2) | instskip(NEXT) | instid1(VALU_DEP_2)
	v_add_f64 v[33:34], v[64:65], v[64:65]
	v_fma_f64 v[3:4], v[62:63], v[62:63], -v[1:2]
	s_delay_alu instid0(VALU_DEP_1) | instskip(NEXT) | instid1(VALU_DEP_1)
	v_fma_f64 v[3:4], v[62:63], v[33:34], v[3:4]
	v_add_f64 v[33:34], v[1:2], v[3:4]
	s_delay_alu instid0(VALU_DEP_1) | instskip(SKIP_1) | instid1(VALU_DEP_2)
	v_add_f64 v[1:2], v[33:34], -v[1:2]
	v_mul_f64 v[35:36], v[62:63], v[33:34]
	v_add_f64 v[1:2], v[3:4], -v[1:2]
	v_fma_f64 v[3:4], v[33:34], s[42:43], s[40:41]
	s_delay_alu instid0(VALU_DEP_3) | instskip(NEXT) | instid1(VALU_DEP_2)
	v_fma_f64 v[39:40], v[33:34], v[62:63], -v[35:36]
	v_fma_f64 v[3:4], v[33:34], v[3:4], s[44:45]
	s_delay_alu instid0(VALU_DEP_2) | instskip(NEXT) | instid1(VALU_DEP_2)
	v_fma_f64 v[39:40], v[33:34], v[64:65], v[39:40]
	v_fma_f64 v[3:4], v[33:34], v[3:4], s[46:47]
	s_delay_alu instid0(VALU_DEP_1) | instskip(NEXT) | instid1(VALU_DEP_1)
	v_fma_f64 v[3:4], v[33:34], v[3:4], s[48:49]
	v_fma_f64 v[3:4], v[33:34], v[3:4], s[50:51]
	s_delay_alu instid0(VALU_DEP_1) | instskip(NEXT) | instid1(VALU_DEP_1)
	;; [unrolled: 3-line block ×3, first 2 shown]
	v_fma_f64 v[3:4], v[33:34], v[3:4], s[56:57]
	v_mul_f64 v[41:42], v[33:34], v[3:4]
	s_delay_alu instid0(VALU_DEP_1) | instskip(NEXT) | instid1(VALU_DEP_1)
	v_fma_f64 v[33:34], v[33:34], v[3:4], -v[41:42]
	v_fma_f64 v[3:4], v[1:2], v[3:4], v[33:34]
	v_fma_f64 v[1:2], v[1:2], v[62:63], v[39:40]
	v_ldexp_f64 v[62:63], v[62:63], 1
	s_delay_alu instid0(VALU_DEP_3) | instskip(NEXT) | instid1(VALU_DEP_1)
	v_add_f64 v[33:34], v[41:42], v[3:4]
	v_add_f64 v[39:40], v[33:34], -v[41:42]
	s_delay_alu instid0(VALU_DEP_1) | instskip(SKIP_1) | instid1(VALU_DEP_2)
	v_add_f64 v[3:4], v[3:4], -v[39:40]
	v_add_f64 v[39:40], v[33:34], s[38:39]
	v_add_f64 v[3:4], v[3:4], s[64:65]
	s_delay_alu instid0(VALU_DEP_2) | instskip(NEXT) | instid1(VALU_DEP_1)
	v_add_f64 v[41:42], v[39:40], s[62:63]
	v_add_f64 v[33:34], v[33:34], -v[41:42]
	s_delay_alu instid0(VALU_DEP_1) | instskip(NEXT) | instid1(VALU_DEP_1)
	v_add_f64 v[3:4], v[3:4], v[33:34]
	v_add_f64 v[33:34], v[39:40], v[3:4]
	s_delay_alu instid0(VALU_DEP_1) | instskip(NEXT) | instid1(VALU_DEP_1)
	v_add_f64 v[39:40], v[39:40], -v[33:34]
	v_add_f64 v[3:4], v[3:4], v[39:40]
	v_add_f64 v[39:40], v[35:36], v[1:2]
	s_delay_alu instid0(VALU_DEP_1) | instskip(SKIP_1) | instid1(VALU_DEP_2)
	v_mul_f64 v[66:67], v[39:40], v[33:34]
	v_add_f64 v[35:36], v[39:40], -v[35:36]
	v_fma_f64 v[41:42], v[39:40], v[33:34], -v[66:67]
	s_delay_alu instid0(VALU_DEP_2) | instskip(NEXT) | instid1(VALU_DEP_2)
	v_add_f64 v[1:2], v[1:2], -v[35:36]
	v_fma_f64 v[3:4], v[39:40], v[3:4], v[41:42]
	s_delay_alu instid0(VALU_DEP_1) | instskip(SKIP_3) | instid1(VALU_DEP_3)
	v_fma_f64 v[68:69], v[1:2], v[33:34], v[3:4]
	v_and_b32_e32 v1, 0x7fffffff, v6
	v_cndmask_b32_e64 v2, v6, 0x3ff00000, s9
	v_cndmask_b32_e64 v6, v8, 0x3ff00000, s13
	;; [unrolled: 1-line block ×5, first 2 shown]
	v_and_b32_e32 v7, 0x7fffffff, v8
	s_delay_alu instid0(VALU_DEP_3) | instskip(NEXT) | instid1(VALU_DEP_2)
	v_mov_b32_e32 v3, v1
	v_cndmask_b32_e64 v8, v7, 0x3ff00000, s13
	s_delay_alu instid0(VALU_DEP_4) | instskip(NEXT) | instid1(VALU_DEP_3)
	v_mov_b32_e32 v7, v5
	v_frexp_mant_f64_e32 v[33:34], v[3:4]
	s_delay_alu instid0(VALU_DEP_1) | instskip(NEXT) | instid1(VALU_DEP_1)
	v_cmp_gt_f64_e64 s10, s[38:39], v[33:34]
	v_cndmask_b32_e64 v10, 0x3ff00000, 2.0, s10
	s_delay_alu instid0(VALU_DEP_1) | instskip(NEXT) | instid1(VALU_DEP_1)
	v_mul_f64 v[33:34], v[33:34], v[9:10]
	v_add_f64 v[35:36], v[33:34], 1.0
	s_delay_alu instid0(VALU_DEP_1) | instskip(SKIP_2) | instid1(VALU_DEP_1)
	v_rcp_f64_e32 v[39:40], v[35:36]
	s_waitcnt_depctr 0xfff
	v_fma_f64 v[41:42], -v[35:36], v[39:40], 1.0
	v_fma_f64 v[39:40], v[41:42], v[39:40], v[39:40]
	s_delay_alu instid0(VALU_DEP_1) | instskip(NEXT) | instid1(VALU_DEP_1)
	v_fma_f64 v[41:42], -v[35:36], v[39:40], 1.0
	v_fma_f64 v[39:40], v[41:42], v[39:40], v[39:40]
	v_add_f64 v[41:42], v[35:36], -1.0
	s_delay_alu instid0(VALU_DEP_1) | instskip(SKIP_1) | instid1(VALU_DEP_1)
	v_add_f64 v[41:42], v[33:34], -v[41:42]
	v_add_f64 v[33:34], v[33:34], -1.0
	v_mul_f64 v[45:46], v[33:34], v[39:40]
	s_delay_alu instid0(VALU_DEP_1) | instskip(NEXT) | instid1(VALU_DEP_1)
	v_mul_f64 v[47:48], v[35:36], v[45:46]
	v_fma_f64 v[35:36], v[45:46], v[35:36], -v[47:48]
	s_delay_alu instid0(VALU_DEP_1) | instskip(NEXT) | instid1(VALU_DEP_1)
	v_fma_f64 v[35:36], v[45:46], v[41:42], v[35:36]
	v_add_f64 v[41:42], v[47:48], v[35:36]
	s_delay_alu instid0(VALU_DEP_1) | instskip(NEXT) | instid1(VALU_DEP_1)
	v_add_f64 v[47:48], v[41:42], -v[47:48]
	v_add_f64 v[35:36], v[47:48], -v[35:36]
	;; [unrolled: 1-line block ×3, first 2 shown]
	s_delay_alu instid0(VALU_DEP_1) | instskip(NEXT) | instid1(VALU_DEP_1)
	v_add_f64 v[33:34], v[33:34], -v[47:48]
	v_add_f64 v[33:34], v[33:34], -v[41:42]
	s_delay_alu instid0(VALU_DEP_1) | instskip(NEXT) | instid1(VALU_DEP_1)
	v_add_f64 v[33:34], v[35:36], v[33:34]
	v_add_f64 v[33:34], v[47:48], v[33:34]
	s_delay_alu instid0(VALU_DEP_1) | instskip(NEXT) | instid1(VALU_DEP_1)
	v_mul_f64 v[33:34], v[39:40], v[33:34]
	v_add_f64 v[41:42], v[45:46], v[33:34]
	s_delay_alu instid0(VALU_DEP_1) | instskip(NEXT) | instid1(VALU_DEP_1)
	v_add_f64 v[35:36], v[41:42], -v[45:46]
	v_add_f64 v[39:40], v[33:34], -v[35:36]
	v_mul_f64 v[33:34], v[41:42], v[41:42]
	s_delay_alu instid0(VALU_DEP_2) | instskip(NEXT) | instid1(VALU_DEP_2)
	v_add_f64 v[45:46], v[39:40], v[39:40]
	v_fma_f64 v[35:36], v[41:42], v[41:42], -v[33:34]
	s_delay_alu instid0(VALU_DEP_1) | instskip(NEXT) | instid1(VALU_DEP_1)
	v_fma_f64 v[35:36], v[41:42], v[45:46], v[35:36]
	v_add_f64 v[45:46], v[33:34], v[35:36]
	s_delay_alu instid0(VALU_DEP_1) | instskip(SKIP_1) | instid1(VALU_DEP_2)
	v_add_f64 v[33:34], v[45:46], -v[33:34]
	v_mul_f64 v[47:48], v[41:42], v[45:46]
	v_add_f64 v[33:34], v[35:36], -v[33:34]
	v_fma_f64 v[35:36], v[45:46], s[42:43], s[40:41]
	s_delay_alu instid0(VALU_DEP_3) | instskip(NEXT) | instid1(VALU_DEP_2)
	v_fma_f64 v[49:50], v[45:46], v[41:42], -v[47:48]
	v_fma_f64 v[35:36], v[45:46], v[35:36], s[44:45]
	s_delay_alu instid0(VALU_DEP_2) | instskip(NEXT) | instid1(VALU_DEP_2)
	v_fma_f64 v[49:50], v[45:46], v[39:40], v[49:50]
	v_fma_f64 v[35:36], v[45:46], v[35:36], s[46:47]
	s_delay_alu instid0(VALU_DEP_1) | instskip(NEXT) | instid1(VALU_DEP_1)
	v_fma_f64 v[35:36], v[45:46], v[35:36], s[48:49]
	v_fma_f64 v[35:36], v[45:46], v[35:36], s[50:51]
	s_delay_alu instid0(VALU_DEP_1) | instskip(NEXT) | instid1(VALU_DEP_1)
	;; [unrolled: 3-line block ×3, first 2 shown]
	v_fma_f64 v[35:36], v[45:46], v[35:36], s[56:57]
	v_mul_f64 v[51:52], v[45:46], v[35:36]
	s_delay_alu instid0(VALU_DEP_1) | instskip(NEXT) | instid1(VALU_DEP_1)
	v_fma_f64 v[45:46], v[45:46], v[35:36], -v[51:52]
	v_fma_f64 v[35:36], v[33:34], v[35:36], v[45:46]
	v_fma_f64 v[33:34], v[33:34], v[41:42], v[49:50]
	s_delay_alu instid0(VALU_DEP_2) | instskip(NEXT) | instid1(VALU_DEP_1)
	v_add_f64 v[45:46], v[51:52], v[35:36]
	v_add_f64 v[49:50], v[45:46], -v[51:52]
	s_delay_alu instid0(VALU_DEP_1) | instskip(SKIP_1) | instid1(VALU_DEP_2)
	v_add_f64 v[35:36], v[35:36], -v[49:50]
	v_add_f64 v[49:50], v[45:46], s[38:39]
	v_add_f64 v[35:36], v[35:36], s[64:65]
	s_delay_alu instid0(VALU_DEP_2) | instskip(NEXT) | instid1(VALU_DEP_1)
	v_add_f64 v[51:52], v[49:50], s[62:63]
	v_add_f64 v[45:46], v[45:46], -v[51:52]
	v_add_f64 v[51:52], v[47:48], v[33:34]
	s_delay_alu instid0(VALU_DEP_2) | instskip(NEXT) | instid1(VALU_DEP_2)
	v_add_f64 v[35:36], v[35:36], v[45:46]
	v_add_f64 v[47:48], v[51:52], -v[47:48]
	s_delay_alu instid0(VALU_DEP_2) | instskip(NEXT) | instid1(VALU_DEP_2)
	v_add_f64 v[45:46], v[49:50], v[35:36]
	v_add_f64 v[33:34], v[33:34], -v[47:48]
	s_delay_alu instid0(VALU_DEP_2) | instskip(NEXT) | instid1(VALU_DEP_1)
	v_add_f64 v[49:50], v[49:50], -v[45:46]
	v_add_f64 v[35:36], v[35:36], v[49:50]
	v_mul_f64 v[49:50], v[51:52], v[45:46]
	s_delay_alu instid0(VALU_DEP_1) | instskip(NEXT) | instid1(VALU_DEP_1)
	v_fma_f64 v[70:71], v[51:52], v[45:46], -v[49:50]
	v_fma_f64 v[35:36], v[51:52], v[35:36], v[70:71]
	s_delay_alu instid0(VALU_DEP_1) | instskip(SKIP_1) | instid1(VALU_DEP_1)
	v_fma_f64 v[51:52], v[33:34], v[45:46], v[35:36]
	v_frexp_mant_f64_e32 v[33:34], v[7:8]
	v_cmp_gt_f64_e64 s9, s[38:39], v[33:34]
	s_delay_alu instid0(VALU_DEP_1) | instskip(NEXT) | instid1(VALU_DEP_1)
	v_cndmask_b32_e64 v10, 0x3ff00000, 2.0, s9
	v_mul_f64 v[33:34], v[33:34], v[9:10]
	v_frexp_exp_i32_f64_e32 v10, v[31:32]
	s_delay_alu instid0(VALU_DEP_2) | instskip(NEXT) | instid1(VALU_DEP_2)
	v_add_f64 v[35:36], v[33:34], 1.0
	v_subrev_co_ci_u32_e64 v10, s12, 0, v10, s12
	s_delay_alu instid0(VALU_DEP_2) | instskip(SKIP_2) | instid1(VALU_DEP_1)
	v_rcp_f64_e32 v[45:46], v[35:36]
	s_waitcnt_depctr 0xfff
	v_fma_f64 v[47:48], -v[35:36], v[45:46], 1.0
	v_fma_f64 v[45:46], v[47:48], v[45:46], v[45:46]
	s_delay_alu instid0(VALU_DEP_1) | instskip(NEXT) | instid1(VALU_DEP_1)
	v_fma_f64 v[47:48], -v[35:36], v[45:46], 1.0
	v_fma_f64 v[45:46], v[47:48], v[45:46], v[45:46]
	v_add_f64 v[47:48], v[35:36], -1.0
	s_delay_alu instid0(VALU_DEP_1) | instskip(SKIP_1) | instid1(VALU_DEP_1)
	v_add_f64 v[47:48], v[33:34], -v[47:48]
	v_add_f64 v[33:34], v[33:34], -1.0
	v_mul_f64 v[70:71], v[33:34], v[45:46]
	s_delay_alu instid0(VALU_DEP_1) | instskip(NEXT) | instid1(VALU_DEP_1)
	v_mul_f64 v[72:73], v[35:36], v[70:71]
	v_fma_f64 v[35:36], v[70:71], v[35:36], -v[72:73]
	s_delay_alu instid0(VALU_DEP_1) | instskip(NEXT) | instid1(VALU_DEP_1)
	v_fma_f64 v[35:36], v[70:71], v[47:48], v[35:36]
	v_add_f64 v[47:48], v[72:73], v[35:36]
	s_delay_alu instid0(VALU_DEP_1) | instskip(NEXT) | instid1(VALU_DEP_1)
	v_add_f64 v[72:73], v[47:48], -v[72:73]
	v_add_f64 v[35:36], v[72:73], -v[35:36]
	;; [unrolled: 1-line block ×3, first 2 shown]
	s_delay_alu instid0(VALU_DEP_1) | instskip(NEXT) | instid1(VALU_DEP_1)
	v_add_f64 v[33:34], v[33:34], -v[72:73]
	v_add_f64 v[33:34], v[33:34], -v[47:48]
	s_delay_alu instid0(VALU_DEP_1) | instskip(NEXT) | instid1(VALU_DEP_1)
	v_add_f64 v[33:34], v[35:36], v[33:34]
	v_add_f64 v[33:34], v[72:73], v[33:34]
	s_delay_alu instid0(VALU_DEP_1) | instskip(NEXT) | instid1(VALU_DEP_1)
	v_mul_f64 v[33:34], v[45:46], v[33:34]
	v_add_f64 v[35:36], v[70:71], v[33:34]
	s_delay_alu instid0(VALU_DEP_1) | instskip(NEXT) | instid1(VALU_DEP_1)
	v_add_f64 v[45:46], v[35:36], -v[70:71]
	v_add_f64 v[33:34], v[33:34], -v[45:46]
	v_mul_f64 v[45:46], v[35:36], v[35:36]
	s_delay_alu instid0(VALU_DEP_2) | instskip(NEXT) | instid1(VALU_DEP_2)
	v_add_f64 v[70:71], v[33:34], v[33:34]
	v_fma_f64 v[47:48], v[35:36], v[35:36], -v[45:46]
	s_delay_alu instid0(VALU_DEP_1) | instskip(NEXT) | instid1(VALU_DEP_1)
	v_fma_f64 v[47:48], v[35:36], v[70:71], v[47:48]
	v_add_f64 v[70:71], v[45:46], v[47:48]
	s_delay_alu instid0(VALU_DEP_1) | instskip(SKIP_1) | instid1(VALU_DEP_2)
	v_add_f64 v[45:46], v[70:71], -v[45:46]
	v_mul_f64 v[72:73], v[35:36], v[70:71]
	v_add_f64 v[45:46], v[47:48], -v[45:46]
	v_fma_f64 v[47:48], v[70:71], s[42:43], s[40:41]
	s_delay_alu instid0(VALU_DEP_3) | instskip(NEXT) | instid1(VALU_DEP_2)
	v_fma_f64 v[74:75], v[70:71], v[35:36], -v[72:73]
	v_fma_f64 v[47:48], v[70:71], v[47:48], s[44:45]
	s_delay_alu instid0(VALU_DEP_2) | instskip(NEXT) | instid1(VALU_DEP_2)
	v_fma_f64 v[74:75], v[70:71], v[33:34], v[74:75]
	v_fma_f64 v[47:48], v[70:71], v[47:48], s[46:47]
	s_delay_alu instid0(VALU_DEP_1) | instskip(NEXT) | instid1(VALU_DEP_1)
	v_fma_f64 v[47:48], v[70:71], v[47:48], s[48:49]
	v_fma_f64 v[47:48], v[70:71], v[47:48], s[50:51]
	s_delay_alu instid0(VALU_DEP_1) | instskip(NEXT) | instid1(VALU_DEP_1)
	;; [unrolled: 3-line block ×3, first 2 shown]
	v_fma_f64 v[47:48], v[70:71], v[47:48], s[56:57]
	v_mul_f64 v[76:77], v[70:71], v[47:48]
	s_delay_alu instid0(VALU_DEP_1) | instskip(NEXT) | instid1(VALU_DEP_1)
	v_fma_f64 v[70:71], v[70:71], v[47:48], -v[76:77]
	v_fma_f64 v[47:48], v[45:46], v[47:48], v[70:71]
	v_fma_f64 v[70:71], v[45:46], v[35:36], v[74:75]
	s_delay_alu instid0(VALU_DEP_2) | instskip(NEXT) | instid1(VALU_DEP_1)
	v_add_f64 v[45:46], v[76:77], v[47:48]
	v_add_f64 v[74:75], v[45:46], -v[76:77]
	s_delay_alu instid0(VALU_DEP_1) | instskip(SKIP_1) | instid1(VALU_DEP_2)
	v_add_f64 v[47:48], v[47:48], -v[74:75]
	v_add_f64 v[74:75], v[45:46], s[38:39]
	v_add_f64 v[47:48], v[47:48], s[64:65]
	s_delay_alu instid0(VALU_DEP_2) | instskip(NEXT) | instid1(VALU_DEP_1)
	v_add_f64 v[76:77], v[74:75], s[62:63]
	v_add_f64 v[45:46], v[45:46], -v[76:77]
	v_add_f64 v[76:77], v[72:73], v[70:71]
	s_delay_alu instid0(VALU_DEP_2) | instskip(NEXT) | instid1(VALU_DEP_2)
	v_add_f64 v[45:46], v[47:48], v[45:46]
	v_add_f64 v[72:73], v[76:77], -v[72:73]
	s_delay_alu instid0(VALU_DEP_2) | instskip(NEXT) | instid1(VALU_DEP_2)
	v_add_f64 v[47:48], v[74:75], v[45:46]
	v_add_f64 v[70:71], v[70:71], -v[72:73]
	s_delay_alu instid0(VALU_DEP_2) | instskip(NEXT) | instid1(VALU_DEP_1)
	v_add_f64 v[74:75], v[74:75], -v[47:48]
	v_add_f64 v[74:75], v[45:46], v[74:75]
	v_mul_f64 v[45:46], v[76:77], v[47:48]
	s_delay_alu instid0(VALU_DEP_1) | instskip(NEXT) | instid1(VALU_DEP_1)
	v_fma_f64 v[78:79], v[76:77], v[47:48], -v[45:46]
	v_fma_f64 v[74:75], v[76:77], v[74:75], v[78:79]
	s_delay_alu instid0(VALU_DEP_1) | instskip(SKIP_1) | instid1(VALU_DEP_1)
	v_fma_f64 v[47:48], v[70:71], v[47:48], v[74:75]
	v_cvt_f64_i32_e32 v[70:71], v10
	v_mul_f64 v[72:73], v[70:71], s[58:59]
	s_delay_alu instid0(VALU_DEP_1) | instskip(NEXT) | instid1(VALU_DEP_1)
	v_fma_f64 v[74:75], v[70:71], s[58:59], -v[72:73]
	v_fma_f64 v[70:71], v[70:71], s[60:61], v[74:75]
	s_delay_alu instid0(VALU_DEP_1) | instskip(NEXT) | instid1(VALU_DEP_1)
	v_add_f64 v[74:75], v[72:73], v[70:71]
	v_add_f64 v[72:73], v[74:75], -v[72:73]
	s_delay_alu instid0(VALU_DEP_1) | instskip(SKIP_1) | instid1(VALU_DEP_1)
	v_add_f64 v[70:71], v[70:71], -v[72:73]
	v_add_f64 v[72:73], v[58:59], v[60:61]
	v_add_f64 v[58:59], v[72:73], -v[58:59]
	s_delay_alu instid0(VALU_DEP_1) | instskip(SKIP_1) | instid1(VALU_DEP_2)
	v_add_f64 v[58:59], v[60:61], -v[58:59]
	v_add_f64 v[60:61], v[54:55], v[72:73]
	v_add_f64 v[56:57], v[56:57], v[58:59]
	s_delay_alu instid0(VALU_DEP_2) | instskip(NEXT) | instid1(VALU_DEP_1)
	v_add_f64 v[54:55], v[60:61], -v[54:55]
	v_add_f64 v[54:55], v[72:73], -v[54:55]
	s_delay_alu instid0(VALU_DEP_1) | instskip(NEXT) | instid1(VALU_DEP_1)
	v_add_f64 v[54:55], v[56:57], v[54:55]
	v_add_f64 v[56:57], v[60:61], v[54:55]
	s_delay_alu instid0(VALU_DEP_1) | instskip(NEXT) | instid1(VALU_DEP_1)
	v_add_f64 v[58:59], v[56:57], -v[60:61]
	v_add_f64 v[54:55], v[54:55], -v[58:59]
	v_add_f64 v[58:59], v[74:75], v[56:57]
	s_delay_alu instid0(VALU_DEP_1) | instskip(NEXT) | instid1(VALU_DEP_1)
	v_add_f64 v[60:61], v[58:59], -v[74:75]
	v_add_f64 v[56:57], v[56:57], -v[60:61]
	;; [unrolled: 1-line block ×3, first 2 shown]
	s_delay_alu instid0(VALU_DEP_1) | instskip(NEXT) | instid1(VALU_DEP_1)
	v_add_f64 v[60:61], v[74:75], -v[60:61]
	v_add_f64 v[56:57], v[56:57], v[60:61]
	v_add_f64 v[60:61], v[70:71], v[54:55]
	s_delay_alu instid0(VALU_DEP_1) | instskip(NEXT) | instid1(VALU_DEP_3)
	v_add_f64 v[72:73], v[60:61], -v[70:71]
	v_add_f64 v[56:57], v[60:61], v[56:57]
	s_delay_alu instid0(VALU_DEP_2) | instskip(SKIP_1) | instid1(VALU_DEP_3)
	v_add_f64 v[54:55], v[54:55], -v[72:73]
	v_add_f64 v[72:73], v[60:61], -v[72:73]
	v_add_f64 v[60:61], v[58:59], v[56:57]
	s_delay_alu instid0(VALU_DEP_2) | instskip(NEXT) | instid1(VALU_DEP_2)
	v_add_f64 v[70:71], v[70:71], -v[72:73]
	v_add_f64 v[58:59], v[60:61], -v[58:59]
	s_delay_alu instid0(VALU_DEP_2) | instskip(NEXT) | instid1(VALU_DEP_2)
	v_add_f64 v[54:55], v[54:55], v[70:71]
	v_add_f64 v[56:57], v[56:57], -v[58:59]
	s_delay_alu instid0(VALU_DEP_1) | instskip(NEXT) | instid1(VALU_DEP_1)
	v_add_f64 v[54:55], v[54:55], v[56:57]
	v_add_f64 v[56:57], v[60:61], v[54:55]
	s_delay_alu instid0(VALU_DEP_1) | instskip(NEXT) | instid1(VALU_DEP_1)
	v_add_f64 v[58:59], v[56:57], -v[60:61]
	v_add_f64 v[54:55], v[54:55], -v[58:59]
	v_mul_f64 v[58:59], v[19:20], v[56:57]
	s_delay_alu instid0(VALU_DEP_1) | instskip(SKIP_1) | instid1(VALU_DEP_2)
	v_fma_f64 v[56:57], v[19:20], v[56:57], -v[58:59]
	v_cmp_class_f64_e64 s12, v[58:59], 0x204
	v_fma_f64 v[54:55], v[19:20], v[54:55], v[56:57]
	s_delay_alu instid0(VALU_DEP_1) | instskip(NEXT) | instid1(VALU_DEP_1)
	v_add_f64 v[56:57], v[58:59], v[54:55]
	v_cndmask_b32_e64 v61, v57, v59, s12
	s_delay_alu instid0(VALU_DEP_2) | instskip(SKIP_1) | instid1(VALU_DEP_2)
	v_cndmask_b32_e64 v60, v56, v58, s12
	v_add_f64 v[56:57], v[56:57], -v[58:59]
	v_cmp_neq_f64_e64 s12, 0x7ff00000, |v[60:61]|
	v_cmp_ngt_f64_e64 s13, 0xc090cc00, v[60:61]
	s_delay_alu instid0(VALU_DEP_3) | instskip(SKIP_1) | instid1(VALU_DEP_2)
	v_add_f64 v[54:55], v[54:55], -v[56:57]
	v_mul_f64 v[56:57], v[60:61], s[66:67]
	v_cndmask_b32_e64 v55, 0, v55, s12
	s_delay_alu instid0(VALU_DEP_2) | instskip(NEXT) | instid1(VALU_DEP_4)
	v_rndne_f64_e32 v[56:57], v[56:57]
	v_cndmask_b32_e64 v54, 0, v54, s12
	v_cmp_lt_f64_e64 s12, 0x40900000, v[60:61]
	s_delay_alu instid0(VALU_DEP_3) | instskip(SKIP_1) | instid1(VALU_DEP_2)
	v_fma_f64 v[58:59], v[56:57], s[88:89], v[60:61]
	v_cvt_i32_f64_e32 v10, v[56:57]
	v_fma_f64 v[58:59], v[56:57], s[90:91], v[58:59]
	s_delay_alu instid0(VALU_DEP_1) | instskip(NEXT) | instid1(VALU_DEP_1)
	v_fma_f64 v[60:61], v[58:59], s[70:71], s[68:69]
	v_fma_f64 v[60:61], v[58:59], v[60:61], s[72:73]
	s_delay_alu instid0(VALU_DEP_1) | instskip(NEXT) | instid1(VALU_DEP_1)
	v_fma_f64 v[60:61], v[58:59], v[60:61], s[74:75]
	;; [unrolled: 3-line block ×5, first 2 shown]
	v_fma_f64 v[60:61], v[58:59], v[60:61], 1.0
	s_delay_alu instid0(VALU_DEP_1) | instskip(NEXT) | instid1(VALU_DEP_1)
	v_fma_f64 v[58:59], v[58:59], v[60:61], 1.0
	v_ldexp_f64 v[56:57], v[58:59], v10
	s_delay_alu instid0(VALU_DEP_1) | instskip(SKIP_1) | instid1(VALU_DEP_1)
	v_cndmask_b32_e64 v10, v57, 0x7ff00000, s12
	v_and_b32_e32 v57, 0x7fffffff, v57
	v_cmp_eq_f64_e64 s14, 0x7ff00000, v[56:57]
	v_cndmask_b32_e64 v56, v56, 0, s12
	s_delay_alu instid0(VALU_DEP_4) | instskip(NEXT) | instid1(VALU_DEP_2)
	v_cndmask_b32_e64 v57, 0, v10, s13
	v_cndmask_b32_e64 v56, 0, v56, s13
	s_delay_alu instid0(VALU_DEP_1)
	v_fma_f64 v[54:55], v[56:57], v[54:55], v[56:57]
	s_or_b32 s12, s12, s14
	v_cmp_o_f64_e64 s14, v[29:30], v[19:20]
	s_and_b32 s12, s13, s12
	s_delay_alu instid0(VALU_DEP_2) | instid1(SALU_CYCLE_1)
	v_cndmask_b32_e64 v10, v54, v56, s12
	v_frexp_exp_i32_f64_e32 v54, v[43:44]
	s_delay_alu instid0(VALU_DEP_4) | instskip(NEXT) | instid1(VALU_DEP_2)
	v_cndmask_b32_e64 v70, v55, v57, s12
	v_subrev_co_ci_u32_e64 v54, s11, 0, v54, s11
	s_delay_alu instid0(VALU_DEP_1) | instskip(NEXT) | instid1(VALU_DEP_1)
	v_cvt_f64_i32_e32 v[54:55], v54
	v_mul_f64 v[56:57], v[54:55], s[58:59]
	s_delay_alu instid0(VALU_DEP_1) | instskip(NEXT) | instid1(VALU_DEP_1)
	v_fma_f64 v[58:59], v[54:55], s[58:59], -v[56:57]
	v_fma_f64 v[54:55], v[54:55], s[60:61], v[58:59]
	s_delay_alu instid0(VALU_DEP_1) | instskip(NEXT) | instid1(VALU_DEP_1)
	v_add_f64 v[58:59], v[56:57], v[54:55]
	v_add_f64 v[56:57], v[58:59], -v[56:57]
	s_delay_alu instid0(VALU_DEP_1) | instskip(SKIP_1) | instid1(VALU_DEP_1)
	v_add_f64 v[54:55], v[54:55], -v[56:57]
	v_add_f64 v[56:57], v[66:67], v[68:69]
	v_add_f64 v[60:61], v[56:57], -v[66:67]
	v_add_f64 v[66:67], v[62:63], v[56:57]
	s_delay_alu instid0(VALU_DEP_2) | instskip(NEXT) | instid1(VALU_DEP_2)
	v_add_f64 v[60:61], v[68:69], -v[60:61]
	v_add_f64 v[62:63], v[66:67], -v[62:63]
	s_delay_alu instid0(VALU_DEP_1) | instskip(SKIP_1) | instid1(VALU_DEP_1)
	v_add_f64 v[56:57], v[56:57], -v[62:63]
	v_ldexp_f64 v[62:63], v[64:65], 1
	v_add_f64 v[60:61], v[62:63], v[60:61]
	s_delay_alu instid0(VALU_DEP_1) | instskip(NEXT) | instid1(VALU_DEP_1)
	v_add_f64 v[56:57], v[60:61], v[56:57]
	v_add_f64 v[60:61], v[66:67], v[56:57]
	s_delay_alu instid0(VALU_DEP_1) | instskip(NEXT) | instid1(VALU_DEP_1)
	v_add_f64 v[62:63], v[60:61], -v[66:67]
	v_add_f64 v[56:57], v[56:57], -v[62:63]
	v_add_f64 v[62:63], v[58:59], v[60:61]
	s_delay_alu instid0(VALU_DEP_1) | instskip(NEXT) | instid1(VALU_DEP_1)
	v_add_f64 v[64:65], v[62:63], -v[58:59]
	v_add_f64 v[60:61], v[60:61], -v[64:65]
	;; [unrolled: 1-line block ×3, first 2 shown]
	s_delay_alu instid0(VALU_DEP_1) | instskip(NEXT) | instid1(VALU_DEP_1)
	v_add_f64 v[58:59], v[58:59], -v[64:65]
	v_add_f64 v[58:59], v[60:61], v[58:59]
	v_add_f64 v[60:61], v[54:55], v[56:57]
	s_delay_alu instid0(VALU_DEP_1) | instskip(NEXT) | instid1(VALU_DEP_3)
	v_add_f64 v[64:65], v[60:61], -v[54:55]
	v_add_f64 v[58:59], v[60:61], v[58:59]
	s_delay_alu instid0(VALU_DEP_2) | instskip(SKIP_1) | instid1(VALU_DEP_1)
	v_add_f64 v[56:57], v[56:57], -v[64:65]
	v_add_f64 v[64:65], v[60:61], -v[64:65]
	;; [unrolled: 1-line block ×3, first 2 shown]
	s_delay_alu instid0(VALU_DEP_1) | instskip(SKIP_1) | instid1(VALU_DEP_1)
	v_add_f64 v[54:55], v[56:57], v[54:55]
	v_add_f64 v[56:57], v[62:63], v[58:59]
	v_add_f64 v[60:61], v[56:57], -v[62:63]
	s_delay_alu instid0(VALU_DEP_1) | instskip(NEXT) | instid1(VALU_DEP_1)
	v_add_f64 v[58:59], v[58:59], -v[60:61]
	v_add_f64 v[54:55], v[54:55], v[58:59]
	s_delay_alu instid0(VALU_DEP_1) | instskip(NEXT) | instid1(VALU_DEP_1)
	v_add_f64 v[58:59], v[56:57], v[54:55]
	v_add_f64 v[56:57], v[58:59], -v[56:57]
	s_delay_alu instid0(VALU_DEP_1) | instskip(SKIP_1) | instid1(VALU_DEP_1)
	v_add_f64 v[54:55], v[54:55], -v[56:57]
	v_mul_f64 v[56:57], v[21:22], v[58:59]
	v_fma_f64 v[58:59], v[21:22], v[58:59], -v[56:57]
	v_cmp_class_f64_e64 s11, v[56:57], 0x204
	s_delay_alu instid0(VALU_DEP_2) | instskip(NEXT) | instid1(VALU_DEP_1)
	v_fma_f64 v[54:55], v[21:22], v[54:55], v[58:59]
	v_add_f64 v[58:59], v[56:57], v[54:55]
	s_delay_alu instid0(VALU_DEP_1) | instskip(NEXT) | instid1(VALU_DEP_2)
	v_cndmask_b32_e64 v61, v59, v57, s11
	v_cndmask_b32_e64 v60, v58, v56, s11
	v_add_f64 v[56:57], v[58:59], -v[56:57]
	s_delay_alu instid0(VALU_DEP_2) | instskip(SKIP_1) | instid1(VALU_DEP_3)
	v_cmp_neq_f64_e64 s11, 0x7ff00000, |v[60:61]|
	v_cmp_ngt_f64_e64 s12, 0xc090cc00, v[60:61]
	v_add_f64 v[54:55], v[54:55], -v[56:57]
	v_mul_f64 v[56:57], v[60:61], s[66:67]
	s_delay_alu instid0(VALU_DEP_2) | instskip(NEXT) | instid1(VALU_DEP_2)
	v_cndmask_b32_e64 v55, 0, v55, s11
	v_rndne_f64_e32 v[56:57], v[56:57]
	s_delay_alu instid0(VALU_DEP_4) | instskip(SKIP_1) | instid1(VALU_DEP_3)
	v_cndmask_b32_e64 v54, 0, v54, s11
	v_cmp_lt_f64_e64 s11, 0x40900000, v[60:61]
	v_fma_f64 v[58:59], v[56:57], s[88:89], v[60:61]
	s_delay_alu instid0(VALU_DEP_1) | instskip(SKIP_1) | instid1(VALU_DEP_2)
	v_fma_f64 v[58:59], v[56:57], s[90:91], v[58:59]
	v_cvt_i32_f64_e32 v56, v[56:57]
	v_fma_f64 v[60:61], v[58:59], s[70:71], s[68:69]
	s_delay_alu instid0(VALU_DEP_1) | instskip(NEXT) | instid1(VALU_DEP_1)
	v_fma_f64 v[60:61], v[58:59], v[60:61], s[72:73]
	v_fma_f64 v[60:61], v[58:59], v[60:61], s[74:75]
	s_delay_alu instid0(VALU_DEP_1) | instskip(NEXT) | instid1(VALU_DEP_1)
	v_fma_f64 v[60:61], v[58:59], v[60:61], s[76:77]
	;; [unrolled: 3-line block ×4, first 2 shown]
	v_fma_f64 v[60:61], v[58:59], v[60:61], s[86:87]
	s_delay_alu instid0(VALU_DEP_1) | instskip(NEXT) | instid1(VALU_DEP_1)
	v_fma_f64 v[60:61], v[58:59], v[60:61], 1.0
	v_fma_f64 v[58:59], v[58:59], v[60:61], 1.0
	s_delay_alu instid0(VALU_DEP_1) | instskip(NEXT) | instid1(VALU_DEP_1)
	v_ldexp_f64 v[56:57], v[58:59], v56
	v_cndmask_b32_e64 v58, v57, 0x7ff00000, s11
	v_and_b32_e32 v57, 0x7fffffff, v57
	s_delay_alu instid0(VALU_DEP_1) | instskip(SKIP_1) | instid1(VALU_DEP_4)
	v_cmp_eq_f64_e64 s13, 0x7ff00000, v[56:57]
	v_cndmask_b32_e64 v56, v56, 0, s11
	v_cndmask_b32_e64 v57, 0, v58, s12
	s_delay_alu instid0(VALU_DEP_2) | instskip(NEXT) | instid1(VALU_DEP_1)
	v_cndmask_b32_e64 v56, 0, v56, s12
	v_fma_f64 v[54:55], v[56:57], v[54:55], v[56:57]
	s_or_b32 s11, s11, s13
	v_cmp_neq_f64_e64 s13, v[19:20], v[13:14]
	s_and_b32 s11, s12, s11
	s_delay_alu instid0(VALU_DEP_2) | instid1(SALU_CYCLE_1)
	v_cndmask_b32_e64 v56, v54, v56, s11
	s_delay_alu instid0(VALU_DEP_3) | instskip(SKIP_1) | instid1(VALU_DEP_4)
	v_cndmask_b32_e64 v57, v55, v57, s11
	v_trunc_f64_e32 v[54:55], v[19:20]
	s_xor_b32 s21, s13, s17
	v_cmp_gt_f64_e64 s13, 1.0, v[43:44]
	v_cmp_eq_f64_e64 s17, 1.0, v[43:44]
	s_delay_alu instid0(VALU_DEP_3) | instskip(SKIP_3) | instid1(VALU_DEP_3)
	v_cmp_eq_f64_e64 s11, v[54:55], v[19:20]
	v_and_b32_e32 v20, 0x7fffffff, v24
	v_cndmask_b32_e64 v19, v23, 0, s5
	v_trunc_f64_e32 v[54:55], v[21:22]
	v_cndmask_b32_e64 v20, v20, 0x3ff00000, s5
	v_cmp_gt_f64_e64 s5, 0, v[21:22]
	s_delay_alu instid0(VALU_DEP_2) | instskip(SKIP_1) | instid1(VALU_DEP_4)
	v_cmp_neq_f64_e64 s15, v[21:22], v[19:20]
	s_and_b32 s3, s11, s3
	v_cmp_eq_f64_e64 s12, v[54:55], v[21:22]
	v_cndmask_b32_e64 v21, v14, 0, s21
	s_delay_alu instid0(VALU_DEP_1)
	v_cndmask_b32_e64 v21, v21, v32, s18
	v_ldexp_f64 v[31:32], v[41:42], 1
	s_xor_b32 s22, s15, s13
	v_cmp_eq_f64_e64 s13, 0x7ff00000, v[13:14]
	v_cndmask_b32_e64 v13, v13, 0, s21
	v_cmp_eq_f64_e64 s21, 0, v[29:30]
	v_cndmask_b32_e64 v22, v20, 0, s22
	;; [unrolled: 2-line block ×3, first 2 shown]
	v_cndmask_b32_e64 v19, 0x3ff00000, v30, s3
	v_cndmask_b32_e64 v20, 0, v30, s3
	v_cmp_eq_f64_e64 s3, 0, v[37:38]
	v_cmp_gt_f64_e64 s22, 0, v[29:30]
	v_cndmask_b32_e64 v13, v13, v29, s18
	v_bfi_b32 v19, 0x7fffffff, v70, v19
	v_cmp_gt_f64_e64 s18, 0, v[37:38]
	v_cndmask_b32_e64 v22, v22, v44, s17
	v_cndmask_b32_e64 v14, v14, v37, s17
	s_and_b32 s4, s12, s4
	s_delay_alu instid0(SALU_CYCLE_1) | instskip(SKIP_1) | instid1(VALU_DEP_2)
	v_cndmask_b32_e64 v23, 0x3ff00000, v38, s4
	v_cndmask_b32_e64 v24, 0, v38, s4
	v_bfi_b32 v23, 0x7fffffff, v57, v23
	s_xor_b32 s4, vcc_lo, s21
	s_or_b32 vcc_lo, s19, s21
	v_cndmask_b32_e64 v29, 0x7ff00000, 0, s4
	s_xor_b32 s4, s5, s3
	s_delay_alu instid0(VALU_DEP_1) | instskip(SKIP_3) | instid1(VALU_DEP_2)
	v_bfi_b32 v20, 0x7fffffff, v29, v20
	v_cndmask_b32_e64 v29, 0x7ff00000, 0, s4
	s_or_b32 s3, s20, s3
	v_cmp_o_f64_e64 s5, v[1:2], v[15:16]
	v_bfi_b32 v24, 0x7fffffff, v29, v24
	v_cndmask_b32_e64 v29, 0, v10, s11
	s_delay_alu instid0(VALU_DEP_1) | instskip(SKIP_2) | instid1(VALU_DEP_3)
	v_cndmask_b32_e64 v10, v10, v29, s22
	v_cndmask_b32_e64 v29, 0x7ff80000, v19, s11
	v_cmp_gt_f64_e64 s11, 1.0, v[3:4]
	v_cndmask_b32_e64 v10, v10, v13, s13
	s_delay_alu instid0(VALU_DEP_3)
	v_cndmask_b32_e64 v19, v19, v29, s22
	v_cndmask_b32_e64 v13, 0x7ff80000, v23, s12
	;; [unrolled: 1-line block ×3, first 2 shown]
	v_cmp_eq_f64_e64 s12, 1.0, v[3:4]
	v_cndmask_b32_e64 v10, v10, 0, vcc_lo
	v_cndmask_b32_e64 v19, v19, v21, s13
	v_cndmask_b32_e64 v13, v23, v13, s18
	v_cndmask_b32_e64 v29, v56, v29, s18
	v_cmp_eq_f64_e64 s13, 0x7ff00000, v[3:4]
	s_delay_alu instid0(VALU_DEP_4)
	v_cndmask_b32_e32 v20, v19, v20, vcc_lo
	v_cndmask_b32_e64 v19, 0, v10, s14
	v_frexp_exp_i32_f64_e32 v10, v[3:4]
	v_cndmask_b32_e64 v13, v13, v22, s15
	v_cndmask_b32_e64 v14, v29, v14, s15
	;; [unrolled: 1-line block ×3, first 2 shown]
	s_delay_alu instid0(VALU_DEP_3) | instskip(NEXT) | instid1(VALU_DEP_3)
	v_cndmask_b32_e64 v13, v13, v24, s3
	v_cndmask_b32_e64 v14, v14, 0, s3
	s_delay_alu instid0(VALU_DEP_2) | instskip(SKIP_1) | instid1(VALU_DEP_3)
	v_cndmask_b32_e64 v22, 0x7ff80000, v13, s16
	v_add_co_u32 v13, s3, s94, v53
	v_cndmask_b32_e64 v21, 0, v14, s16
	v_add_co_ci_u32_e64 v14, null, s95, 0, s3
	global_store_b128 v[13:14], v[19:22], off
	v_subrev_co_ci_u32_e64 v10, vcc_lo, 0, v10, s10
	v_cmp_o_f64_e64 s10, v[5:6], v[25:26]
	s_delay_alu instid0(VALU_DEP_2) | instskip(NEXT) | instid1(VALU_DEP_1)
	v_cvt_f64_i32_e32 v[19:20], v10
	v_mul_f64 v[21:22], v[19:20], s[58:59]
	s_delay_alu instid0(VALU_DEP_1) | instskip(NEXT) | instid1(VALU_DEP_1)
	v_fma_f64 v[23:24], v[19:20], s[58:59], -v[21:22]
	v_fma_f64 v[19:20], v[19:20], s[60:61], v[23:24]
	s_delay_alu instid0(VALU_DEP_1) | instskip(NEXT) | instid1(VALU_DEP_1)
	v_add_f64 v[23:24], v[21:22], v[19:20]
	v_add_f64 v[21:22], v[23:24], -v[21:22]
	s_delay_alu instid0(VALU_DEP_1) | instskip(SKIP_1) | instid1(VALU_DEP_1)
	v_add_f64 v[19:20], v[19:20], -v[21:22]
	v_add_f64 v[21:22], v[49:50], v[51:52]
	v_add_f64 v[37:38], v[31:32], v[21:22]
	v_add_f64 v[29:30], v[21:22], -v[49:50]
	s_delay_alu instid0(VALU_DEP_2) | instskip(NEXT) | instid1(VALU_DEP_2)
	v_add_f64 v[31:32], v[37:38], -v[31:32]
	v_add_f64 v[29:30], v[51:52], -v[29:30]
	s_delay_alu instid0(VALU_DEP_2) | instskip(SKIP_1) | instid1(VALU_DEP_1)
	v_add_f64 v[21:22], v[21:22], -v[31:32]
	v_ldexp_f64 v[31:32], v[39:40], 1
	v_add_f64 v[29:30], v[31:32], v[29:30]
	s_delay_alu instid0(VALU_DEP_1) | instskip(NEXT) | instid1(VALU_DEP_1)
	v_add_f64 v[21:22], v[29:30], v[21:22]
	v_add_f64 v[29:30], v[37:38], v[21:22]
	s_delay_alu instid0(VALU_DEP_1) | instskip(NEXT) | instid1(VALU_DEP_1)
	v_add_f64 v[31:32], v[29:30], -v[37:38]
	v_add_f64 v[21:22], v[21:22], -v[31:32]
	v_add_f64 v[31:32], v[23:24], v[29:30]
	s_delay_alu instid0(VALU_DEP_1) | instskip(NEXT) | instid1(VALU_DEP_1)
	v_add_f64 v[37:38], v[31:32], -v[23:24]
	v_add_f64 v[29:30], v[29:30], -v[37:38]
	;; [unrolled: 1-line block ×3, first 2 shown]
	s_delay_alu instid0(VALU_DEP_1) | instskip(NEXT) | instid1(VALU_DEP_1)
	v_add_f64 v[23:24], v[23:24], -v[37:38]
	v_add_f64 v[23:24], v[29:30], v[23:24]
	v_add_f64 v[29:30], v[19:20], v[21:22]
	s_delay_alu instid0(VALU_DEP_1) | instskip(NEXT) | instid1(VALU_DEP_3)
	v_add_f64 v[37:38], v[29:30], -v[19:20]
	v_add_f64 v[23:24], v[29:30], v[23:24]
	s_delay_alu instid0(VALU_DEP_2) | instskip(SKIP_1) | instid1(VALU_DEP_1)
	v_add_f64 v[21:22], v[21:22], -v[37:38]
	v_add_f64 v[37:38], v[29:30], -v[37:38]
	;; [unrolled: 1-line block ×3, first 2 shown]
	s_delay_alu instid0(VALU_DEP_1) | instskip(SKIP_1) | instid1(VALU_DEP_1)
	v_add_f64 v[19:20], v[21:22], v[19:20]
	v_add_f64 v[21:22], v[31:32], v[23:24]
	v_add_f64 v[29:30], v[21:22], -v[31:32]
	v_ldexp_f64 v[31:32], v[35:36], 1
	s_delay_alu instid0(VALU_DEP_2) | instskip(NEXT) | instid1(VALU_DEP_1)
	v_add_f64 v[23:24], v[23:24], -v[29:30]
	v_add_f64 v[19:20], v[19:20], v[23:24]
	s_delay_alu instid0(VALU_DEP_1) | instskip(NEXT) | instid1(VALU_DEP_1)
	v_add_f64 v[23:24], v[21:22], v[19:20]
	v_add_f64 v[21:22], v[23:24], -v[21:22]
	s_delay_alu instid0(VALU_DEP_1) | instskip(SKIP_1) | instid1(VALU_DEP_1)
	v_add_f64 v[19:20], v[19:20], -v[21:22]
	v_mul_f64 v[21:22], v[15:16], v[23:24]
	v_fma_f64 v[23:24], v[15:16], v[23:24], -v[21:22]
	v_cmp_class_f64_e64 vcc_lo, v[21:22], 0x204
	s_delay_alu instid0(VALU_DEP_2) | instskip(NEXT) | instid1(VALU_DEP_1)
	v_fma_f64 v[19:20], v[15:16], v[19:20], v[23:24]
	v_add_f64 v[23:24], v[21:22], v[19:20]
	s_delay_alu instid0(VALU_DEP_1) | instskip(SKIP_1) | instid1(VALU_DEP_2)
	v_dual_cndmask_b32 v30, v24, v22 :: v_dual_cndmask_b32 v29, v23, v21
	v_add_f64 v[21:22], v[23:24], -v[21:22]
	v_cmp_neq_f64_e64 vcc_lo, 0x7ff00000, |v[29:30]|
	v_cmp_ngt_f64_e64 s3, 0xc090cc00, v[29:30]
	s_delay_alu instid0(VALU_DEP_3) | instskip(SKIP_1) | instid1(VALU_DEP_2)
	v_add_f64 v[19:20], v[19:20], -v[21:22]
	v_mul_f64 v[21:22], v[29:30], s[66:67]
	v_cndmask_b32_e32 v20, 0, v20, vcc_lo
	s_delay_alu instid0(VALU_DEP_2) | instskip(NEXT) | instid1(VALU_DEP_4)
	v_rndne_f64_e32 v[21:22], v[21:22]
	v_cndmask_b32_e32 v19, 0, v19, vcc_lo
	v_cmp_lt_f64_e32 vcc_lo, 0x40900000, v[29:30]
	v_cmp_eq_f64_e64 s14, 0x7ff00000, v[7:8]
	s_delay_alu instid0(VALU_DEP_4) | instskip(SKIP_1) | instid1(VALU_DEP_2)
	v_fma_f64 v[23:24], v[21:22], s[88:89], v[29:30]
	v_cvt_i32_f64_e32 v10, v[21:22]
	v_fma_f64 v[23:24], v[21:22], s[90:91], v[23:24]
	s_delay_alu instid0(VALU_DEP_1) | instskip(NEXT) | instid1(VALU_DEP_1)
	v_fma_f64 v[29:30], v[23:24], s[70:71], s[68:69]
	v_fma_f64 v[29:30], v[23:24], v[29:30], s[72:73]
	s_delay_alu instid0(VALU_DEP_1) | instskip(NEXT) | instid1(VALU_DEP_1)
	v_fma_f64 v[29:30], v[23:24], v[29:30], s[74:75]
	;; [unrolled: 3-line block ×5, first 2 shown]
	v_fma_f64 v[29:30], v[23:24], v[29:30], 1.0
	s_delay_alu instid0(VALU_DEP_1) | instskip(NEXT) | instid1(VALU_DEP_1)
	v_fma_f64 v[23:24], v[23:24], v[29:30], 1.0
	v_ldexp_f64 v[21:22], v[23:24], v10
	s_delay_alu instid0(VALU_DEP_1) | instskip(SKIP_1) | instid1(VALU_DEP_1)
	v_cndmask_b32_e64 v10, v22, 0x7ff00000, vcc_lo
	v_and_b32_e32 v22, 0x7fffffff, v22
	v_cmp_eq_f64_e64 s4, 0x7ff00000, v[21:22]
	v_cndmask_b32_e64 v21, v21, 0, vcc_lo
	s_delay_alu instid0(VALU_DEP_4) | instskip(NEXT) | instid1(VALU_DEP_2)
	v_cndmask_b32_e64 v22, 0, v10, s3
	v_cndmask_b32_e64 v21, 0, v21, s3
	s_delay_alu instid0(VALU_DEP_1) | instskip(SKIP_1) | instid1(SALU_CYCLE_1)
	v_fma_f64 v[19:20], v[21:22], v[19:20], v[21:22]
	s_or_b32 s4, vcc_lo, s4
	s_and_b32 vcc_lo, s3, s4
	s_delay_alu instid0(VALU_DEP_1) | instskip(SKIP_1) | instid1(VALU_DEP_3)
	v_cndmask_b32_e32 v10, v19, v21, vcc_lo
	v_frexp_exp_i32_f64_e32 v19, v[7:8]
	v_cndmask_b32_e32 v37, v20, v22, vcc_lo
	s_delay_alu instid0(VALU_DEP_2) | instskip(NEXT) | instid1(VALU_DEP_1)
	v_subrev_co_ci_u32_e64 v19, vcc_lo, 0, v19, s9
	v_cvt_f64_i32_e32 v[19:20], v19
	s_delay_alu instid0(VALU_DEP_1) | instskip(NEXT) | instid1(VALU_DEP_1)
	v_mul_f64 v[21:22], v[19:20], s[58:59]
	v_fma_f64 v[23:24], v[19:20], s[58:59], -v[21:22]
	s_delay_alu instid0(VALU_DEP_1) | instskip(NEXT) | instid1(VALU_DEP_1)
	v_fma_f64 v[19:20], v[19:20], s[60:61], v[23:24]
	v_add_f64 v[23:24], v[21:22], v[19:20]
	s_delay_alu instid0(VALU_DEP_1) | instskip(NEXT) | instid1(VALU_DEP_1)
	v_add_f64 v[21:22], v[23:24], -v[21:22]
	v_add_f64 v[19:20], v[19:20], -v[21:22]
	v_add_f64 v[21:22], v[45:46], v[47:48]
	s_delay_alu instid0(VALU_DEP_1) | instskip(SKIP_1) | instid1(VALU_DEP_2)
	v_add_f64 v[35:36], v[31:32], v[21:22]
	v_add_f64 v[29:30], v[21:22], -v[45:46]
	v_add_f64 v[31:32], v[35:36], -v[31:32]
	s_delay_alu instid0(VALU_DEP_2) | instskip(NEXT) | instid1(VALU_DEP_2)
	v_add_f64 v[29:30], v[47:48], -v[29:30]
	v_add_f64 v[21:22], v[21:22], -v[31:32]
	v_ldexp_f64 v[31:32], v[33:34], 1
	s_delay_alu instid0(VALU_DEP_1) | instskip(NEXT) | instid1(VALU_DEP_1)
	v_add_f64 v[29:30], v[31:32], v[29:30]
	v_add_f64 v[21:22], v[29:30], v[21:22]
	s_delay_alu instid0(VALU_DEP_1) | instskip(NEXT) | instid1(VALU_DEP_1)
	v_add_f64 v[29:30], v[35:36], v[21:22]
	v_add_f64 v[31:32], v[29:30], -v[35:36]
	s_delay_alu instid0(VALU_DEP_1) | instskip(SKIP_1) | instid1(VALU_DEP_1)
	v_add_f64 v[21:22], v[21:22], -v[31:32]
	v_add_f64 v[31:32], v[23:24], v[29:30]
	v_add_f64 v[33:34], v[31:32], -v[23:24]
	s_delay_alu instid0(VALU_DEP_1) | instskip(SKIP_1) | instid1(VALU_DEP_1)
	v_add_f64 v[29:30], v[29:30], -v[33:34]
	v_add_f64 v[33:34], v[31:32], -v[33:34]
	;; [unrolled: 1-line block ×3, first 2 shown]
	s_delay_alu instid0(VALU_DEP_1) | instskip(SKIP_1) | instid1(VALU_DEP_1)
	v_add_f64 v[23:24], v[29:30], v[23:24]
	v_add_f64 v[29:30], v[19:20], v[21:22]
	v_add_f64 v[33:34], v[29:30], -v[19:20]
	s_delay_alu instid0(VALU_DEP_3) | instskip(NEXT) | instid1(VALU_DEP_2)
	v_add_f64 v[23:24], v[29:30], v[23:24]
	v_add_f64 v[21:22], v[21:22], -v[33:34]
	v_add_f64 v[33:34], v[29:30], -v[33:34]
	s_delay_alu instid0(VALU_DEP_1) | instskip(NEXT) | instid1(VALU_DEP_1)
	v_add_f64 v[19:20], v[19:20], -v[33:34]
	v_add_f64 v[19:20], v[21:22], v[19:20]
	v_add_f64 v[21:22], v[31:32], v[23:24]
	s_delay_alu instid0(VALU_DEP_1) | instskip(NEXT) | instid1(VALU_DEP_1)
	v_add_f64 v[29:30], v[21:22], -v[31:32]
	v_add_f64 v[23:24], v[23:24], -v[29:30]
	s_delay_alu instid0(VALU_DEP_1) | instskip(NEXT) | instid1(VALU_DEP_1)
	v_add_f64 v[19:20], v[19:20], v[23:24]
	v_add_f64 v[23:24], v[21:22], v[19:20]
	s_delay_alu instid0(VALU_DEP_1) | instskip(NEXT) | instid1(VALU_DEP_1)
	v_add_f64 v[21:22], v[23:24], -v[21:22]
	v_add_f64 v[19:20], v[19:20], -v[21:22]
	v_mul_f64 v[21:22], v[25:26], v[23:24]
	s_delay_alu instid0(VALU_DEP_1) | instskip(SKIP_1) | instid1(VALU_DEP_2)
	v_fma_f64 v[23:24], v[25:26], v[23:24], -v[21:22]
	v_cmp_class_f64_e64 vcc_lo, v[21:22], 0x204
	v_fma_f64 v[19:20], v[25:26], v[19:20], v[23:24]
	s_delay_alu instid0(VALU_DEP_1) | instskip(NEXT) | instid1(VALU_DEP_1)
	v_add_f64 v[23:24], v[21:22], v[19:20]
	v_dual_cndmask_b32 v30, v24, v22 :: v_dual_cndmask_b32 v29, v23, v21
	v_add_f64 v[21:22], v[23:24], -v[21:22]
	s_delay_alu instid0(VALU_DEP_2) | instskip(SKIP_1) | instid1(VALU_DEP_3)
	v_cmp_neq_f64_e64 vcc_lo, 0x7ff00000, |v[29:30]|
	v_cmp_ngt_f64_e64 s3, 0xc090cc00, v[29:30]
	v_add_f64 v[19:20], v[19:20], -v[21:22]
	v_mul_f64 v[21:22], v[29:30], s[66:67]
	s_delay_alu instid0(VALU_DEP_2) | instskip(NEXT) | instid1(VALU_DEP_2)
	v_cndmask_b32_e32 v20, 0, v20, vcc_lo
	v_rndne_f64_e32 v[21:22], v[21:22]
	s_delay_alu instid0(VALU_DEP_4) | instskip(SKIP_1) | instid1(VALU_DEP_3)
	v_cndmask_b32_e32 v19, 0, v19, vcc_lo
	v_cmp_lt_f64_e32 vcc_lo, 0x40900000, v[29:30]
	v_fma_f64 v[23:24], v[21:22], s[88:89], v[29:30]
	s_delay_alu instid0(VALU_DEP_1) | instskip(SKIP_1) | instid1(VALU_DEP_2)
	v_fma_f64 v[23:24], v[21:22], s[90:91], v[23:24]
	v_cvt_i32_f64_e32 v21, v[21:22]
	v_fma_f64 v[29:30], v[23:24], s[70:71], s[68:69]
	s_delay_alu instid0(VALU_DEP_1) | instskip(NEXT) | instid1(VALU_DEP_1)
	v_fma_f64 v[29:30], v[23:24], v[29:30], s[72:73]
	v_fma_f64 v[29:30], v[23:24], v[29:30], s[74:75]
	s_delay_alu instid0(VALU_DEP_1) | instskip(NEXT) | instid1(VALU_DEP_1)
	v_fma_f64 v[29:30], v[23:24], v[29:30], s[76:77]
	;; [unrolled: 3-line block ×4, first 2 shown]
	v_fma_f64 v[29:30], v[23:24], v[29:30], s[86:87]
	s_delay_alu instid0(VALU_DEP_1) | instskip(NEXT) | instid1(VALU_DEP_1)
	v_fma_f64 v[29:30], v[23:24], v[29:30], 1.0
	v_fma_f64 v[23:24], v[23:24], v[29:30], 1.0
	s_delay_alu instid0(VALU_DEP_1) | instskip(NEXT) | instid1(VALU_DEP_1)
	v_ldexp_f64 v[21:22], v[23:24], v21
	v_cndmask_b32_e64 v23, v22, 0x7ff00000, vcc_lo
	v_and_b32_e32 v22, 0x7fffffff, v22
	s_delay_alu instid0(VALU_DEP_1) | instskip(SKIP_1) | instid1(VALU_DEP_4)
	v_cmp_eq_f64_e64 s4, 0x7ff00000, v[21:22]
	v_cndmask_b32_e64 v21, v21, 0, vcc_lo
	v_cndmask_b32_e64 v22, 0, v23, s3
	s_delay_alu instid0(VALU_DEP_2) | instskip(NEXT) | instid1(VALU_DEP_1)
	v_cndmask_b32_e64 v21, 0, v21, s3
	v_fma_f64 v[19:20], v[21:22], v[19:20], v[21:22]
	s_or_b32 s4, vcc_lo, s4
	s_delay_alu instid0(SALU_CYCLE_1) | instskip(SKIP_1) | instid1(VALU_DEP_2)
	s_and_b32 vcc_lo, s3, s4
	v_cmp_neq_f64_e64 s4, v[15:16], v[17:18]
	v_dual_cndmask_b32 v21, v19, v21 :: v_dual_cndmask_b32 v22, v20, v22
	v_trunc_f64_e32 v[19:20], v[15:16]
	s_delay_alu instid0(VALU_DEP_3)
	s_xor_b32 s15, s4, s11
	v_cmp_gt_f64_e64 s4, 1.0, v[7:8]
	v_cmp_eq_f64_e64 s11, 1.0, v[7:8]
	v_cndmask_b32_e64 v3, v18, 0, s15
	v_cndmask_b32_e64 v7, v17, 0, s15
	v_cmp_eq_f64_e64 s15, 0, v[1:2]
	s_delay_alu instid0(VALU_DEP_3) | instskip(SKIP_4) | instid1(VALU_DEP_3)
	v_cndmask_b32_e64 v3, v3, v4, s12
	v_cmp_eq_f64_e32 vcc_lo, v[19:20], v[15:16]
	v_and_b32_e32 v16, 0x7fffffff, v28
	v_cndmask_b32_e64 v15, v27, 0, s8
	v_trunc_f64_e32 v[19:20], v[25:26]
	v_cndmask_b32_e64 v16, v16, 0x3ff00000, s8
	v_cmp_gt_f64_e64 s8, 0, v[25:26]
	s_delay_alu instid0(VALU_DEP_2) | instskip(SKIP_2) | instid1(VALU_DEP_4)
	v_cmp_neq_f64_e64 s9, v[25:26], v[15:16]
	s_xor_b32 s2, s2, s15
	s_and_b32 s6, vcc_lo, s6
	v_cmp_eq_f64_e64 s3, v[19:20], v[25:26]
	s_delay_alu instid0(VALU_DEP_2) | instskip(SKIP_3) | instid1(VALU_DEP_2)
	s_xor_b32 s16, s9, s4
	v_cmp_eq_f64_e64 s4, 0x7ff00000, v[17:18]
	v_cndmask_b32_e64 v4, v16, 0, s16
	v_cmp_eq_f64_e64 s9, 0x7ff00000, v[15:16]
	v_cndmask_b32_e64 v4, v4, v8, s11
	v_cndmask_b32_e64 v8, v15, 0, s16
	v_cmp_gt_f64_e64 s16, 0, v[1:2]
	v_cndmask_b32_e64 v1, v7, v1, s12
	v_cndmask_b32_e64 v7, 0x3ff00000, v2, s6
	;; [unrolled: 1-line block ×3, first 2 shown]
	v_cmp_eq_f64_e64 s6, 0, v[5:6]
	v_cmp_gt_f64_e64 s12, 0, v[5:6]
	v_cndmask_b32_e64 v15, 0x7ff00000, 0, s2
	v_cndmask_b32_e64 v5, v8, v5, s11
	v_bfi_b32 v7, 0x7fffffff, v37, v7
	s_delay_alu instid0(VALU_DEP_3) | instskip(SKIP_1) | instid1(SALU_CYCLE_1)
	v_bfi_b32 v2, 0x7fffffff, v15, v2
	s_and_b32 s7, s3, s7
	v_cndmask_b32_e64 v8, 0x3ff00000, v6, s7
	v_cndmask_b32_e64 v6, 0, v6, s7
	s_delay_alu instid0(VALU_DEP_2) | instskip(SKIP_1) | instid1(SALU_CYCLE_1)
	v_bfi_b32 v8, 0x7fffffff, v22, v8
	s_xor_b32 s2, s8, s6
	v_cndmask_b32_e64 v15, 0x7ff00000, 0, s2
	s_or_b32 s2, s14, s6
	s_delay_alu instid0(VALU_DEP_1) | instskip(SKIP_1) | instid1(VALU_DEP_1)
	v_bfi_b32 v6, 0x7fffffff, v15, v6
	v_cndmask_b32_e32 v15, 0, v10, vcc_lo
	v_cndmask_b32_e64 v10, v10, v15, s16
	v_cndmask_b32_e32 v15, 0x7ff80000, v7, vcc_lo
	s_or_b32 vcc_lo, s13, s15
	s_delay_alu instid0(VALU_DEP_2) | instskip(NEXT) | instid1(VALU_DEP_2)
	v_cndmask_b32_e64 v1, v10, v1, s4
	v_cndmask_b32_e64 v7, v7, v15, s16
	;; [unrolled: 1-line block ×4, first 2 shown]
	s_delay_alu instid0(VALU_DEP_4) | instskip(NEXT) | instid1(VALU_DEP_4)
	v_cndmask_b32_e64 v1, v1, 0, vcc_lo
	v_cndmask_b32_e64 v3, v7, v3, s4
	s_delay_alu instid0(VALU_DEP_4) | instskip(NEXT) | instid1(VALU_DEP_4)
	v_cndmask_b32_e64 v15, v21, v15, s12
	v_cndmask_b32_e64 v8, v8, v10, s12
	s_delay_alu instid0(VALU_DEP_4) | instskip(NEXT) | instid1(VALU_DEP_4)
	v_cndmask_b32_e64 v1, 0, v1, s5
	v_cndmask_b32_e32 v2, v3, v2, vcc_lo
	s_delay_alu instid0(VALU_DEP_4) | instskip(NEXT) | instid1(VALU_DEP_4)
	v_cndmask_b32_e64 v5, v15, v5, s9
	v_cndmask_b32_e64 v4, v8, v4, s9
	v_cmp_le_i64_e32 vcc_lo, s[26:27], v[11:12]
	s_delay_alu instid0(VALU_DEP_4) | instskip(NEXT) | instid1(VALU_DEP_4)
	v_cndmask_b32_e64 v2, 0x7ff80000, v2, s5
	v_cndmask_b32_e64 v5, v5, 0, s2
	s_delay_alu instid0(VALU_DEP_4) | instskip(SKIP_2) | instid1(VALU_DEP_4)
	v_cndmask_b32_e64 v4, v4, v6, s2
	v_cmp_lt_u64_e64 s2, 0xffff, v[11:12]
	v_add_co_u32 v11, s3, v11, s98
	v_cndmask_b32_e64 v3, 0, v5, s10
	v_add_co_ci_u32_e64 v12, s3, 0, v12, s3
	s_delay_alu instid0(VALU_DEP_4)
	s_or_b32 s2, vcc_lo, s2
	s_add_u32 s23, s23, s99
	s_addc_u32 s33, s33, 0
	s_add_u32 s94, s94, s99
	s_addc_u32 s95, s95, 0
	;; [unrolled: 2-line block ×3, first 2 shown]
	v_cndmask_b32_e64 v4, 0x7ff80000, v4, s10
	s_and_b32 s2, exec_lo, s2
	s_delay_alu instid0(SALU_CYCLE_1)
	s_or_b32 s97, s2, s97
	global_store_b128 v[13:14], v[1:4], off offset:16
	s_and_not1_b32 exec_lo, exec_lo, s97
	s_cbranch_execnz .LBB150_3
.LBB150_4:
	s_or_b32 exec_lo, exec_lo, s96
	s_mov_b32 s2, 0
.LBB150_5:
	s_delay_alu instid0(SALU_CYCLE_1)
	s_and_not1_b32 vcc_lo, exec_lo, s2
	s_cbranch_vccnz .LBB150_25
; %bb.6:
	v_cmp_lt_i64_e64 s2, s[26:27], 1
	s_delay_alu instid0(VALU_DEP_1)
	s_and_b32 vcc_lo, exec_lo, s2
	s_cbranch_vccnz .LBB150_25
; %bb.7:
	s_load_b32 s0, s[0:1], 0xc64
	v_dual_mov_b32 v1, 0 :: v_dual_lshlrev_b32 v2, 3, v0
	v_cmp_gt_u64_e64 s1, 0x10000, s[26:27]
	s_mov_b32 s10, 0x55555555
	s_mov_b32 s12, 0xfefa39ef
	s_delay_alu instid0(VALU_DEP_2) | instskip(SKIP_1) | instid1(VALU_DEP_1)
	v_mov_b32_e32 v3, v1
	v_add_co_u32 v19, s2, s30, v2
	v_add_co_ci_u32_e64 v20, null, s31, 0, s2
	v_add_co_u32 v21, s2, s34, v2
	s_delay_alu instid0(VALU_DEP_1) | instskip(SKIP_1) | instid1(VALU_DEP_1)
	v_add_co_ci_u32_e64 v22, null, s35, 0, s2
	v_add_co_u32 v23, s2, s36, v2
	v_add_co_ci_u32_e64 v24, null, s37, 0, s2
	s_mov_b32 s14, 0x3b39803f
	s_waitcnt lgkmcnt(0)
	s_and_b32 s0, s0, 0xffff
	s_and_b32 s1, s1, exec_lo
	v_mad_u64_u32 v[4:5], null, s0, 24, v[2:3]
	s_cselect_b32 s9, s27, 0
	s_cselect_b32 s8, s26, 0x10000
	s_lshl_b32 s3, s0, 4
	s_lshl_b32 s1, s0, 1
	v_add_co_u32 v2, s3, s3, v2
	s_delay_alu instid0(VALU_DEP_2) | instskip(NEXT) | instid1(VALU_DEP_3)
	v_add_co_u32 v25, vcc_lo, s30, v4
	v_add_co_ci_u32_e32 v26, vcc_lo, s31, v5, vcc_lo
	v_add_co_u32 v27, vcc_lo, s34, v4
	v_add_co_ci_u32_e32 v28, vcc_lo, s35, v5, vcc_lo
	v_add_co_u32 v29, vcc_lo, s36, v4
	v_add_co_ci_u32_e64 v3, null, 0, 0, s3
	v_add_co_ci_u32_e32 v30, vcc_lo, s37, v5, vcc_lo
	v_add_co_u32 v33, vcc_lo, s30, v2
	s_mul_i32 s2, s0, 3
	s_lshl_b32 s33, s0, 2
	s_lshl_b32 s74, s0, 5
	v_add_co_u32 v37, s0, v0, s0
	v_add_co_ci_u32_e32 v34, vcc_lo, s31, v3, vcc_lo
	v_add_co_u32 v35, vcc_lo, s34, v2
	v_add_co_ci_u32_e32 v36, vcc_lo, s35, v3, vcc_lo
	v_add_co_u32 v38, vcc_lo, s36, v2
	v_lshlrev_b32_e32 v2, 3, v37
	v_add_co_ci_u32_e64 v40, null, 0, 0, s0
	v_add_co_u32 v41, s0, s1, v0
	s_delay_alu instid0(VALU_DEP_1) | instskip(NEXT) | instid1(VALU_DEP_4)
	v_add_co_ci_u32_e64 v42, null, 0, 0, s0
	v_add_co_u32 v43, s0, s30, v2
	s_delay_alu instid0(VALU_DEP_1)
	v_add_co_ci_u32_e64 v44, null, s31, 0, s0
	v_add_co_u32 v45, s0, s34, v2
	v_add_co_u32 v31, s2, s2, v0
	v_add_co_ci_u32_e64 v46, null, s35, 0, s0
	v_add_co_u32 v47, s0, s36, v2
	v_add_co_ci_u32_e64 v32, null, 0, 0, s2
	v_add_co_ci_u32_e32 v39, vcc_lo, s37, v3, vcc_lo
	v_add_co_ci_u32_e64 v48, null, s37, 0, s0
	s_mov_b32 s16, 0x968915a9
	s_mov_b32 s18, 0x4222de17
	;; [unrolled: 1-line block ×45, first 2 shown]
	s_mov_b64 s[66:67], 0
	s_mov_b32 s69, 0xbfe55555
	s_mov_b32 s71, 0xbfe62e42
	;; [unrolled: 1-line block ×3, first 2 shown]
	s_branch .LBB150_9
.LBB150_8:                              ;   in Loop: Header=BB150_9 Depth=1
	s_or_b32 exec_lo, exec_lo, s5
	v_add_co_u32 v19, vcc_lo, v19, s74
	v_add_co_ci_u32_e32 v20, vcc_lo, 0, v20, vcc_lo
	v_add_co_u32 v21, vcc_lo, v21, s74
	v_add_co_ci_u32_e32 v22, vcc_lo, 0, v22, vcc_lo
	;; [unrolled: 2-line block ×9, first 2 shown]
	s_add_u32 s66, s66, s33
	v_add_co_u32 v43, vcc_lo, v43, s74
	s_addc_u32 s67, s67, 0
	v_add_co_ci_u32_e32 v44, vcc_lo, 0, v44, vcc_lo
	v_cmp_ge_i64_e64 s0, s[66:67], s[26:27]
	v_cmp_lt_u64_e64 s1, 0xffff, s[66:67]
	v_add_co_u32 v45, vcc_lo, v45, s74
	v_add_co_ci_u32_e32 v46, vcc_lo, 0, v46, vcc_lo
	v_add_co_u32 v47, vcc_lo, v47, s74
	v_add_co_ci_u32_e32 v48, vcc_lo, 0, v48, vcc_lo
	s_or_b32 s0, s0, s1
	s_delay_alu instid0(SALU_CYCLE_1)
	s_and_b32 vcc_lo, exec_lo, s0
	s_cbranch_vccnz .LBB150_25
.LBB150_9:                              ; =>This Inner Loop Header: Depth=1
	v_add_co_u32 v2, s0, v0, s66
	s_waitcnt vmcnt(1)
	v_add_co_ci_u32_e64 v3, null, 0, s67, s0
	v_mov_b32_e32 v9, 0
	v_mov_b32_e32 v10, 0
	s_delay_alu instid0(VALU_DEP_3) | instskip(NEXT) | instid1(VALU_DEP_2)
	v_cmp_gt_u64_e64 s2, s[8:9], v[2:3]
	v_dual_mov_b32 v16, v10 :: v_dual_mov_b32 v15, v9
	s_waitcnt vmcnt(0)
	v_dual_mov_b32 v18, v10 :: v_dual_mov_b32 v17, v9
	s_delay_alu instid0(VALU_DEP_3)
	s_and_saveexec_b32 s0, s2
	s_cbranch_execz .LBB150_11
; %bb.10:                               ;   in Loop: Header=BB150_9 Depth=1
	v_add_co_u32 v2, vcc_lo, v19, s24
	v_add_co_ci_u32_e32 v3, vcc_lo, s25, v20, vcc_lo
	v_add_co_u32 v4, vcc_lo, v21, s24
	v_add_co_ci_u32_e32 v5, vcc_lo, s25, v22, vcc_lo
	global_load_b64 v[15:16], v[2:3], off
	global_load_b64 v[17:18], v[4:5], off
.LBB150_11:                             ;   in Loop: Header=BB150_9 Depth=1
	s_or_b32 exec_lo, exec_lo, s0
	v_add_co_u32 v2, vcc_lo, v37, s66
	v_add_co_ci_u32_e32 v3, vcc_lo, s67, v40, vcc_lo
	v_dual_mov_b32 v14, v10 :: v_dual_mov_b32 v13, v9
	s_delay_alu instid0(VALU_DEP_2) | instskip(NEXT) | instid1(VALU_DEP_1)
	v_cmp_gt_u64_e64 s1, s[8:9], v[2:3]
	s_and_saveexec_b32 s0, s1
	s_cbranch_execz .LBB150_13
; %bb.12:                               ;   in Loop: Header=BB150_9 Depth=1
	v_add_co_u32 v2, vcc_lo, v43, s24
	v_add_co_ci_u32_e32 v3, vcc_lo, s25, v44, vcc_lo
	v_add_co_u32 v4, vcc_lo, v45, s24
	v_add_co_ci_u32_e32 v5, vcc_lo, s25, v46, vcc_lo
	global_load_b64 v[9:10], v[2:3], off
	global_load_b64 v[13:14], v[4:5], off
.LBB150_13:                             ;   in Loop: Header=BB150_9 Depth=1
	s_or_b32 exec_lo, exec_lo, s0
	v_add_co_u32 v5, vcc_lo, v41, s66
	v_add_co_ci_u32_e32 v6, vcc_lo, s67, v42, vcc_lo
	v_mov_b32_e32 v3, 0
	v_mov_b32_e32 v4, 0
	s_delay_alu instid0(VALU_DEP_3) | instskip(NEXT) | instid1(VALU_DEP_2)
	v_cmp_gt_u64_e64 s0, s[8:9], v[5:6]
	v_dual_mov_b32 v8, v4 :: v_dual_mov_b32 v7, v3
	v_dual_mov_b32 v12, v4 :: v_dual_mov_b32 v11, v3
	s_delay_alu instid0(VALU_DEP_3)
	s_and_saveexec_b32 s3, s0
	s_cbranch_execz .LBB150_15
; %bb.14:                               ;   in Loop: Header=BB150_9 Depth=1
	v_add_co_u32 v5, vcc_lo, v33, s24
	v_add_co_ci_u32_e32 v6, vcc_lo, s25, v34, vcc_lo
	v_add_co_u32 v11, vcc_lo, v35, s24
	v_add_co_ci_u32_e32 v12, vcc_lo, s25, v36, vcc_lo
	global_load_b64 v[7:8], v[5:6], off
	global_load_b64 v[11:12], v[11:12], off
.LBB150_15:                             ;   in Loop: Header=BB150_9 Depth=1
	s_or_b32 exec_lo, exec_lo, s3
	v_add_co_u32 v5, vcc_lo, v31, s66
	v_add_co_ci_u32_e32 v6, vcc_lo, s67, v32, vcc_lo
	s_delay_alu instid0(VALU_DEP_1)
	v_cmp_gt_u64_e32 vcc_lo, s[8:9], v[5:6]
	v_dual_mov_b32 v6, v4 :: v_dual_mov_b32 v5, v3
	s_and_saveexec_b32 s4, vcc_lo
	s_cbranch_execnz .LBB150_20
; %bb.16:                               ;   in Loop: Header=BB150_9 Depth=1
	s_or_b32 exec_lo, exec_lo, s4
	s_and_saveexec_b32 s75, s2
	s_cbranch_execnz .LBB150_21
.LBB150_17:                             ;   in Loop: Header=BB150_9 Depth=1
	s_or_b32 exec_lo, exec_lo, s75
	s_and_saveexec_b32 s7, s1
	s_cbranch_execnz .LBB150_22
.LBB150_18:                             ;   in Loop: Header=BB150_9 Depth=1
	s_or_b32 exec_lo, exec_lo, s7
	s_and_saveexec_b32 s6, s0
	s_cbranch_execnz .LBB150_23
.LBB150_19:                             ;   in Loop: Header=BB150_9 Depth=1
	s_or_b32 exec_lo, exec_lo, s6
	s_and_saveexec_b32 s5, vcc_lo
	s_cbranch_execz .LBB150_8
	s_branch .LBB150_24
.LBB150_20:                             ;   in Loop: Header=BB150_9 Depth=1
	v_add_co_u32 v2, s3, v25, s24
	s_delay_alu instid0(VALU_DEP_1) | instskip(SKIP_1) | instid1(VALU_DEP_1)
	v_add_co_ci_u32_e64 v3, s3, s25, v26, s3
	v_add_co_u32 v5, s3, v27, s24
	v_add_co_ci_u32_e64 v6, s3, s25, v28, s3
	global_load_b64 v[3:4], v[2:3], off
	global_load_b64 v[5:6], v[5:6], off
	s_or_b32 exec_lo, exec_lo, s4
	s_and_saveexec_b32 s75, s2
	s_cbranch_execz .LBB150_17
.LBB150_21:                             ;   in Loop: Header=BB150_9 Depth=1
	s_waitcnt vmcnt(0)
	v_mul_f64 v[17:18], v[17:18], s[28:29]
	v_cmp_eq_f64_e64 s3, 1.0, v[15:16]
	v_and_b32_e32 v2, 0x7fffffff, v16
	s_mov_b32 s68, s10
	s_mov_b32 s70, s12
	s_mov_b32 s72, s14
	s_delay_alu instid0(VALU_DEP_2) | instskip(NEXT) | instid1(VALU_DEP_4)
	v_cndmask_b32_e64 v50, v18, 0x3ff00000, s3
	v_cndmask_b32_e64 v49, v17, 0, s3
	;; [unrolled: 1-line block ×3, first 2 shown]
	s_delay_alu instid0(VALU_DEP_2) | instskip(NEXT) | instid1(VALU_DEP_1)
	v_cmp_eq_f64_e64 s2, 0, v[49:50]
	v_cndmask_b32_e64 v52, v2, 0x3ff00000, s2
	v_cndmask_b32_e64 v51, v15, 0, s2
	;; [unrolled: 1-line block ×4, first 2 shown]
	s_delay_alu instid0(VALU_DEP_3) | instskip(SKIP_2) | instid1(VALU_DEP_3)
	v_frexp_mant_f64_e32 v[53:54], v[51:52]
	v_frexp_exp_i32_f64_e32 v2, v[51:52]
	v_cmp_gt_f64_e64 s7, 1.0, v[51:52]
	v_cmp_gt_f64_e64 s4, s[10:11], v[53:54]
	s_delay_alu instid0(VALU_DEP_1) | instskip(SKIP_1) | instid1(VALU_DEP_1)
	v_subrev_co_ci_u32_e64 v73, s5, 0, v2, s4
	v_cndmask_b32_e64 v2, 0x3ff00000, 2.0, s4
	v_mul_f64 v[53:54], v[53:54], v[1:2]
	s_delay_alu instid0(VALU_DEP_1) | instskip(SKIP_1) | instid1(VALU_DEP_2)
	v_add_f64 v[55:56], v[53:54], 1.0
	v_add_f64 v[61:62], v[53:54], -1.0
	v_rcp_f64_e32 v[57:58], v[55:56]
	v_add_f64 v[63:64], v[55:56], -1.0
	s_delay_alu instid0(VALU_DEP_1) | instskip(SKIP_2) | instid1(VALU_DEP_1)
	v_add_f64 v[53:54], v[53:54], -v[63:64]
	s_waitcnt_depctr 0xfff
	v_fma_f64 v[59:60], -v[55:56], v[57:58], 1.0
	v_fma_f64 v[57:58], v[59:60], v[57:58], v[57:58]
	s_delay_alu instid0(VALU_DEP_1) | instskip(NEXT) | instid1(VALU_DEP_1)
	v_fma_f64 v[59:60], -v[55:56], v[57:58], 1.0
	v_fma_f64 v[57:58], v[59:60], v[57:58], v[57:58]
	s_delay_alu instid0(VALU_DEP_1) | instskip(NEXT) | instid1(VALU_DEP_1)
	v_mul_f64 v[59:60], v[61:62], v[57:58]
	v_mul_f64 v[65:66], v[55:56], v[59:60]
	s_delay_alu instid0(VALU_DEP_1) | instskip(NEXT) | instid1(VALU_DEP_1)
	v_fma_f64 v[55:56], v[59:60], v[55:56], -v[65:66]
	v_fma_f64 v[53:54], v[59:60], v[53:54], v[55:56]
	s_delay_alu instid0(VALU_DEP_1) | instskip(NEXT) | instid1(VALU_DEP_1)
	v_add_f64 v[55:56], v[65:66], v[53:54]
	v_add_f64 v[63:64], v[61:62], -v[55:56]
	v_add_f64 v[65:66], v[55:56], -v[65:66]
	s_delay_alu instid0(VALU_DEP_2) | instskip(NEXT) | instid1(VALU_DEP_2)
	v_add_f64 v[61:62], v[61:62], -v[63:64]
	v_add_f64 v[53:54], v[65:66], -v[53:54]
	s_delay_alu instid0(VALU_DEP_2) | instskip(NEXT) | instid1(VALU_DEP_1)
	v_add_f64 v[55:56], v[61:62], -v[55:56]
	v_add_f64 v[53:54], v[53:54], v[55:56]
	s_delay_alu instid0(VALU_DEP_1) | instskip(NEXT) | instid1(VALU_DEP_1)
	v_add_f64 v[53:54], v[63:64], v[53:54]
	v_mul_f64 v[53:54], v[57:58], v[53:54]
	s_delay_alu instid0(VALU_DEP_1) | instskip(NEXT) | instid1(VALU_DEP_1)
	v_add_f64 v[55:56], v[59:60], v[53:54]
	v_add_f64 v[57:58], v[55:56], -v[59:60]
	v_mul_f64 v[59:60], v[55:56], v[55:56]
	s_delay_alu instid0(VALU_DEP_2) | instskip(NEXT) | instid1(VALU_DEP_2)
	v_add_f64 v[53:54], v[53:54], -v[57:58]
	v_fma_f64 v[57:58], v[55:56], v[55:56], -v[59:60]
	s_delay_alu instid0(VALU_DEP_2) | instskip(NEXT) | instid1(VALU_DEP_1)
	v_add_f64 v[61:62], v[53:54], v[53:54]
	v_fma_f64 v[57:58], v[55:56], v[61:62], v[57:58]
	s_delay_alu instid0(VALU_DEP_1) | instskip(NEXT) | instid1(VALU_DEP_1)
	v_add_f64 v[61:62], v[59:60], v[57:58]
	v_fma_f64 v[63:64], v[61:62], s[18:19], s[16:17]
	v_add_f64 v[59:60], v[61:62], -v[59:60]
	v_mul_f64 v[69:70], v[55:56], v[61:62]
	s_delay_alu instid0(VALU_DEP_3) | instskip(NEXT) | instid1(VALU_DEP_3)
	v_fma_f64 v[63:64], v[61:62], v[63:64], s[20:21]
	v_add_f64 v[57:58], v[57:58], -v[59:60]
	s_delay_alu instid0(VALU_DEP_3) | instskip(NEXT) | instid1(VALU_DEP_3)
	v_fma_f64 v[71:72], v[61:62], v[55:56], -v[69:70]
	v_fma_f64 v[63:64], v[61:62], v[63:64], s[22:23]
	s_delay_alu instid0(VALU_DEP_1) | instskip(NEXT) | instid1(VALU_DEP_1)
	v_fma_f64 v[63:64], v[61:62], v[63:64], s[30:31]
	v_fma_f64 v[63:64], v[61:62], v[63:64], s[34:35]
	s_delay_alu instid0(VALU_DEP_1) | instskip(NEXT) | instid1(VALU_DEP_1)
	v_fma_f64 v[63:64], v[61:62], v[63:64], s[36:37]
	;; [unrolled: 3-line block ×3, first 2 shown]
	v_mul_f64 v[65:66], v[61:62], v[63:64]
	s_delay_alu instid0(VALU_DEP_1) | instskip(SKIP_2) | instid1(VALU_DEP_3)
	v_fma_f64 v[59:60], v[61:62], v[63:64], -v[65:66]
	v_fma_f64 v[61:62], v[61:62], v[53:54], v[71:72]
	v_ldexp_f64 v[53:54], v[53:54], 1
	v_fma_f64 v[59:60], v[57:58], v[63:64], v[59:60]
	s_delay_alu instid0(VALU_DEP_3) | instskip(SKIP_1) | instid1(VALU_DEP_3)
	v_fma_f64 v[57:58], v[57:58], v[55:56], v[61:62]
	v_ldexp_f64 v[55:56], v[55:56], 1
	v_add_f64 v[63:64], v[65:66], v[59:60]
	s_delay_alu instid0(VALU_DEP_1) | instskip(SKIP_1) | instid1(VALU_DEP_2)
	v_add_f64 v[65:66], v[63:64], -v[65:66]
	v_add_f64 v[67:68], v[63:64], s[10:11]
	v_add_f64 v[59:60], v[59:60], -v[65:66]
	s_delay_alu instid0(VALU_DEP_2) | instskip(NEXT) | instid1(VALU_DEP_2)
	v_add_f64 v[65:66], v[67:68], s[68:69]
	v_add_f64 v[59:60], v[59:60], s[42:43]
	s_delay_alu instid0(VALU_DEP_2) | instskip(NEXT) | instid1(VALU_DEP_1)
	v_add_f64 v[63:64], v[63:64], -v[65:66]
	v_add_f64 v[59:60], v[59:60], v[63:64]
	v_add_f64 v[63:64], v[69:70], v[57:58]
	s_delay_alu instid0(VALU_DEP_2) | instskip(NEXT) | instid1(VALU_DEP_2)
	v_add_f64 v[61:62], v[67:68], v[59:60]
	v_add_f64 v[69:70], v[63:64], -v[69:70]
	s_delay_alu instid0(VALU_DEP_2) | instskip(SKIP_1) | instid1(VALU_DEP_3)
	v_add_f64 v[65:66], v[67:68], -v[61:62]
	v_mul_f64 v[67:68], v[63:64], v[61:62]
	v_add_f64 v[57:58], v[57:58], -v[69:70]
	s_delay_alu instid0(VALU_DEP_3) | instskip(NEXT) | instid1(VALU_DEP_3)
	v_add_f64 v[59:60], v[59:60], v[65:66]
	v_fma_f64 v[65:66], v[63:64], v[61:62], -v[67:68]
	s_delay_alu instid0(VALU_DEP_1) | instskip(NEXT) | instid1(VALU_DEP_1)
	v_fma_f64 v[59:60], v[63:64], v[59:60], v[65:66]
	v_fma_f64 v[57:58], v[57:58], v[61:62], v[59:60]
	v_cvt_f64_i32_e32 v[61:62], v73
	s_delay_alu instid0(VALU_DEP_2) | instskip(NEXT) | instid1(VALU_DEP_1)
	v_add_f64 v[59:60], v[67:68], v[57:58]
	v_add_f64 v[63:64], v[59:60], -v[67:68]
	v_add_f64 v[65:66], v[55:56], v[59:60]
	s_delay_alu instid0(VALU_DEP_4) | instskip(NEXT) | instid1(VALU_DEP_3)
	v_mul_f64 v[67:68], v[61:62], s[12:13]
	v_add_f64 v[57:58], v[57:58], -v[63:64]
	s_delay_alu instid0(VALU_DEP_3) | instskip(NEXT) | instid1(VALU_DEP_3)
	v_add_f64 v[55:56], v[65:66], -v[55:56]
	v_fma_f64 v[63:64], v[61:62], s[12:13], -v[67:68]
	s_delay_alu instid0(VALU_DEP_3) | instskip(NEXT) | instid1(VALU_DEP_3)
	v_add_f64 v[53:54], v[53:54], v[57:58]
	v_add_f64 v[55:56], v[59:60], -v[55:56]
	s_delay_alu instid0(VALU_DEP_3) | instskip(NEXT) | instid1(VALU_DEP_2)
	v_fma_f64 v[57:58], v[61:62], s[14:15], v[63:64]
	v_add_f64 v[53:54], v[53:54], v[55:56]
	s_delay_alu instid0(VALU_DEP_2) | instskip(NEXT) | instid1(VALU_DEP_2)
	v_add_f64 v[55:56], v[67:68], v[57:58]
	v_add_f64 v[59:60], v[65:66], v[53:54]
	s_delay_alu instid0(VALU_DEP_2) | instskip(NEXT) | instid1(VALU_DEP_2)
	v_add_f64 v[67:68], v[55:56], -v[67:68]
	v_add_f64 v[61:62], v[55:56], v[59:60]
	v_add_f64 v[65:66], v[59:60], -v[65:66]
	s_delay_alu instid0(VALU_DEP_3) | instskip(NEXT) | instid1(VALU_DEP_3)
	v_add_f64 v[57:58], v[57:58], -v[67:68]
	v_add_f64 v[63:64], v[61:62], -v[55:56]
	s_delay_alu instid0(VALU_DEP_3) | instskip(NEXT) | instid1(VALU_DEP_2)
	v_add_f64 v[53:54], v[53:54], -v[65:66]
	v_add_f64 v[69:70], v[61:62], -v[63:64]
	;; [unrolled: 1-line block ×3, first 2 shown]
	s_delay_alu instid0(VALU_DEP_3) | instskip(NEXT) | instid1(VALU_DEP_3)
	v_add_f64 v[63:64], v[57:58], v[53:54]
	v_add_f64 v[55:56], v[55:56], -v[69:70]
	s_delay_alu instid0(VALU_DEP_1) | instskip(NEXT) | instid1(VALU_DEP_3)
	v_add_f64 v[55:56], v[59:60], v[55:56]
	v_add_f64 v[59:60], v[63:64], -v[57:58]
	s_delay_alu instid0(VALU_DEP_2) | instskip(NEXT) | instid1(VALU_DEP_2)
	v_add_f64 v[55:56], v[63:64], v[55:56]
	v_add_f64 v[63:64], v[63:64], -v[59:60]
	v_add_f64 v[53:54], v[53:54], -v[59:60]
	s_delay_alu instid0(VALU_DEP_3) | instskip(NEXT) | instid1(VALU_DEP_3)
	v_add_f64 v[65:66], v[61:62], v[55:56]
	v_add_f64 v[57:58], v[57:58], -v[63:64]
	s_delay_alu instid0(VALU_DEP_2) | instskip(NEXT) | instid1(VALU_DEP_2)
	v_add_f64 v[59:60], v[65:66], -v[61:62]
	v_add_f64 v[53:54], v[53:54], v[57:58]
	s_delay_alu instid0(VALU_DEP_2) | instskip(NEXT) | instid1(VALU_DEP_1)
	v_add_f64 v[55:56], v[55:56], -v[59:60]
	v_add_f64 v[53:54], v[53:54], v[55:56]
	s_delay_alu instid0(VALU_DEP_1) | instskip(NEXT) | instid1(VALU_DEP_1)
	v_add_f64 v[55:56], v[65:66], v[53:54]
	v_add_f64 v[57:58], v[55:56], -v[65:66]
	v_mul_f64 v[59:60], v[49:50], v[55:56]
	s_delay_alu instid0(VALU_DEP_2) | instskip(NEXT) | instid1(VALU_DEP_2)
	v_add_f64 v[53:54], v[53:54], -v[57:58]
	v_fma_f64 v[55:56], v[49:50], v[55:56], -v[59:60]
	v_cmp_class_f64_e64 s4, v[59:60], 0x204
	s_delay_alu instid0(VALU_DEP_2) | instskip(NEXT) | instid1(VALU_DEP_1)
	v_fma_f64 v[53:54], v[49:50], v[53:54], v[55:56]
	v_add_f64 v[55:56], v[59:60], v[53:54]
	s_delay_alu instid0(VALU_DEP_1) | instskip(NEXT) | instid1(VALU_DEP_2)
	v_cndmask_b32_e64 v58, v56, v60, s4
	v_cndmask_b32_e64 v57, v55, v59, s4
	v_add_f64 v[55:56], v[55:56], -v[59:60]
	s_delay_alu instid0(VALU_DEP_2)
	v_mul_f64 v[61:62], v[57:58], s[44:45]
	v_cmp_lt_f64_e64 s4, 0x40900000, v[57:58]
	v_cmp_neq_f64_e64 s5, 0x7ff00000, |v[57:58]|
	v_cmp_ngt_f64_e64 s6, 0xc090cc00, v[57:58]
	v_add_f64 v[53:54], v[53:54], -v[55:56]
	v_mul_f64 v[55:56], v[49:50], 0.5
	v_rndne_f64_e32 v[61:62], v[61:62]
	s_delay_alu instid0(VALU_DEP_3) | instskip(NEXT) | instid1(VALU_DEP_4)
	v_cndmask_b32_e64 v54, 0, v54, s5
	v_cndmask_b32_e64 v53, 0, v53, s5
	s_delay_alu instid0(VALU_DEP_3) | instskip(SKIP_1) | instid1(VALU_DEP_2)
	v_fma_f64 v[63:64], v[61:62], s[70:71], v[57:58]
	v_cvt_i32_f64_e32 v2, v[61:62]
	v_fma_f64 v[63:64], v[61:62], s[72:73], v[63:64]
	s_delay_alu instid0(VALU_DEP_1) | instskip(NEXT) | instid1(VALU_DEP_1)
	v_fma_f64 v[65:66], v[63:64], s[48:49], s[46:47]
	v_fma_f64 v[65:66], v[63:64], v[65:66], s[50:51]
	s_delay_alu instid0(VALU_DEP_1) | instskip(NEXT) | instid1(VALU_DEP_1)
	v_fma_f64 v[65:66], v[63:64], v[65:66], s[52:53]
	;; [unrolled: 3-line block ×5, first 2 shown]
	v_fma_f64 v[65:66], v[63:64], v[65:66], 1.0
	s_delay_alu instid0(VALU_DEP_1) | instskip(NEXT) | instid1(VALU_DEP_1)
	v_fma_f64 v[61:62], v[63:64], v[65:66], 1.0
	v_ldexp_f64 v[59:60], v[61:62], v2
	s_delay_alu instid0(VALU_DEP_1) | instskip(SKIP_1) | instid1(VALU_DEP_3)
	v_cndmask_b32_e64 v61, v60, 0x7ff00000, s4
	v_and_b32_e32 v60, 0x7fffffff, v60
	v_cndmask_b32_e64 v2, v59, 0, s4
	s_delay_alu instid0(VALU_DEP_3) | instskip(NEXT) | instid1(VALU_DEP_3)
	v_cndmask_b32_e64 v58, 0, v61, s6
	v_cmp_eq_f64_e64 s5, 0x7ff00000, v[59:60]
	v_trunc_f64_e32 v[59:60], v[55:56]
	v_trunc_f64_e32 v[61:62], v[49:50]
	v_cndmask_b32_e64 v57, 0, v2, s6
	v_and_b32_e32 v2, 0x7fffffff, v18
	s_delay_alu instid0(VALU_DEP_2) | instskip(NEXT) | instid1(VALU_DEP_2)
	v_fma_f64 v[53:54], v[57:58], v[53:54], v[57:58]
	v_cndmask_b32_e64 v18, v2, 0x3ff00000, s3
	s_delay_alu instid0(VALU_DEP_1)
	v_cmp_neq_f64_e64 s3, v[49:50], v[17:18]
	s_or_b32 s5, s4, s5
	v_cmp_neq_f64_e64 s4, v[59:60], v[55:56]
	s_and_b32 s5, s6, s5
	v_cmp_eq_f64_e64 s6, v[61:62], v[49:50]
	v_cndmask_b32_e64 v2, v54, v58, s5
	v_cndmask_b32_e64 v53, v53, v57, s5
	v_cmp_eq_f64_e64 s5, 0, v[15:16]
	s_xor_b32 s2, s3, s7
	v_cmp_gt_f64_e64 s3, 0, v[15:16]
	v_cndmask_b32_e64 v57, v18, 0, s2
	s_and_b32 s4, s6, s4
	v_cndmask_b32_e64 v54, 0, v53, s6
	v_cndmask_b32_e64 v56, 0x3ff00000, v16, s4
	;; [unrolled: 1-line block ×3, first 2 shown]
	v_cmp_gt_f64_e64 s4, 0, v[49:50]
	s_delay_alu instid0(VALU_DEP_3) | instskip(SKIP_2) | instid1(VALU_DEP_3)
	v_bfi_b32 v2, 0x7fffffff, v2, v56
	v_cndmask_b32_e64 v56, v17, 0, s2
	v_cmp_eq_f64_e64 s2, 1.0, v[51:52]
	v_cndmask_b32_e64 v58, 0x7ff80000, v2, s6
	v_cndmask_b32_e64 v53, v53, v54, s3
	s_delay_alu instid0(VALU_DEP_2)
	v_cndmask_b32_e64 v2, v2, v58, s3
	v_cmp_eq_f64_e64 s3, 0x7ff00000, v[51:52]
	s_xor_b32 s4, s4, s5
	v_cndmask_b32_e64 v57, v57, v52, s2
	v_cndmask_b32_e64 v56, v56, v51, s2
	v_cmp_eq_f64_e64 s2, 0x7ff00000, v[17:18]
	v_cndmask_b32_e64 v17, 0x7ff00000, 0, s4
	s_delay_alu instid0(VALU_DEP_1) | instskip(NEXT) | instid1(VALU_DEP_3)
	v_bfi_b32 v17, 0x7fffffff, v17, v55
	v_cndmask_b32_e64 v18, v53, v56, s2
	v_cndmask_b32_e64 v2, v2, v57, s2
	s_or_b32 s2, s3, s5
	s_delay_alu instid0(VALU_DEP_1) | instid1(SALU_CYCLE_1)
	v_cndmask_b32_e64 v2, v2, v17, s2
	s_delay_alu instid0(VALU_DEP_3) | instskip(SKIP_1) | instid1(VALU_DEP_1)
	v_cndmask_b32_e64 v17, v18, 0, s2
	v_cmp_o_f64_e64 s2, v[15:16], v[49:50]
	v_cndmask_b32_e64 v15, 0, v17, s2
	s_delay_alu instid0(VALU_DEP_4) | instskip(SKIP_1) | instid1(VALU_DEP_1)
	v_cndmask_b32_e64 v16, 0x7ff80000, v2, s2
	v_add_co_u32 v17, s2, v23, s24
	v_add_co_ci_u32_e64 v18, s2, s25, v24, s2
	global_store_b64 v[17:18], v[15:16], off
	s_or_b32 exec_lo, exec_lo, s75
	s_and_saveexec_b32 s7, s1
	s_cbranch_execz .LBB150_18
.LBB150_22:                             ;   in Loop: Header=BB150_9 Depth=1
	s_waitcnt vmcnt(0)
	v_mul_f64 v[13:14], v[13:14], s[28:29]
	v_cmp_eq_f64_e64 s2, 1.0, v[9:10]
	v_and_b32_e32 v2, 0x7fffffff, v10
	s_mov_b32 s68, s10
	s_mov_b32 s70, s12
	;; [unrolled: 1-line block ×3, first 2 shown]
	s_delay_alu instid0(VALU_DEP_2) | instskip(NEXT) | instid1(VALU_DEP_4)
	v_cndmask_b32_e64 v16, v14, 0x3ff00000, s2
	v_cndmask_b32_e64 v15, v13, 0, s2
	;; [unrolled: 1-line block ×3, first 2 shown]
	s_delay_alu instid0(VALU_DEP_2) | instskip(NEXT) | instid1(VALU_DEP_1)
	v_cmp_eq_f64_e64 s1, 0, v[15:16]
	v_cndmask_b32_e64 v18, v2, 0x3ff00000, s1
	v_cndmask_b32_e64 v17, v9, 0, s1
	v_cndmask_b32_e64 v10, v10, 0x3ff00000, s1
	v_cndmask_b32_e64 v9, v9, 0, s1
	s_delay_alu instid0(VALU_DEP_3) | instskip(SKIP_1) | instid1(VALU_DEP_2)
	v_frexp_mant_f64_e32 v[49:50], v[17:18]
	v_cmp_gt_f64_e64 s6, 1.0, v[17:18]
	v_cmp_gt_f64_e64 s3, s[10:11], v[49:50]
	s_delay_alu instid0(VALU_DEP_1) | instskip(NEXT) | instid1(VALU_DEP_1)
	v_cndmask_b32_e64 v2, 0x3ff00000, 2.0, s3
	v_mul_f64 v[49:50], v[49:50], v[1:2]
	v_frexp_exp_i32_f64_e32 v2, v[17:18]
	s_delay_alu instid0(VALU_DEP_2) | instskip(SKIP_1) | instid1(VALU_DEP_3)
	v_add_f64 v[51:52], v[49:50], 1.0
	v_add_f64 v[57:58], v[49:50], -1.0
	v_subrev_co_ci_u32_e64 v2, s3, 0, v2, s3
	s_delay_alu instid0(VALU_DEP_3) | instskip(SKIP_1) | instid1(VALU_DEP_1)
	v_rcp_f64_e32 v[53:54], v[51:52]
	v_add_f64 v[59:60], v[51:52], -1.0
	v_add_f64 v[49:50], v[49:50], -v[59:60]
	s_waitcnt_depctr 0xfff
	v_fma_f64 v[55:56], -v[51:52], v[53:54], 1.0
	s_delay_alu instid0(VALU_DEP_1) | instskip(NEXT) | instid1(VALU_DEP_1)
	v_fma_f64 v[53:54], v[55:56], v[53:54], v[53:54]
	v_fma_f64 v[55:56], -v[51:52], v[53:54], 1.0
	s_delay_alu instid0(VALU_DEP_1) | instskip(NEXT) | instid1(VALU_DEP_1)
	v_fma_f64 v[53:54], v[55:56], v[53:54], v[53:54]
	v_mul_f64 v[55:56], v[57:58], v[53:54]
	s_delay_alu instid0(VALU_DEP_1) | instskip(NEXT) | instid1(VALU_DEP_1)
	v_mul_f64 v[61:62], v[51:52], v[55:56]
	v_fma_f64 v[51:52], v[55:56], v[51:52], -v[61:62]
	s_delay_alu instid0(VALU_DEP_1) | instskip(NEXT) | instid1(VALU_DEP_1)
	v_fma_f64 v[49:50], v[55:56], v[49:50], v[51:52]
	v_add_f64 v[51:52], v[61:62], v[49:50]
	s_delay_alu instid0(VALU_DEP_1) | instskip(SKIP_1) | instid1(VALU_DEP_2)
	v_add_f64 v[59:60], v[57:58], -v[51:52]
	v_add_f64 v[61:62], v[51:52], -v[61:62]
	;; [unrolled: 1-line block ×3, first 2 shown]
	s_delay_alu instid0(VALU_DEP_2) | instskip(NEXT) | instid1(VALU_DEP_2)
	v_add_f64 v[49:50], v[61:62], -v[49:50]
	v_add_f64 v[51:52], v[57:58], -v[51:52]
	s_delay_alu instid0(VALU_DEP_1) | instskip(NEXT) | instid1(VALU_DEP_1)
	v_add_f64 v[49:50], v[49:50], v[51:52]
	v_add_f64 v[49:50], v[59:60], v[49:50]
	s_delay_alu instid0(VALU_DEP_1) | instskip(NEXT) | instid1(VALU_DEP_1)
	v_mul_f64 v[49:50], v[53:54], v[49:50]
	v_add_f64 v[51:52], v[55:56], v[49:50]
	s_delay_alu instid0(VALU_DEP_1) | instskip(SKIP_1) | instid1(VALU_DEP_2)
	v_add_f64 v[53:54], v[51:52], -v[55:56]
	v_mul_f64 v[55:56], v[51:52], v[51:52]
	v_add_f64 v[49:50], v[49:50], -v[53:54]
	s_delay_alu instid0(VALU_DEP_2) | instskip(NEXT) | instid1(VALU_DEP_2)
	v_fma_f64 v[53:54], v[51:52], v[51:52], -v[55:56]
	v_add_f64 v[57:58], v[49:50], v[49:50]
	s_delay_alu instid0(VALU_DEP_1) | instskip(NEXT) | instid1(VALU_DEP_1)
	v_fma_f64 v[53:54], v[51:52], v[57:58], v[53:54]
	v_add_f64 v[57:58], v[55:56], v[53:54]
	s_delay_alu instid0(VALU_DEP_1) | instskip(SKIP_2) | instid1(VALU_DEP_3)
	v_fma_f64 v[59:60], v[57:58], s[18:19], s[16:17]
	v_add_f64 v[55:56], v[57:58], -v[55:56]
	v_mul_f64 v[65:66], v[51:52], v[57:58]
	v_fma_f64 v[59:60], v[57:58], v[59:60], s[20:21]
	s_delay_alu instid0(VALU_DEP_3) | instskip(NEXT) | instid1(VALU_DEP_2)
	v_add_f64 v[53:54], v[53:54], -v[55:56]
	v_fma_f64 v[59:60], v[57:58], v[59:60], s[22:23]
	s_delay_alu instid0(VALU_DEP_1) | instskip(NEXT) | instid1(VALU_DEP_1)
	v_fma_f64 v[59:60], v[57:58], v[59:60], s[30:31]
	v_fma_f64 v[59:60], v[57:58], v[59:60], s[34:35]
	s_delay_alu instid0(VALU_DEP_1) | instskip(NEXT) | instid1(VALU_DEP_1)
	v_fma_f64 v[59:60], v[57:58], v[59:60], s[36:37]
	;; [unrolled: 3-line block ×3, first 2 shown]
	v_mul_f64 v[61:62], v[57:58], v[59:60]
	s_delay_alu instid0(VALU_DEP_1) | instskip(NEXT) | instid1(VALU_DEP_1)
	v_fma_f64 v[55:56], v[57:58], v[59:60], -v[61:62]
	v_fma_f64 v[55:56], v[53:54], v[59:60], v[55:56]
	s_delay_alu instid0(VALU_DEP_1) | instskip(NEXT) | instid1(VALU_DEP_1)
	v_add_f64 v[59:60], v[61:62], v[55:56]
	v_add_f64 v[63:64], v[59:60], s[10:11]
	v_add_f64 v[61:62], v[59:60], -v[61:62]
	s_delay_alu instid0(VALU_DEP_2) | instskip(NEXT) | instid1(VALU_DEP_2)
	v_add_f64 v[67:68], v[63:64], s[68:69]
	v_add_f64 v[55:56], v[55:56], -v[61:62]
	v_fma_f64 v[61:62], v[57:58], v[51:52], -v[65:66]
	s_delay_alu instid0(VALU_DEP_3) | instskip(NEXT) | instid1(VALU_DEP_3)
	v_add_f64 v[59:60], v[59:60], -v[67:68]
	v_add_f64 v[55:56], v[55:56], s[42:43]
	s_delay_alu instid0(VALU_DEP_3) | instskip(SKIP_1) | instid1(VALU_DEP_3)
	v_fma_f64 v[57:58], v[57:58], v[49:50], v[61:62]
	v_ldexp_f64 v[49:50], v[49:50], 1
	v_add_f64 v[55:56], v[55:56], v[59:60]
	s_delay_alu instid0(VALU_DEP_3) | instskip(SKIP_1) | instid1(VALU_DEP_3)
	v_fma_f64 v[53:54], v[53:54], v[51:52], v[57:58]
	v_ldexp_f64 v[51:52], v[51:52], 1
	v_add_f64 v[57:58], v[63:64], v[55:56]
	s_delay_alu instid0(VALU_DEP_3) | instskip(NEXT) | instid1(VALU_DEP_2)
	v_add_f64 v[59:60], v[65:66], v[53:54]
	v_add_f64 v[61:62], v[63:64], -v[57:58]
	s_delay_alu instid0(VALU_DEP_2) | instskip(SKIP_1) | instid1(VALU_DEP_3)
	v_mul_f64 v[63:64], v[59:60], v[57:58]
	v_add_f64 v[65:66], v[59:60], -v[65:66]
	v_add_f64 v[55:56], v[55:56], v[61:62]
	s_delay_alu instid0(VALU_DEP_3) | instskip(NEXT) | instid1(VALU_DEP_3)
	v_fma_f64 v[61:62], v[59:60], v[57:58], -v[63:64]
	v_add_f64 v[53:54], v[53:54], -v[65:66]
	s_delay_alu instid0(VALU_DEP_2) | instskip(NEXT) | instid1(VALU_DEP_1)
	v_fma_f64 v[55:56], v[59:60], v[55:56], v[61:62]
	v_fma_f64 v[53:54], v[53:54], v[57:58], v[55:56]
	v_cvt_f64_i32_e32 v[57:58], v2
	s_delay_alu instid0(VALU_DEP_2) | instskip(NEXT) | instid1(VALU_DEP_1)
	v_add_f64 v[55:56], v[63:64], v[53:54]
	v_add_f64 v[59:60], v[51:52], v[55:56]
	v_add_f64 v[61:62], v[55:56], -v[63:64]
	s_delay_alu instid0(VALU_DEP_4) | instskip(NEXT) | instid1(VALU_DEP_3)
	v_mul_f64 v[63:64], v[57:58], s[12:13]
	v_add_f64 v[51:52], v[59:60], -v[51:52]
	s_delay_alu instid0(VALU_DEP_3) | instskip(NEXT) | instid1(VALU_DEP_3)
	v_add_f64 v[53:54], v[53:54], -v[61:62]
	v_fma_f64 v[61:62], v[57:58], s[12:13], -v[63:64]
	s_delay_alu instid0(VALU_DEP_3) | instskip(NEXT) | instid1(VALU_DEP_3)
	v_add_f64 v[51:52], v[55:56], -v[51:52]
	v_add_f64 v[49:50], v[49:50], v[53:54]
	s_delay_alu instid0(VALU_DEP_3) | instskip(NEXT) | instid1(VALU_DEP_2)
	v_fma_f64 v[53:54], v[57:58], s[14:15], v[61:62]
	v_add_f64 v[49:50], v[49:50], v[51:52]
	s_delay_alu instid0(VALU_DEP_2) | instskip(NEXT) | instid1(VALU_DEP_2)
	v_add_f64 v[51:52], v[63:64], v[53:54]
	v_add_f64 v[55:56], v[59:60], v[49:50]
	s_delay_alu instid0(VALU_DEP_2) | instskip(NEXT) | instid1(VALU_DEP_2)
	v_add_f64 v[63:64], v[51:52], -v[63:64]
	v_add_f64 v[57:58], v[51:52], v[55:56]
	v_add_f64 v[59:60], v[55:56], -v[59:60]
	s_delay_alu instid0(VALU_DEP_3) | instskip(NEXT) | instid1(VALU_DEP_3)
	v_add_f64 v[53:54], v[53:54], -v[63:64]
	v_add_f64 v[61:62], v[57:58], -v[51:52]
	s_delay_alu instid0(VALU_DEP_3) | instskip(NEXT) | instid1(VALU_DEP_2)
	v_add_f64 v[49:50], v[49:50], -v[59:60]
	v_add_f64 v[65:66], v[57:58], -v[61:62]
	;; [unrolled: 1-line block ×3, first 2 shown]
	s_delay_alu instid0(VALU_DEP_3) | instskip(NEXT) | instid1(VALU_DEP_3)
	v_add_f64 v[59:60], v[53:54], v[49:50]
	v_add_f64 v[51:52], v[51:52], -v[65:66]
	s_delay_alu instid0(VALU_DEP_1) | instskip(NEXT) | instid1(VALU_DEP_3)
	v_add_f64 v[51:52], v[55:56], v[51:52]
	v_add_f64 v[55:56], v[59:60], -v[53:54]
	s_delay_alu instid0(VALU_DEP_2) | instskip(NEXT) | instid1(VALU_DEP_2)
	v_add_f64 v[51:52], v[59:60], v[51:52]
	v_add_f64 v[59:60], v[59:60], -v[55:56]
	v_add_f64 v[49:50], v[49:50], -v[55:56]
	s_delay_alu instid0(VALU_DEP_3) | instskip(NEXT) | instid1(VALU_DEP_3)
	v_add_f64 v[61:62], v[57:58], v[51:52]
	v_add_f64 v[53:54], v[53:54], -v[59:60]
	s_delay_alu instid0(VALU_DEP_2) | instskip(NEXT) | instid1(VALU_DEP_2)
	v_add_f64 v[55:56], v[61:62], -v[57:58]
	v_add_f64 v[49:50], v[49:50], v[53:54]
	s_delay_alu instid0(VALU_DEP_2) | instskip(NEXT) | instid1(VALU_DEP_1)
	v_add_f64 v[51:52], v[51:52], -v[55:56]
	v_add_f64 v[49:50], v[49:50], v[51:52]
	s_delay_alu instid0(VALU_DEP_1) | instskip(NEXT) | instid1(VALU_DEP_1)
	v_add_f64 v[51:52], v[61:62], v[49:50]
	v_add_f64 v[53:54], v[51:52], -v[61:62]
	v_mul_f64 v[55:56], v[15:16], v[51:52]
	s_delay_alu instid0(VALU_DEP_2) | instskip(NEXT) | instid1(VALU_DEP_2)
	v_add_f64 v[49:50], v[49:50], -v[53:54]
	v_fma_f64 v[51:52], v[15:16], v[51:52], -v[55:56]
	v_cmp_class_f64_e64 s3, v[55:56], 0x204
	s_delay_alu instid0(VALU_DEP_2) | instskip(NEXT) | instid1(VALU_DEP_1)
	v_fma_f64 v[49:50], v[15:16], v[49:50], v[51:52]
	v_add_f64 v[51:52], v[55:56], v[49:50]
	s_delay_alu instid0(VALU_DEP_1) | instskip(NEXT) | instid1(VALU_DEP_2)
	v_cndmask_b32_e64 v54, v52, v56, s3
	v_cndmask_b32_e64 v53, v51, v55, s3
	v_add_f64 v[51:52], v[51:52], -v[55:56]
	s_delay_alu instid0(VALU_DEP_2)
	v_mul_f64 v[57:58], v[53:54], s[44:45]
	v_cmp_lt_f64_e64 s3, 0x40900000, v[53:54]
	v_cmp_neq_f64_e64 s4, 0x7ff00000, |v[53:54]|
	v_cmp_ngt_f64_e64 s5, 0xc090cc00, v[53:54]
	v_add_f64 v[49:50], v[49:50], -v[51:52]
	v_mul_f64 v[51:52], v[15:16], 0.5
	v_rndne_f64_e32 v[57:58], v[57:58]
	s_delay_alu instid0(VALU_DEP_3) | instskip(NEXT) | instid1(VALU_DEP_4)
	v_cndmask_b32_e64 v50, 0, v50, s4
	v_cndmask_b32_e64 v49, 0, v49, s4
	s_delay_alu instid0(VALU_DEP_3) | instskip(SKIP_1) | instid1(VALU_DEP_2)
	v_fma_f64 v[59:60], v[57:58], s[70:71], v[53:54]
	v_cvt_i32_f64_e32 v2, v[57:58]
	v_fma_f64 v[59:60], v[57:58], s[72:73], v[59:60]
	s_delay_alu instid0(VALU_DEP_1) | instskip(NEXT) | instid1(VALU_DEP_1)
	v_fma_f64 v[61:62], v[59:60], s[48:49], s[46:47]
	v_fma_f64 v[61:62], v[59:60], v[61:62], s[50:51]
	s_delay_alu instid0(VALU_DEP_1) | instskip(NEXT) | instid1(VALU_DEP_1)
	v_fma_f64 v[61:62], v[59:60], v[61:62], s[52:53]
	;; [unrolled: 3-line block ×5, first 2 shown]
	v_fma_f64 v[61:62], v[59:60], v[61:62], 1.0
	s_delay_alu instid0(VALU_DEP_1) | instskip(NEXT) | instid1(VALU_DEP_1)
	v_fma_f64 v[57:58], v[59:60], v[61:62], 1.0
	v_ldexp_f64 v[55:56], v[57:58], v2
	s_delay_alu instid0(VALU_DEP_1) | instskip(SKIP_1) | instid1(VALU_DEP_3)
	v_cndmask_b32_e64 v57, v56, 0x7ff00000, s3
	v_and_b32_e32 v56, 0x7fffffff, v56
	v_cndmask_b32_e64 v2, v55, 0, s3
	s_delay_alu instid0(VALU_DEP_3) | instskip(NEXT) | instid1(VALU_DEP_3)
	v_cndmask_b32_e64 v54, 0, v57, s5
	v_cmp_eq_f64_e64 s4, 0x7ff00000, v[55:56]
	v_trunc_f64_e32 v[55:56], v[51:52]
	v_trunc_f64_e32 v[57:58], v[15:16]
	v_cndmask_b32_e64 v53, 0, v2, s5
	v_and_b32_e32 v2, 0x7fffffff, v14
	s_delay_alu instid0(VALU_DEP_2) | instskip(NEXT) | instid1(VALU_DEP_2)
	v_fma_f64 v[49:50], v[53:54], v[49:50], v[53:54]
	v_cndmask_b32_e64 v14, v2, 0x3ff00000, s2
	s_delay_alu instid0(VALU_DEP_1)
	v_cmp_neq_f64_e64 s2, v[15:16], v[13:14]
	s_or_b32 s4, s3, s4
	v_cmp_neq_f64_e64 s3, v[55:56], v[51:52]
	s_and_b32 s4, s5, s4
	v_cmp_eq_f64_e64 s5, v[57:58], v[15:16]
	v_cndmask_b32_e64 v2, v50, v54, s4
	v_cndmask_b32_e64 v49, v49, v53, s4
	v_cmp_gt_f64_e64 s4, 0, v[15:16]
	s_xor_b32 s1, s2, s6
	v_cmp_gt_f64_e64 s2, 0, v[9:10]
	v_cndmask_b32_e64 v52, v14, 0, s1
	s_and_b32 s3, s5, s3
	v_cndmask_b32_e64 v50, 0, v49, s5
	v_cndmask_b32_e64 v51, 0x3ff00000, v10, s3
	s_delay_alu instid0(VALU_DEP_1) | instskip(SKIP_2) | instid1(VALU_DEP_3)
	v_bfi_b32 v2, 0x7fffffff, v2, v51
	v_cndmask_b32_e64 v51, v13, 0, s1
	v_cmp_eq_f64_e64 s1, 1.0, v[17:18]
	v_cndmask_b32_e64 v53, 0x7ff80000, v2, s5
	v_cmp_eq_f64_e64 s5, 0, v[9:10]
	v_cndmask_b32_e64 v49, v49, v50, s2
	s_delay_alu instid0(VALU_DEP_3)
	v_cndmask_b32_e64 v2, v2, v53, s2
	v_cmp_eq_f64_e64 s2, 0x7ff00000, v[17:18]
	v_cndmask_b32_e64 v52, v52, v18, s1
	v_cndmask_b32_e64 v51, v51, v17, s1
	v_cmp_eq_f64_e64 s1, 0x7ff00000, v[13:14]
	v_cndmask_b32_e64 v14, 0, v10, s3
	s_xor_b32 s4, s4, s5
	s_delay_alu instid0(SALU_CYCLE_1) | instskip(NEXT) | instid1(VALU_DEP_1)
	v_cndmask_b32_e64 v13, 0x7ff00000, 0, s4
	v_bfi_b32 v13, 0x7fffffff, v13, v14
	s_delay_alu instid0(VALU_DEP_4)
	v_cndmask_b32_e64 v14, v49, v51, s1
	v_cndmask_b32_e64 v2, v2, v52, s1
	s_or_b32 s1, s2, s5
	s_delay_alu instid0(VALU_DEP_1) | instid1(SALU_CYCLE_1)
	v_cndmask_b32_e64 v2, v2, v13, s1
	s_delay_alu instid0(VALU_DEP_3) | instskip(SKIP_1) | instid1(VALU_DEP_1)
	v_cndmask_b32_e64 v13, v14, 0, s1
	v_cmp_o_f64_e64 s1, v[9:10], v[15:16]
	v_cndmask_b32_e64 v9, 0, v13, s1
	s_delay_alu instid0(VALU_DEP_4) | instskip(SKIP_1) | instid1(VALU_DEP_1)
	v_cndmask_b32_e64 v10, 0x7ff80000, v2, s1
	v_add_co_u32 v13, s1, v47, s24
	v_add_co_ci_u32_e64 v14, s1, s25, v48, s1
	global_store_b64 v[13:14], v[9:10], off
	s_or_b32 exec_lo, exec_lo, s7
	s_and_saveexec_b32 s6, s0
	s_cbranch_execz .LBB150_19
.LBB150_23:                             ;   in Loop: Header=BB150_9 Depth=1
	s_waitcnt vmcnt(0)
	v_mul_f64 v[9:10], v[11:12], s[28:29]
	v_cmp_eq_f64_e64 s1, 1.0, v[7:8]
	v_and_b32_e32 v2, 0x7fffffff, v8
	s_mov_b32 s68, s10
	s_mov_b32 s70, s12
	;; [unrolled: 1-line block ×3, first 2 shown]
	s_delay_alu instid0(VALU_DEP_2) | instskip(NEXT) | instid1(VALU_DEP_4)
	v_cndmask_b32_e64 v12, v10, 0x3ff00000, s1
	v_cndmask_b32_e64 v11, v9, 0, s1
	;; [unrolled: 1-line block ×3, first 2 shown]
	s_delay_alu instid0(VALU_DEP_2) | instskip(NEXT) | instid1(VALU_DEP_1)
	v_cmp_eq_f64_e64 s0, 0, v[11:12]
	v_cndmask_b32_e64 v14, v2, 0x3ff00000, s0
	v_cndmask_b32_e64 v13, v7, 0, s0
	;; [unrolled: 1-line block ×4, first 2 shown]
	s_delay_alu instid0(VALU_DEP_3) | instskip(SKIP_1) | instid1(VALU_DEP_2)
	v_frexp_mant_f64_e32 v[15:16], v[13:14]
	v_cmp_gt_f64_e64 s5, 1.0, v[13:14]
	v_cmp_gt_f64_e64 s2, s[10:11], v[15:16]
	s_delay_alu instid0(VALU_DEP_1) | instskip(NEXT) | instid1(VALU_DEP_1)
	v_cndmask_b32_e64 v2, 0x3ff00000, 2.0, s2
	v_mul_f64 v[15:16], v[15:16], v[1:2]
	v_frexp_exp_i32_f64_e32 v2, v[13:14]
	s_delay_alu instid0(VALU_DEP_2) | instskip(SKIP_1) | instid1(VALU_DEP_3)
	v_add_f64 v[17:18], v[15:16], 1.0
	v_add_f64 v[53:54], v[15:16], -1.0
	v_subrev_co_ci_u32_e64 v2, s2, 0, v2, s2
	s_delay_alu instid0(VALU_DEP_3) | instskip(SKIP_1) | instid1(VALU_DEP_1)
	v_rcp_f64_e32 v[49:50], v[17:18]
	v_add_f64 v[55:56], v[17:18], -1.0
	v_add_f64 v[15:16], v[15:16], -v[55:56]
	s_waitcnt_depctr 0xfff
	v_fma_f64 v[51:52], -v[17:18], v[49:50], 1.0
	s_delay_alu instid0(VALU_DEP_1) | instskip(NEXT) | instid1(VALU_DEP_1)
	v_fma_f64 v[49:50], v[51:52], v[49:50], v[49:50]
	v_fma_f64 v[51:52], -v[17:18], v[49:50], 1.0
	s_delay_alu instid0(VALU_DEP_1) | instskip(NEXT) | instid1(VALU_DEP_1)
	v_fma_f64 v[49:50], v[51:52], v[49:50], v[49:50]
	v_mul_f64 v[51:52], v[53:54], v[49:50]
	s_delay_alu instid0(VALU_DEP_1) | instskip(NEXT) | instid1(VALU_DEP_1)
	v_mul_f64 v[57:58], v[17:18], v[51:52]
	v_fma_f64 v[17:18], v[51:52], v[17:18], -v[57:58]
	s_delay_alu instid0(VALU_DEP_1) | instskip(NEXT) | instid1(VALU_DEP_1)
	v_fma_f64 v[15:16], v[51:52], v[15:16], v[17:18]
	v_add_f64 v[17:18], v[57:58], v[15:16]
	s_delay_alu instid0(VALU_DEP_1) | instskip(SKIP_1) | instid1(VALU_DEP_2)
	v_add_f64 v[55:56], v[53:54], -v[17:18]
	v_add_f64 v[57:58], v[17:18], -v[57:58]
	v_add_f64 v[53:54], v[53:54], -v[55:56]
	s_delay_alu instid0(VALU_DEP_2) | instskip(NEXT) | instid1(VALU_DEP_2)
	v_add_f64 v[15:16], v[57:58], -v[15:16]
	v_add_f64 v[17:18], v[53:54], -v[17:18]
	s_delay_alu instid0(VALU_DEP_1) | instskip(NEXT) | instid1(VALU_DEP_1)
	v_add_f64 v[15:16], v[15:16], v[17:18]
	v_add_f64 v[15:16], v[55:56], v[15:16]
	s_delay_alu instid0(VALU_DEP_1) | instskip(NEXT) | instid1(VALU_DEP_1)
	v_mul_f64 v[15:16], v[49:50], v[15:16]
	v_add_f64 v[17:18], v[51:52], v[15:16]
	s_delay_alu instid0(VALU_DEP_1) | instskip(SKIP_1) | instid1(VALU_DEP_2)
	v_add_f64 v[49:50], v[17:18], -v[51:52]
	v_mul_f64 v[51:52], v[17:18], v[17:18]
	v_add_f64 v[15:16], v[15:16], -v[49:50]
	s_delay_alu instid0(VALU_DEP_2) | instskip(NEXT) | instid1(VALU_DEP_2)
	v_fma_f64 v[49:50], v[17:18], v[17:18], -v[51:52]
	v_add_f64 v[53:54], v[15:16], v[15:16]
	s_delay_alu instid0(VALU_DEP_1) | instskip(NEXT) | instid1(VALU_DEP_1)
	v_fma_f64 v[49:50], v[17:18], v[53:54], v[49:50]
	v_add_f64 v[53:54], v[51:52], v[49:50]
	s_delay_alu instid0(VALU_DEP_1) | instskip(SKIP_2) | instid1(VALU_DEP_3)
	v_fma_f64 v[55:56], v[53:54], s[18:19], s[16:17]
	v_add_f64 v[51:52], v[53:54], -v[51:52]
	v_mul_f64 v[61:62], v[17:18], v[53:54]
	v_fma_f64 v[55:56], v[53:54], v[55:56], s[20:21]
	s_delay_alu instid0(VALU_DEP_3) | instskip(NEXT) | instid1(VALU_DEP_2)
	v_add_f64 v[49:50], v[49:50], -v[51:52]
	v_fma_f64 v[55:56], v[53:54], v[55:56], s[22:23]
	s_delay_alu instid0(VALU_DEP_1) | instskip(NEXT) | instid1(VALU_DEP_1)
	v_fma_f64 v[55:56], v[53:54], v[55:56], s[30:31]
	v_fma_f64 v[55:56], v[53:54], v[55:56], s[34:35]
	s_delay_alu instid0(VALU_DEP_1) | instskip(NEXT) | instid1(VALU_DEP_1)
	v_fma_f64 v[55:56], v[53:54], v[55:56], s[36:37]
	;; [unrolled: 3-line block ×3, first 2 shown]
	v_mul_f64 v[57:58], v[53:54], v[55:56]
	s_delay_alu instid0(VALU_DEP_1) | instskip(NEXT) | instid1(VALU_DEP_1)
	v_fma_f64 v[51:52], v[53:54], v[55:56], -v[57:58]
	v_fma_f64 v[51:52], v[49:50], v[55:56], v[51:52]
	s_delay_alu instid0(VALU_DEP_1) | instskip(NEXT) | instid1(VALU_DEP_1)
	v_add_f64 v[55:56], v[57:58], v[51:52]
	v_add_f64 v[59:60], v[55:56], s[10:11]
	v_add_f64 v[57:58], v[55:56], -v[57:58]
	s_delay_alu instid0(VALU_DEP_2) | instskip(NEXT) | instid1(VALU_DEP_2)
	v_add_f64 v[63:64], v[59:60], s[68:69]
	v_add_f64 v[51:52], v[51:52], -v[57:58]
	v_fma_f64 v[57:58], v[53:54], v[17:18], -v[61:62]
	s_delay_alu instid0(VALU_DEP_3) | instskip(NEXT) | instid1(VALU_DEP_3)
	v_add_f64 v[55:56], v[55:56], -v[63:64]
	v_add_f64 v[51:52], v[51:52], s[42:43]
	s_delay_alu instid0(VALU_DEP_3) | instskip(SKIP_1) | instid1(VALU_DEP_3)
	v_fma_f64 v[53:54], v[53:54], v[15:16], v[57:58]
	v_ldexp_f64 v[15:16], v[15:16], 1
	v_add_f64 v[51:52], v[51:52], v[55:56]
	s_delay_alu instid0(VALU_DEP_3) | instskip(SKIP_1) | instid1(VALU_DEP_3)
	v_fma_f64 v[49:50], v[49:50], v[17:18], v[53:54]
	v_ldexp_f64 v[17:18], v[17:18], 1
	v_add_f64 v[53:54], v[59:60], v[51:52]
	s_delay_alu instid0(VALU_DEP_3) | instskip(NEXT) | instid1(VALU_DEP_2)
	v_add_f64 v[55:56], v[61:62], v[49:50]
	v_add_f64 v[57:58], v[59:60], -v[53:54]
	s_delay_alu instid0(VALU_DEP_2) | instskip(SKIP_1) | instid1(VALU_DEP_3)
	v_mul_f64 v[59:60], v[55:56], v[53:54]
	v_add_f64 v[61:62], v[55:56], -v[61:62]
	v_add_f64 v[51:52], v[51:52], v[57:58]
	s_delay_alu instid0(VALU_DEP_3) | instskip(NEXT) | instid1(VALU_DEP_3)
	v_fma_f64 v[57:58], v[55:56], v[53:54], -v[59:60]
	v_add_f64 v[49:50], v[49:50], -v[61:62]
	s_delay_alu instid0(VALU_DEP_2) | instskip(NEXT) | instid1(VALU_DEP_1)
	v_fma_f64 v[51:52], v[55:56], v[51:52], v[57:58]
	v_fma_f64 v[49:50], v[49:50], v[53:54], v[51:52]
	v_cvt_f64_i32_e32 v[53:54], v2
	s_delay_alu instid0(VALU_DEP_2) | instskip(NEXT) | instid1(VALU_DEP_1)
	v_add_f64 v[51:52], v[59:60], v[49:50]
	v_add_f64 v[55:56], v[17:18], v[51:52]
	v_add_f64 v[57:58], v[51:52], -v[59:60]
	s_delay_alu instid0(VALU_DEP_4) | instskip(NEXT) | instid1(VALU_DEP_3)
	v_mul_f64 v[59:60], v[53:54], s[12:13]
	v_add_f64 v[17:18], v[55:56], -v[17:18]
	s_delay_alu instid0(VALU_DEP_3) | instskip(NEXT) | instid1(VALU_DEP_3)
	v_add_f64 v[49:50], v[49:50], -v[57:58]
	v_fma_f64 v[57:58], v[53:54], s[12:13], -v[59:60]
	s_delay_alu instid0(VALU_DEP_3) | instskip(NEXT) | instid1(VALU_DEP_3)
	v_add_f64 v[17:18], v[51:52], -v[17:18]
	v_add_f64 v[15:16], v[15:16], v[49:50]
	s_delay_alu instid0(VALU_DEP_3) | instskip(NEXT) | instid1(VALU_DEP_2)
	v_fma_f64 v[49:50], v[53:54], s[14:15], v[57:58]
	v_add_f64 v[15:16], v[15:16], v[17:18]
	s_delay_alu instid0(VALU_DEP_2) | instskip(NEXT) | instid1(VALU_DEP_2)
	v_add_f64 v[17:18], v[59:60], v[49:50]
	v_add_f64 v[51:52], v[55:56], v[15:16]
	s_delay_alu instid0(VALU_DEP_2) | instskip(NEXT) | instid1(VALU_DEP_2)
	v_add_f64 v[59:60], v[17:18], -v[59:60]
	v_add_f64 v[53:54], v[17:18], v[51:52]
	v_add_f64 v[55:56], v[51:52], -v[55:56]
	s_delay_alu instid0(VALU_DEP_3) | instskip(NEXT) | instid1(VALU_DEP_3)
	v_add_f64 v[49:50], v[49:50], -v[59:60]
	v_add_f64 v[57:58], v[53:54], -v[17:18]
	s_delay_alu instid0(VALU_DEP_3) | instskip(NEXT) | instid1(VALU_DEP_2)
	v_add_f64 v[15:16], v[15:16], -v[55:56]
	v_add_f64 v[61:62], v[53:54], -v[57:58]
	;; [unrolled: 1-line block ×3, first 2 shown]
	s_delay_alu instid0(VALU_DEP_3) | instskip(NEXT) | instid1(VALU_DEP_3)
	v_add_f64 v[55:56], v[49:50], v[15:16]
	v_add_f64 v[17:18], v[17:18], -v[61:62]
	s_delay_alu instid0(VALU_DEP_1) | instskip(NEXT) | instid1(VALU_DEP_3)
	v_add_f64 v[17:18], v[51:52], v[17:18]
	v_add_f64 v[51:52], v[55:56], -v[49:50]
	s_delay_alu instid0(VALU_DEP_2) | instskip(NEXT) | instid1(VALU_DEP_2)
	v_add_f64 v[17:18], v[55:56], v[17:18]
	v_add_f64 v[55:56], v[55:56], -v[51:52]
	v_add_f64 v[15:16], v[15:16], -v[51:52]
	s_delay_alu instid0(VALU_DEP_3) | instskip(NEXT) | instid1(VALU_DEP_3)
	v_add_f64 v[57:58], v[53:54], v[17:18]
	v_add_f64 v[49:50], v[49:50], -v[55:56]
	s_delay_alu instid0(VALU_DEP_2) | instskip(NEXT) | instid1(VALU_DEP_2)
	v_add_f64 v[51:52], v[57:58], -v[53:54]
	v_add_f64 v[15:16], v[15:16], v[49:50]
	s_delay_alu instid0(VALU_DEP_2) | instskip(NEXT) | instid1(VALU_DEP_1)
	v_add_f64 v[17:18], v[17:18], -v[51:52]
	v_add_f64 v[15:16], v[15:16], v[17:18]
	s_delay_alu instid0(VALU_DEP_1) | instskip(NEXT) | instid1(VALU_DEP_1)
	v_add_f64 v[17:18], v[57:58], v[15:16]
	v_add_f64 v[49:50], v[17:18], -v[57:58]
	v_mul_f64 v[51:52], v[11:12], v[17:18]
	s_delay_alu instid0(VALU_DEP_2) | instskip(NEXT) | instid1(VALU_DEP_2)
	v_add_f64 v[15:16], v[15:16], -v[49:50]
	v_fma_f64 v[17:18], v[11:12], v[17:18], -v[51:52]
	v_cmp_class_f64_e64 s2, v[51:52], 0x204
	s_delay_alu instid0(VALU_DEP_2) | instskip(NEXT) | instid1(VALU_DEP_1)
	v_fma_f64 v[15:16], v[11:12], v[15:16], v[17:18]
	v_add_f64 v[17:18], v[51:52], v[15:16]
	s_delay_alu instid0(VALU_DEP_1) | instskip(NEXT) | instid1(VALU_DEP_2)
	v_cndmask_b32_e64 v50, v18, v52, s2
	v_cndmask_b32_e64 v49, v17, v51, s2
	v_add_f64 v[17:18], v[17:18], -v[51:52]
	s_delay_alu instid0(VALU_DEP_2)
	v_mul_f64 v[53:54], v[49:50], s[44:45]
	v_cmp_lt_f64_e64 s2, 0x40900000, v[49:50]
	v_cmp_neq_f64_e64 s3, 0x7ff00000, |v[49:50]|
	v_cmp_ngt_f64_e64 s4, 0xc090cc00, v[49:50]
	v_add_f64 v[15:16], v[15:16], -v[17:18]
	v_mul_f64 v[17:18], v[11:12], 0.5
	v_rndne_f64_e32 v[53:54], v[53:54]
	s_delay_alu instid0(VALU_DEP_3) | instskip(NEXT) | instid1(VALU_DEP_4)
	v_cndmask_b32_e64 v16, 0, v16, s3
	v_cndmask_b32_e64 v15, 0, v15, s3
	s_delay_alu instid0(VALU_DEP_3) | instskip(SKIP_1) | instid1(VALU_DEP_2)
	v_fma_f64 v[55:56], v[53:54], s[70:71], v[49:50]
	v_cvt_i32_f64_e32 v2, v[53:54]
	v_fma_f64 v[55:56], v[53:54], s[72:73], v[55:56]
	s_delay_alu instid0(VALU_DEP_1) | instskip(NEXT) | instid1(VALU_DEP_1)
	v_fma_f64 v[57:58], v[55:56], s[48:49], s[46:47]
	v_fma_f64 v[57:58], v[55:56], v[57:58], s[50:51]
	s_delay_alu instid0(VALU_DEP_1) | instskip(NEXT) | instid1(VALU_DEP_1)
	v_fma_f64 v[57:58], v[55:56], v[57:58], s[52:53]
	;; [unrolled: 3-line block ×5, first 2 shown]
	v_fma_f64 v[57:58], v[55:56], v[57:58], 1.0
	s_delay_alu instid0(VALU_DEP_1) | instskip(NEXT) | instid1(VALU_DEP_1)
	v_fma_f64 v[53:54], v[55:56], v[57:58], 1.0
	v_ldexp_f64 v[51:52], v[53:54], v2
	s_delay_alu instid0(VALU_DEP_1) | instskip(SKIP_1) | instid1(VALU_DEP_3)
	v_cndmask_b32_e64 v53, v52, 0x7ff00000, s2
	v_and_b32_e32 v52, 0x7fffffff, v52
	v_cndmask_b32_e64 v2, v51, 0, s2
	s_delay_alu instid0(VALU_DEP_3) | instskip(NEXT) | instid1(VALU_DEP_3)
	v_cndmask_b32_e64 v50, 0, v53, s4
	v_cmp_eq_f64_e64 s3, 0x7ff00000, v[51:52]
	v_trunc_f64_e32 v[51:52], v[17:18]
	v_trunc_f64_e32 v[53:54], v[11:12]
	v_cndmask_b32_e64 v49, 0, v2, s4
	v_and_b32_e32 v2, 0x7fffffff, v10
	s_delay_alu instid0(VALU_DEP_2) | instskip(NEXT) | instid1(VALU_DEP_2)
	v_fma_f64 v[15:16], v[49:50], v[15:16], v[49:50]
	v_cndmask_b32_e64 v10, v2, 0x3ff00000, s1
	s_delay_alu instid0(VALU_DEP_1)
	v_cmp_neq_f64_e64 s1, v[11:12], v[9:10]
	s_or_b32 s3, s2, s3
	v_cmp_neq_f64_e64 s2, v[51:52], v[17:18]
	s_and_b32 s3, s4, s3
	v_cmp_eq_f64_e64 s4, v[53:54], v[11:12]
	v_cndmask_b32_e64 v2, v16, v50, s3
	v_cndmask_b32_e64 v15, v15, v49, s3
	v_cmp_gt_f64_e64 s3, 0, v[11:12]
	s_xor_b32 s0, s1, s5
	v_cmp_gt_f64_e64 s1, 0, v[7:8]
	v_cndmask_b32_e64 v18, v10, 0, s0
	s_and_b32 s2, s4, s2
	v_cndmask_b32_e64 v16, 0, v15, s4
	v_cndmask_b32_e64 v17, 0x3ff00000, v8, s2
	s_delay_alu instid0(VALU_DEP_1) | instskip(SKIP_2) | instid1(VALU_DEP_3)
	v_bfi_b32 v2, 0x7fffffff, v2, v17
	v_cndmask_b32_e64 v17, v9, 0, s0
	v_cmp_eq_f64_e64 s0, 1.0, v[13:14]
	v_cndmask_b32_e64 v49, 0x7ff80000, v2, s4
	v_cmp_eq_f64_e64 s4, 0, v[7:8]
	v_cndmask_b32_e64 v15, v15, v16, s1
	s_delay_alu instid0(VALU_DEP_3)
	v_cndmask_b32_e64 v2, v2, v49, s1
	v_cmp_eq_f64_e64 s1, 0x7ff00000, v[13:14]
	v_cndmask_b32_e64 v18, v18, v14, s0
	v_cndmask_b32_e64 v17, v17, v13, s0
	v_cmp_eq_f64_e64 s0, 0x7ff00000, v[9:10]
	v_cndmask_b32_e64 v10, 0, v8, s2
	s_xor_b32 s3, s3, s4
	s_delay_alu instid0(SALU_CYCLE_1) | instskip(NEXT) | instid1(VALU_DEP_1)
	v_cndmask_b32_e64 v9, 0x7ff00000, 0, s3
	v_bfi_b32 v9, 0x7fffffff, v9, v10
	s_delay_alu instid0(VALU_DEP_4)
	v_cndmask_b32_e64 v10, v15, v17, s0
	v_cndmask_b32_e64 v2, v2, v18, s0
	s_or_b32 s0, s1, s4
	s_delay_alu instid0(VALU_DEP_1) | instid1(SALU_CYCLE_1)
	v_cndmask_b32_e64 v2, v2, v9, s0
	s_delay_alu instid0(VALU_DEP_3) | instskip(SKIP_1) | instid1(VALU_DEP_1)
	v_cndmask_b32_e64 v9, v10, 0, s0
	v_cmp_o_f64_e64 s0, v[7:8], v[11:12]
	v_cndmask_b32_e64 v7, 0, v9, s0
	s_delay_alu instid0(VALU_DEP_4) | instskip(SKIP_1) | instid1(VALU_DEP_1)
	v_cndmask_b32_e64 v8, 0x7ff80000, v2, s0
	v_add_co_u32 v9, s0, v38, s24
	v_add_co_ci_u32_e64 v10, s0, s25, v39, s0
	global_store_b64 v[9:10], v[7:8], off
	s_or_b32 exec_lo, exec_lo, s6
	s_and_saveexec_b32 s5, vcc_lo
	s_cbranch_execz .LBB150_8
.LBB150_24:                             ;   in Loop: Header=BB150_9 Depth=1
	s_waitcnt vmcnt(0)
	v_mul_f64 v[5:6], v[5:6], s[28:29]
	v_cmp_eq_f64_e64 s0, 1.0, v[3:4]
	s_mov_b32 s68, s10
	s_mov_b32 s70, s12
	;; [unrolled: 1-line block ×3, first 2 shown]
	s_delay_alu instid0(VALU_DEP_1) | instskip(NEXT) | instid1(VALU_DEP_3)
	v_cndmask_b32_e64 v8, v6, 0x3ff00000, s0
	v_cndmask_b32_e64 v7, v5, 0, s0
	;; [unrolled: 1-line block ×3, first 2 shown]
	s_delay_alu instid0(VALU_DEP_2) | instskip(SKIP_4) | instid1(VALU_DEP_3)
	v_cmp_eq_f64_e32 vcc_lo, 0, v[7:8]
	v_cndmask_b32_e64 v9, v3, 0, vcc_lo
	v_and_b32_e32 v2, 0x7fffffff, v4
	v_cndmask_b32_e64 v4, v4, 0x3ff00000, vcc_lo
	v_cndmask_b32_e64 v3, v3, 0, vcc_lo
	;; [unrolled: 1-line block ×3, first 2 shown]
	s_delay_alu instid0(VALU_DEP_1) | instskip(SKIP_2) | instid1(VALU_DEP_3)
	v_frexp_mant_f64_e32 v[11:12], v[9:10]
	v_cmp_gt_f64_e64 s4, 1.0, v[9:10]
	v_cmp_eq_f64_e32 vcc_lo, 1.0, v[9:10]
	v_cmp_gt_f64_e64 s1, s[10:11], v[11:12]
	s_delay_alu instid0(VALU_DEP_1) | instskip(NEXT) | instid1(VALU_DEP_1)
	v_cndmask_b32_e64 v2, 0x3ff00000, 2.0, s1
	v_mul_f64 v[11:12], v[11:12], v[1:2]
	v_frexp_exp_i32_f64_e32 v2, v[9:10]
	s_delay_alu instid0(VALU_DEP_2) | instskip(SKIP_1) | instid1(VALU_DEP_3)
	v_add_f64 v[13:14], v[11:12], 1.0
	v_add_f64 v[49:50], v[11:12], -1.0
	v_subrev_co_ci_u32_e64 v2, s1, 0, v2, s1
	s_delay_alu instid0(VALU_DEP_3) | instskip(SKIP_1) | instid1(VALU_DEP_1)
	v_rcp_f64_e32 v[15:16], v[13:14]
	v_add_f64 v[51:52], v[13:14], -1.0
	v_add_f64 v[11:12], v[11:12], -v[51:52]
	s_waitcnt_depctr 0xfff
	v_fma_f64 v[17:18], -v[13:14], v[15:16], 1.0
	s_delay_alu instid0(VALU_DEP_1) | instskip(NEXT) | instid1(VALU_DEP_1)
	v_fma_f64 v[15:16], v[17:18], v[15:16], v[15:16]
	v_fma_f64 v[17:18], -v[13:14], v[15:16], 1.0
	s_delay_alu instid0(VALU_DEP_1) | instskip(NEXT) | instid1(VALU_DEP_1)
	v_fma_f64 v[15:16], v[17:18], v[15:16], v[15:16]
	v_mul_f64 v[17:18], v[49:50], v[15:16]
	s_delay_alu instid0(VALU_DEP_1) | instskip(NEXT) | instid1(VALU_DEP_1)
	v_mul_f64 v[53:54], v[13:14], v[17:18]
	v_fma_f64 v[13:14], v[17:18], v[13:14], -v[53:54]
	s_delay_alu instid0(VALU_DEP_1) | instskip(NEXT) | instid1(VALU_DEP_1)
	v_fma_f64 v[11:12], v[17:18], v[11:12], v[13:14]
	v_add_f64 v[13:14], v[53:54], v[11:12]
	s_delay_alu instid0(VALU_DEP_1) | instskip(SKIP_1) | instid1(VALU_DEP_2)
	v_add_f64 v[51:52], v[49:50], -v[13:14]
	v_add_f64 v[53:54], v[13:14], -v[53:54]
	;; [unrolled: 1-line block ×3, first 2 shown]
	s_delay_alu instid0(VALU_DEP_2) | instskip(NEXT) | instid1(VALU_DEP_2)
	v_add_f64 v[11:12], v[53:54], -v[11:12]
	v_add_f64 v[13:14], v[49:50], -v[13:14]
	s_delay_alu instid0(VALU_DEP_1) | instskip(NEXT) | instid1(VALU_DEP_1)
	v_add_f64 v[11:12], v[11:12], v[13:14]
	v_add_f64 v[11:12], v[51:52], v[11:12]
	s_delay_alu instid0(VALU_DEP_1) | instskip(NEXT) | instid1(VALU_DEP_1)
	v_mul_f64 v[11:12], v[15:16], v[11:12]
	v_add_f64 v[13:14], v[17:18], v[11:12]
	s_delay_alu instid0(VALU_DEP_1) | instskip(SKIP_1) | instid1(VALU_DEP_2)
	v_add_f64 v[15:16], v[13:14], -v[17:18]
	v_mul_f64 v[17:18], v[13:14], v[13:14]
	v_add_f64 v[11:12], v[11:12], -v[15:16]
	s_delay_alu instid0(VALU_DEP_2) | instskip(NEXT) | instid1(VALU_DEP_2)
	v_fma_f64 v[15:16], v[13:14], v[13:14], -v[17:18]
	v_add_f64 v[49:50], v[11:12], v[11:12]
	s_delay_alu instid0(VALU_DEP_1) | instskip(NEXT) | instid1(VALU_DEP_1)
	v_fma_f64 v[15:16], v[13:14], v[49:50], v[15:16]
	v_add_f64 v[49:50], v[17:18], v[15:16]
	s_delay_alu instid0(VALU_DEP_1) | instskip(SKIP_2) | instid1(VALU_DEP_3)
	v_fma_f64 v[51:52], v[49:50], s[18:19], s[16:17]
	v_add_f64 v[17:18], v[49:50], -v[17:18]
	v_mul_f64 v[57:58], v[13:14], v[49:50]
	v_fma_f64 v[51:52], v[49:50], v[51:52], s[20:21]
	s_delay_alu instid0(VALU_DEP_3) | instskip(NEXT) | instid1(VALU_DEP_2)
	v_add_f64 v[15:16], v[15:16], -v[17:18]
	v_fma_f64 v[51:52], v[49:50], v[51:52], s[22:23]
	s_delay_alu instid0(VALU_DEP_1) | instskip(NEXT) | instid1(VALU_DEP_1)
	v_fma_f64 v[51:52], v[49:50], v[51:52], s[30:31]
	v_fma_f64 v[51:52], v[49:50], v[51:52], s[34:35]
	s_delay_alu instid0(VALU_DEP_1) | instskip(NEXT) | instid1(VALU_DEP_1)
	v_fma_f64 v[51:52], v[49:50], v[51:52], s[36:37]
	v_fma_f64 v[51:52], v[49:50], v[51:52], s[38:39]
	s_delay_alu instid0(VALU_DEP_1) | instskip(NEXT) | instid1(VALU_DEP_1)
	v_fma_f64 v[51:52], v[49:50], v[51:52], s[40:41]
	v_mul_f64 v[53:54], v[49:50], v[51:52]
	s_delay_alu instid0(VALU_DEP_1) | instskip(NEXT) | instid1(VALU_DEP_1)
	v_fma_f64 v[17:18], v[49:50], v[51:52], -v[53:54]
	v_fma_f64 v[17:18], v[15:16], v[51:52], v[17:18]
	s_delay_alu instid0(VALU_DEP_1) | instskip(NEXT) | instid1(VALU_DEP_1)
	v_add_f64 v[51:52], v[53:54], v[17:18]
	v_add_f64 v[55:56], v[51:52], s[10:11]
	v_add_f64 v[53:54], v[51:52], -v[53:54]
	s_delay_alu instid0(VALU_DEP_2) | instskip(NEXT) | instid1(VALU_DEP_2)
	v_add_f64 v[59:60], v[55:56], s[68:69]
	v_add_f64 v[17:18], v[17:18], -v[53:54]
	v_fma_f64 v[53:54], v[49:50], v[13:14], -v[57:58]
	s_delay_alu instid0(VALU_DEP_3) | instskip(NEXT) | instid1(VALU_DEP_3)
	v_add_f64 v[51:52], v[51:52], -v[59:60]
	v_add_f64 v[17:18], v[17:18], s[42:43]
	s_delay_alu instid0(VALU_DEP_3) | instskip(SKIP_1) | instid1(VALU_DEP_3)
	v_fma_f64 v[49:50], v[49:50], v[11:12], v[53:54]
	v_ldexp_f64 v[11:12], v[11:12], 1
	v_add_f64 v[17:18], v[17:18], v[51:52]
	s_delay_alu instid0(VALU_DEP_3) | instskip(SKIP_1) | instid1(VALU_DEP_3)
	v_fma_f64 v[15:16], v[15:16], v[13:14], v[49:50]
	v_ldexp_f64 v[13:14], v[13:14], 1
	v_add_f64 v[49:50], v[55:56], v[17:18]
	s_delay_alu instid0(VALU_DEP_3) | instskip(NEXT) | instid1(VALU_DEP_2)
	v_add_f64 v[51:52], v[57:58], v[15:16]
	v_add_f64 v[53:54], v[55:56], -v[49:50]
	s_delay_alu instid0(VALU_DEP_2) | instskip(SKIP_1) | instid1(VALU_DEP_3)
	v_mul_f64 v[55:56], v[51:52], v[49:50]
	v_add_f64 v[57:58], v[51:52], -v[57:58]
	v_add_f64 v[17:18], v[17:18], v[53:54]
	s_delay_alu instid0(VALU_DEP_3) | instskip(NEXT) | instid1(VALU_DEP_3)
	v_fma_f64 v[53:54], v[51:52], v[49:50], -v[55:56]
	v_add_f64 v[15:16], v[15:16], -v[57:58]
	s_delay_alu instid0(VALU_DEP_2) | instskip(NEXT) | instid1(VALU_DEP_1)
	v_fma_f64 v[17:18], v[51:52], v[17:18], v[53:54]
	v_fma_f64 v[15:16], v[15:16], v[49:50], v[17:18]
	v_cvt_f64_i32_e32 v[49:50], v2
	s_delay_alu instid0(VALU_DEP_2) | instskip(NEXT) | instid1(VALU_DEP_1)
	v_add_f64 v[17:18], v[55:56], v[15:16]
	v_add_f64 v[51:52], v[13:14], v[17:18]
	v_add_f64 v[53:54], v[17:18], -v[55:56]
	s_delay_alu instid0(VALU_DEP_4) | instskip(NEXT) | instid1(VALU_DEP_3)
	v_mul_f64 v[55:56], v[49:50], s[12:13]
	v_add_f64 v[13:14], v[51:52], -v[13:14]
	s_delay_alu instid0(VALU_DEP_3) | instskip(NEXT) | instid1(VALU_DEP_3)
	v_add_f64 v[15:16], v[15:16], -v[53:54]
	v_fma_f64 v[53:54], v[49:50], s[12:13], -v[55:56]
	s_delay_alu instid0(VALU_DEP_3) | instskip(NEXT) | instid1(VALU_DEP_3)
	v_add_f64 v[13:14], v[17:18], -v[13:14]
	v_add_f64 v[11:12], v[11:12], v[15:16]
	s_delay_alu instid0(VALU_DEP_3) | instskip(NEXT) | instid1(VALU_DEP_2)
	v_fma_f64 v[15:16], v[49:50], s[14:15], v[53:54]
	v_add_f64 v[11:12], v[11:12], v[13:14]
	s_delay_alu instid0(VALU_DEP_2) | instskip(NEXT) | instid1(VALU_DEP_2)
	v_add_f64 v[13:14], v[55:56], v[15:16]
	v_add_f64 v[17:18], v[51:52], v[11:12]
	s_delay_alu instid0(VALU_DEP_2) | instskip(NEXT) | instid1(VALU_DEP_2)
	v_add_f64 v[55:56], v[13:14], -v[55:56]
	v_add_f64 v[49:50], v[13:14], v[17:18]
	v_add_f64 v[51:52], v[17:18], -v[51:52]
	s_delay_alu instid0(VALU_DEP_3) | instskip(NEXT) | instid1(VALU_DEP_3)
	v_add_f64 v[15:16], v[15:16], -v[55:56]
	v_add_f64 v[53:54], v[49:50], -v[13:14]
	s_delay_alu instid0(VALU_DEP_3) | instskip(NEXT) | instid1(VALU_DEP_2)
	v_add_f64 v[11:12], v[11:12], -v[51:52]
	v_add_f64 v[57:58], v[49:50], -v[53:54]
	;; [unrolled: 1-line block ×3, first 2 shown]
	s_delay_alu instid0(VALU_DEP_3) | instskip(NEXT) | instid1(VALU_DEP_3)
	v_add_f64 v[51:52], v[15:16], v[11:12]
	v_add_f64 v[13:14], v[13:14], -v[57:58]
	s_delay_alu instid0(VALU_DEP_1) | instskip(NEXT) | instid1(VALU_DEP_3)
	v_add_f64 v[13:14], v[17:18], v[13:14]
	v_add_f64 v[17:18], v[51:52], -v[15:16]
	s_delay_alu instid0(VALU_DEP_2) | instskip(NEXT) | instid1(VALU_DEP_2)
	v_add_f64 v[13:14], v[51:52], v[13:14]
	v_add_f64 v[51:52], v[51:52], -v[17:18]
	v_add_f64 v[11:12], v[11:12], -v[17:18]
	s_delay_alu instid0(VALU_DEP_3) | instskip(NEXT) | instid1(VALU_DEP_3)
	v_add_f64 v[53:54], v[49:50], v[13:14]
	v_add_f64 v[15:16], v[15:16], -v[51:52]
	s_delay_alu instid0(VALU_DEP_2) | instskip(NEXT) | instid1(VALU_DEP_2)
	v_add_f64 v[17:18], v[53:54], -v[49:50]
	v_add_f64 v[11:12], v[11:12], v[15:16]
	s_delay_alu instid0(VALU_DEP_2) | instskip(NEXT) | instid1(VALU_DEP_1)
	v_add_f64 v[13:14], v[13:14], -v[17:18]
	v_add_f64 v[11:12], v[11:12], v[13:14]
	s_delay_alu instid0(VALU_DEP_1) | instskip(NEXT) | instid1(VALU_DEP_1)
	v_add_f64 v[13:14], v[53:54], v[11:12]
	v_add_f64 v[15:16], v[13:14], -v[53:54]
	v_mul_f64 v[17:18], v[7:8], v[13:14]
	s_delay_alu instid0(VALU_DEP_2) | instskip(NEXT) | instid1(VALU_DEP_2)
	v_add_f64 v[11:12], v[11:12], -v[15:16]
	v_fma_f64 v[13:14], v[7:8], v[13:14], -v[17:18]
	v_cmp_class_f64_e64 s1, v[17:18], 0x204
	s_delay_alu instid0(VALU_DEP_2) | instskip(NEXT) | instid1(VALU_DEP_1)
	v_fma_f64 v[11:12], v[7:8], v[11:12], v[13:14]
	v_add_f64 v[13:14], v[17:18], v[11:12]
	s_delay_alu instid0(VALU_DEP_1) | instskip(NEXT) | instid1(VALU_DEP_2)
	v_cndmask_b32_e64 v16, v14, v18, s1
	v_cndmask_b32_e64 v15, v13, v17, s1
	v_add_f64 v[13:14], v[13:14], -v[17:18]
	s_delay_alu instid0(VALU_DEP_2)
	v_mul_f64 v[49:50], v[15:16], s[44:45]
	v_cmp_lt_f64_e64 s1, 0x40900000, v[15:16]
	v_cmp_neq_f64_e64 s2, 0x7ff00000, |v[15:16]|
	v_cmp_ngt_f64_e64 s3, 0xc090cc00, v[15:16]
	v_add_f64 v[11:12], v[11:12], -v[13:14]
	v_mul_f64 v[13:14], v[7:8], 0.5
	v_rndne_f64_e32 v[49:50], v[49:50]
	s_delay_alu instid0(VALU_DEP_3) | instskip(NEXT) | instid1(VALU_DEP_4)
	v_cndmask_b32_e64 v12, 0, v12, s2
	v_cndmask_b32_e64 v11, 0, v11, s2
	s_delay_alu instid0(VALU_DEP_3) | instskip(SKIP_1) | instid1(VALU_DEP_2)
	v_fma_f64 v[51:52], v[49:50], s[70:71], v[15:16]
	v_cvt_i32_f64_e32 v2, v[49:50]
	v_fma_f64 v[51:52], v[49:50], s[72:73], v[51:52]
	s_delay_alu instid0(VALU_DEP_1) | instskip(NEXT) | instid1(VALU_DEP_1)
	v_fma_f64 v[53:54], v[51:52], s[48:49], s[46:47]
	v_fma_f64 v[53:54], v[51:52], v[53:54], s[50:51]
	s_delay_alu instid0(VALU_DEP_1) | instskip(NEXT) | instid1(VALU_DEP_1)
	v_fma_f64 v[53:54], v[51:52], v[53:54], s[52:53]
	;; [unrolled: 3-line block ×5, first 2 shown]
	v_fma_f64 v[53:54], v[51:52], v[53:54], 1.0
	s_delay_alu instid0(VALU_DEP_1) | instskip(NEXT) | instid1(VALU_DEP_1)
	v_fma_f64 v[49:50], v[51:52], v[53:54], 1.0
	v_ldexp_f64 v[17:18], v[49:50], v2
	s_delay_alu instid0(VALU_DEP_1) | instskip(SKIP_1) | instid1(VALU_DEP_3)
	v_cndmask_b32_e64 v49, v18, 0x7ff00000, s1
	v_and_b32_e32 v18, 0x7fffffff, v18
	v_cndmask_b32_e64 v2, v17, 0, s1
	s_delay_alu instid0(VALU_DEP_3) | instskip(NEXT) | instid1(VALU_DEP_3)
	v_cndmask_b32_e64 v16, 0, v49, s3
	v_cmp_eq_f64_e64 s2, 0x7ff00000, v[17:18]
	v_trunc_f64_e32 v[17:18], v[13:14]
	v_trunc_f64_e32 v[49:50], v[7:8]
	v_cndmask_b32_e64 v15, 0, v2, s3
	v_and_b32_e32 v2, 0x7fffffff, v6
	s_delay_alu instid0(VALU_DEP_2) | instskip(NEXT) | instid1(VALU_DEP_2)
	v_fma_f64 v[11:12], v[15:16], v[11:12], v[15:16]
	v_cndmask_b32_e64 v6, v2, 0x3ff00000, s0
	s_delay_alu instid0(VALU_DEP_1)
	v_cmp_neq_f64_e64 s0, v[7:8], v[5:6]
	s_or_b32 s2, s1, s2
	v_cmp_neq_f64_e64 s1, v[17:18], v[13:14]
	s_and_b32 s2, s3, s2
	v_cmp_eq_f64_e64 s3, v[49:50], v[7:8]
	v_cndmask_b32_e64 v2, v12, v16, s2
	v_cndmask_b32_e64 v11, v11, v15, s2
	v_cmp_gt_f64_e64 s2, 0, v[7:8]
	s_xor_b32 s0, s0, s4
	s_delay_alu instid0(SALU_CYCLE_1) | instskip(NEXT) | instid1(VALU_DEP_1)
	v_cndmask_b32_e64 v14, v6, 0, s0
	v_cndmask_b32_e32 v14, v14, v10, vcc_lo
	s_and_b32 s1, s3, s1
	v_cndmask_b32_e64 v12, 0, v11, s3
	v_cndmask_b32_e64 v13, 0x3ff00000, v4, s1
	s_delay_alu instid0(VALU_DEP_1) | instskip(SKIP_2) | instid1(VALU_DEP_3)
	v_bfi_b32 v2, 0x7fffffff, v2, v13
	v_cndmask_b32_e64 v13, v5, 0, s0
	v_cmp_gt_f64_e64 s0, 0, v[3:4]
	v_cndmask_b32_e64 v15, 0x7ff80000, v2, s3
	v_cmp_eq_f64_e64 s3, 0, v[3:4]
	s_delay_alu instid0(VALU_DEP_4)
	v_cndmask_b32_e32 v13, v13, v9, vcc_lo
	v_cmp_eq_f64_e32 vcc_lo, 0x7ff00000, v[5:6]
	v_cndmask_b32_e64 v6, 0, v4, s1
	v_cndmask_b32_e64 v2, v2, v15, s0
	;; [unrolled: 1-line block ×3, first 2 shown]
	v_cmp_eq_f64_e64 s0, 0x7ff00000, v[9:10]
	s_xor_b32 s2, s2, s3
	s_delay_alu instid0(SALU_CYCLE_1) | instskip(SKIP_1) | instid1(VALU_DEP_2)
	v_cndmask_b32_e64 v5, 0x7ff00000, 0, s2
	v_cndmask_b32_e32 v2, v2, v14, vcc_lo
	v_bfi_b32 v5, 0x7fffffff, v5, v6
	v_cndmask_b32_e32 v6, v11, v13, vcc_lo
	s_or_b32 vcc_lo, s0, s3
	s_delay_alu instid0(VALU_DEP_2) | instskip(NEXT) | instid1(VALU_DEP_2)
	v_cndmask_b32_e32 v5, v2, v5, vcc_lo
	v_cndmask_b32_e64 v2, v6, 0, vcc_lo
	v_cmp_o_f64_e32 vcc_lo, v[3:4], v[7:8]
	s_delay_alu instid0(VALU_DEP_2) | instskip(NEXT) | instid1(VALU_DEP_4)
	v_cndmask_b32_e32 v2, 0, v2, vcc_lo
	v_cndmask_b32_e32 v3, 0x7ff80000, v5, vcc_lo
	v_add_co_u32 v4, vcc_lo, v29, s24
	v_add_co_ci_u32_e32 v5, vcc_lo, s25, v30, vcc_lo
	global_store_b64 v[4:5], v[2:3], off
	s_branch .LBB150_8
.LBB150_25:
	s_nop 0
	s_sendmsg sendmsg(MSG_DEALLOC_VGPRS)
	s_endpgm
	.section	.rodata,"a",@progbits
	.p2align	6, 0x0
	.amdhsa_kernel _ZN2at6native12_GLOBAL__N_125multi_tensor_apply_kernelINS1_18TensorListMetadataILi3EEENS1_24BinaryOpListAlphaFunctorIdLi3ELi2ELi2EEEJNS1_13power_functorIdEEdEEEvT_T0_DpT1_
		.amdhsa_group_segment_fixed_size 0
		.amdhsa_private_segment_fixed_size 0
		.amdhsa_kernarg_size 3416
		.amdhsa_user_sgpr_count 15
		.amdhsa_user_sgpr_dispatch_ptr 0
		.amdhsa_user_sgpr_queue_ptr 0
		.amdhsa_user_sgpr_kernarg_segment_ptr 1
		.amdhsa_user_sgpr_dispatch_id 0
		.amdhsa_user_sgpr_private_segment_size 0
		.amdhsa_wavefront_size32 1
		.amdhsa_uses_dynamic_stack 0
		.amdhsa_enable_private_segment 0
		.amdhsa_system_sgpr_workgroup_id_x 1
		.amdhsa_system_sgpr_workgroup_id_y 0
		.amdhsa_system_sgpr_workgroup_id_z 0
		.amdhsa_system_sgpr_workgroup_info 0
		.amdhsa_system_vgpr_workitem_id 0
		.amdhsa_next_free_vgpr 80
		.amdhsa_next_free_sgpr 100
		.amdhsa_reserve_vcc 1
		.amdhsa_float_round_mode_32 0
		.amdhsa_float_round_mode_16_64 0
		.amdhsa_float_denorm_mode_32 3
		.amdhsa_float_denorm_mode_16_64 3
		.amdhsa_dx10_clamp 1
		.amdhsa_ieee_mode 1
		.amdhsa_fp16_overflow 0
		.amdhsa_workgroup_processor_mode 1
		.amdhsa_memory_ordered 1
		.amdhsa_forward_progress 0
		.amdhsa_shared_vgpr_count 0
		.amdhsa_exception_fp_ieee_invalid_op 0
		.amdhsa_exception_fp_denorm_src 0
		.amdhsa_exception_fp_ieee_div_zero 0
		.amdhsa_exception_fp_ieee_overflow 0
		.amdhsa_exception_fp_ieee_underflow 0
		.amdhsa_exception_fp_ieee_inexact 0
		.amdhsa_exception_int_div_zero 0
	.end_amdhsa_kernel
	.section	.text._ZN2at6native12_GLOBAL__N_125multi_tensor_apply_kernelINS1_18TensorListMetadataILi3EEENS1_24BinaryOpListAlphaFunctorIdLi3ELi2ELi2EEEJNS1_13power_functorIdEEdEEEvT_T0_DpT1_,"axG",@progbits,_ZN2at6native12_GLOBAL__N_125multi_tensor_apply_kernelINS1_18TensorListMetadataILi3EEENS1_24BinaryOpListAlphaFunctorIdLi3ELi2ELi2EEEJNS1_13power_functorIdEEdEEEvT_T0_DpT1_,comdat
.Lfunc_end150:
	.size	_ZN2at6native12_GLOBAL__N_125multi_tensor_apply_kernelINS1_18TensorListMetadataILi3EEENS1_24BinaryOpListAlphaFunctorIdLi3ELi2ELi2EEEJNS1_13power_functorIdEEdEEEvT_T0_DpT1_, .Lfunc_end150-_ZN2at6native12_GLOBAL__N_125multi_tensor_apply_kernelINS1_18TensorListMetadataILi3EEENS1_24BinaryOpListAlphaFunctorIdLi3ELi2ELi2EEEJNS1_13power_functorIdEEdEEEvT_T0_DpT1_
                                        ; -- End function
	.section	.AMDGPU.csdata,"",@progbits
; Kernel info:
; codeLenInByte = 17864
; NumSgprs: 102
; NumVgprs: 80
; ScratchSize: 0
; MemoryBound: 0
; FloatMode: 240
; IeeeMode: 1
; LDSByteSize: 0 bytes/workgroup (compile time only)
; SGPRBlocks: 12
; VGPRBlocks: 9
; NumSGPRsForWavesPerEU: 102
; NumVGPRsForWavesPerEU: 80
; Occupancy: 16
; WaveLimiterHint : 0
; COMPUTE_PGM_RSRC2:SCRATCH_EN: 0
; COMPUTE_PGM_RSRC2:USER_SGPR: 15
; COMPUTE_PGM_RSRC2:TRAP_HANDLER: 0
; COMPUTE_PGM_RSRC2:TGID_X_EN: 1
; COMPUTE_PGM_RSRC2:TGID_Y_EN: 0
; COMPUTE_PGM_RSRC2:TGID_Z_EN: 0
; COMPUTE_PGM_RSRC2:TIDIG_COMP_CNT: 0
	.section	.text._ZN2at6native12_GLOBAL__N_125multi_tensor_apply_kernelINS1_18TensorListMetadataILi3EEENS1_24BinaryOpListAlphaFunctorIfLi3ELi2ELi2EEEJNS1_13power_functorIfEEfEEEvT_T0_DpT1_,"axG",@progbits,_ZN2at6native12_GLOBAL__N_125multi_tensor_apply_kernelINS1_18TensorListMetadataILi3EEENS1_24BinaryOpListAlphaFunctorIfLi3ELi2ELi2EEEJNS1_13power_functorIfEEfEEEvT_T0_DpT1_,comdat
	.globl	_ZN2at6native12_GLOBAL__N_125multi_tensor_apply_kernelINS1_18TensorListMetadataILi3EEENS1_24BinaryOpListAlphaFunctorIfLi3ELi2ELi2EEEJNS1_13power_functorIfEEfEEEvT_T0_DpT1_ ; -- Begin function _ZN2at6native12_GLOBAL__N_125multi_tensor_apply_kernelINS1_18TensorListMetadataILi3EEENS1_24BinaryOpListAlphaFunctorIfLi3ELi2ELi2EEEJNS1_13power_functorIfEEfEEEvT_T0_DpT1_
	.p2align	8
	.type	_ZN2at6native12_GLOBAL__N_125multi_tensor_apply_kernelINS1_18TensorListMetadataILi3EEENS1_24BinaryOpListAlphaFunctorIfLi3ELi2ELi2EEEJNS1_13power_functorIfEEfEEEvT_T0_DpT1_,@function
_ZN2at6native12_GLOBAL__N_125multi_tensor_apply_kernelINS1_18TensorListMetadataILi3EEENS1_24BinaryOpListAlphaFunctorIfLi3ELi2ELi2EEEJNS1_13power_functorIfEEfEEEvT_T0_DpT1_: ; @_ZN2at6native12_GLOBAL__N_125multi_tensor_apply_kernelINS1_18TensorListMetadataILi3EEENS1_24BinaryOpListAlphaFunctorIfLi3ELi2ELi2EEEJNS1_13power_functorIfEEfEEEvT_T0_DpT1_
; %bb.0:
	v_mov_b32_e32 v1, s15
	s_add_u32 s2, s0, s15
	s_mul_hi_u32 s3, s15, 3
	s_mul_i32 s15, s15, 3
	s_addc_u32 s4, s1, 0
	global_load_u8 v1, v1, s[0:1] offset:1536
	s_load_b32 s29, s[0:1], 0xc4c
	s_add_u32 s2, s2, s15
	s_addc_u32 s3, s4, s3
	s_load_b32 s2, s[2:3], 0x740
	s_waitcnt vmcnt(0)
	v_readfirstlane_b32 s3, v1
	s_delay_alu instid0(VALU_DEP_1)
	s_lshl_b32 s3, s3, 3
	s_clause 0x3
	s_load_b64 s[36:37], s[0:1], s3 offset:0x0
	s_load_b64 s[38:39], s[0:1], s3 offset:0x180
	;; [unrolled: 1-line block ×4, first 2 shown]
	s_waitcnt lgkmcnt(0)
	s_ashr_i32 s3, s2, 31
	s_delay_alu instid0(SALU_CYCLE_1) | instskip(NEXT) | instid1(SALU_CYCLE_1)
	s_lshl_b64 s[30:31], s[2:3], 18
	s_add_u32 s33, s36, s30
	s_addc_u32 s42, s37, s31
	s_and_b32 s6, s33, 15
	s_add_u32 s43, s38, s30
	s_addc_u32 s44, s39, s31
	s_add_u32 s45, s40, s30
	s_addc_u32 s46, s41, s31
	s_or_b32 s7, s45, s43
	s_delay_alu instid0(SALU_CYCLE_1) | instskip(NEXT) | instid1(SALU_CYCLE_1)
	s_and_b32 s7, s7, 15
	s_cmp_lg_u32 s7, 0
	s_mov_b32 s7, 0
	s_cselect_b32 s10, -1, 0
	s_lshl_b64 s[2:3], s[2:3], 16
	s_mov_b32 s9, s7
	s_sub_u32 s34, s4, s2
	s_subb_u32 s35, s5, s3
	s_and_b32 s8, s4, 3
	s_delay_alu instid0(SALU_CYCLE_1) | instskip(NEXT) | instid1(SALU_CYCLE_1)
	s_or_b64 s[2:3], s[6:7], s[8:9]
	s_cmp_lg_u64 s[2:3], 0
	s_cselect_b32 s2, -1, 0
	s_delay_alu instid0(SALU_CYCLE_1) | instskip(NEXT) | instid1(SALU_CYCLE_1)
	s_or_b32 s2, s10, s2
	s_and_not1_b32 vcc_lo, exec_lo, s2
	s_mov_b32 s2, -1
	s_cbranch_vccz .LBB151_5
; %bb.1:
	v_dual_mov_b32 v2, 0 :: v_dual_lshlrev_b32 v1, 2, v0
	s_mov_b32 s47, exec_lo
	s_delay_alu instid0(VALU_DEP_1)
	v_cmpx_gt_i64_e64 s[34:35], v[1:2]
	s_cbranch_execz .LBB151_4
; %bb.2:
	s_load_b32 s2, s[0:1], 0xc5c
	v_lshlrev_b32_e32 v9, 4, v0
	s_mov_b32 s48, 0
	s_mov_b32 s51, 0x3e76c4e1
	s_waitcnt lgkmcnt(0)
	s_and_b32 s2, s2, 0xffff
	s_delay_alu instid0(SALU_CYCLE_1)
	v_add_lshl_u32 v1, v0, s2, 2
	s_lshl_b32 s49, s2, 2
	s_lshl_b32 s50, s2, 4
.LBB151_3:                              ; =>This Inner Loop Header: Depth=1
	v_add_co_u32 v3, s2, s33, v9
	s_delay_alu instid0(VALU_DEP_1) | instskip(SKIP_1) | instid1(VALU_DEP_1)
	v_add_co_ci_u32_e64 v4, null, s42, 0, s2
	v_add_co_u32 v5, s2, s43, v9
	v_add_co_ci_u32_e64 v6, null, s44, 0, s2
	v_add_co_u32 v7, s2, s45, v9
	global_load_b128 v[10:13], v[5:6], off
	global_load_b128 v[15:18], v[3:4], off
	v_add_co_ci_u32_e64 v8, null, s46, 0, s2
	v_cmp_le_i64_e32 vcc_lo, s[34:35], v[1:2]
	v_cmp_lt_u64_e64 s2, 0xffff, v[1:2]
	v_add_co_u32 v1, s3, v1, s49
	s_delay_alu instid0(VALU_DEP_1) | instskip(NEXT) | instid1(VALU_DEP_3)
	v_add_co_ci_u32_e64 v2, s3, 0, v2, s3
	s_or_b32 s52, vcc_lo, s2
	s_waitcnt vmcnt(1)
	v_dual_mul_f32 v4, s29, v10 :: v_dual_mul_f32 v5, s29, v11
	s_waitcnt vmcnt(0)
	v_cmp_eq_f32_e32 vcc_lo, 1.0, v16
	v_cmp_eq_f32_e64 s2, 1.0, v15
	v_dual_mul_f32 v6, s29, v12 :: v_dual_mul_f32 v11, s29, v13
	v_cmp_eq_f32_e64 s3, 1.0, v17
	v_cmp_eq_f32_e64 s4, 1.0, v18
	s_delay_alu instid0(VALU_DEP_4)
	v_cndmask_b32_e64 v3, v4, 1.0, s2
	v_cndmask_b32_e64 v10, |v4|, 1.0, s2
	v_cndmask_b32_e64 v4, v5, 1.0, vcc_lo
	v_cndmask_b32_e64 v12, |v5|, 1.0, vcc_lo
	v_cndmask_b32_e64 v5, v6, 1.0, s3
	v_cndmask_b32_e64 v13, |v6|, 1.0, s3
	v_cndmask_b32_e64 v6, v11, 1.0, s4
	v_cmp_eq_f32_e64 s2, 0, v4
	v_cmp_eq_f32_e32 vcc_lo, 0, v3
	v_cmp_eq_f32_e64 s3, 0, v5
	v_trunc_f32_e32 v20, v3
	v_cmp_eq_f32_e64 s5, 0, v6
	v_cndmask_b32_e64 v22, |v16|, 1.0, s2
	v_dual_mul_f32 v21, 0.5, v3 :: v_dual_mul_f32 v24, 0.5, v4
	v_cndmask_b32_e64 v19, |v15|, 1.0, vcc_lo
	s_delay_alu instid0(VALU_DEP_4) | instskip(NEXT) | instid1(VALU_DEP_4)
	v_cndmask_b32_e64 v38, |v18|, 1.0, s5
	v_frexp_mant_f32_e32 v40, v22
	v_cndmask_b32_e64 v25, |v17|, 1.0, s3
	v_cndmask_b32_e64 v14, |v11|, 1.0, s4
	v_cmp_eq_f32_e64 s4, v20, v3
	v_frexp_mant_f32_e32 v42, v38
	v_trunc_f32_e32 v20, v21
	v_cmp_gt_f32_e64 s23, 0x3f2aaaab, v40
	v_trunc_f32_e32 v23, v4
	v_frexp_mant_f32_e32 v39, v19
	v_frexp_mant_f32_e32 v41, v25
	v_cmp_gt_f32_e64 s27, 0x3f2aaaab, v42
	v_cmp_neq_f32_e64 s22, v20, v21
	v_cndmask_b32_e64 v21, 1.0, 2.0, s23
	v_mul_f32_e32 v29, 0.5, v6
	v_cmp_neq_f32_e64 s7, v3, v10
	v_cmp_neq_f32_e64 s11, v5, v13
	v_cmp_gt_f32_e64 s17, 1.0, v19
	v_mul_f32_e32 v40, v40, v21
	v_cmp_gt_f32_e64 s19, 1.0, v25
	v_trunc_f32_e32 v28, v6
	v_cmp_eq_f32_e64 s6, v23, v4
	v_trunc_f32_e32 v23, v24
	v_cmp_gt_f32_e64 s21, 0x3f2aaaab, v39
	v_cmp_gt_f32_e64 s25, 0x3f2aaaab, v41
	v_cndmask_b32_e64 v44, 1.0, 2.0, s27
	v_cmp_neq_f32_e64 s10, v4, v12
	v_cmp_neq_f32_e64 s12, v6, v14
	v_cndmask_b32_e64 v11, v15, 1.0, vcc_lo
	v_cndmask_b32_e64 v15, v16, 1.0, s2
	v_cmp_gt_f32_e64 s18, 1.0, v22
	v_cndmask_b32_e64 v16, v17, 1.0, s3
	v_cmp_gt_f32_e64 s20, 1.0, v38
	v_trunc_f32_e32 v26, v5
	v_dual_mul_f32 v27, 0.5, v5 :: v_dual_mul_f32 v42, v42, v44
	v_cndmask_b32_e64 v17, v18, 1.0, s5
	v_trunc_f32_e32 v18, v29
	s_xor_b32 s7, s7, s17
	s_xor_b32 s11, s11, s19
	v_cmp_eq_f32_e64 s9, v28, v6
	v_cndmask_b32_e64 v28, 1.0, 2.0, s21
	v_cmp_neq_f32_e64 s24, v23, v24
	v_cndmask_b32_e64 v24, 1.0, 2.0, s25
	v_cmp_gt_f32_e64 s13, 0, v3
	v_cmp_gt_f32_e64 s15, 0, v5
	v_cndmask_b32_e64 v20, v10, 0, s7
	v_cmp_eq_f32_e64 s7, 0, v11
	s_xor_b32 s10, s10, s18
	v_cndmask_b32_e64 v43, v13, 0, s11
	v_cmp_eq_f32_e64 s11, 0, v16
	s_xor_b32 s12, s12, s20
	v_cvt_f64_f32_e32 v[30:31], v19
	v_cvt_f64_f32_e32 v[32:33], v22
	;; [unrolled: 1-line block ×4, first 2 shown]
	v_cmp_gt_f32_e64 s14, 0, v4
	v_cmp_gt_f32_e64 s16, 0, v6
	v_cmp_eq_f32_e64 s8, v26, v5
	v_trunc_f32_e32 v26, v27
	v_cmp_eq_f32_e64 s17, 1.0, v19
	v_cndmask_b32_e64 v23, v12, 0, s10
	v_cmp_eq_f32_e64 s18, 1.0, v22
	v_cmp_eq_f32_e64 s10, 0, v15
	v_cmp_neq_f32_e64 s28, v18, v29
	v_cndmask_b32_e64 v45, v14, 0, s12
	v_cmp_eq_f32_e64 s12, 0, v17
	v_cmp_eq_f32_e64 s19, 1.0, v25
	v_cmp_eq_f32_e64 s20, 1.0, v38
	v_dual_mul_f32 v41, v41, v24 :: v_dual_add_f32 v52, -1.0, v42
	v_mul_f32_e32 v39, v39, v28
	s_xor_b32 s13, s13, s7
	s_xor_b32 s15, s15, s11
	s_delay_alu instid0(VALU_DEP_2)
	v_add_f32_e32 v50, -1.0, v41
	v_cmp_eq_f32_e32 vcc_lo, 0x7f800000, v19
	v_cmp_neq_f32_e64 s26, v26, v27
	v_cndmask_b32_e64 v18, v20, v19, s17
	v_cndmask_b32_e64 v46, 0x7f800000, 0, s13
	s_and_b32 s13, s6, s24
	v_cndmask_b32_e64 v19, v23, v22, s18
	s_xor_b32 s14, s14, s10
	v_cndmask_b32_e64 v23, 0x7f800000, 0, s15
	s_and_b32 s15, s9, s28
	s_xor_b32 s16, s16, s12
	v_cmp_eq_f32_e64 s2, 0x7f800000, v22
	v_cmp_eq_f32_e64 s3, 0x7f800000, v25
	;; [unrolled: 1-line block ×3, first 2 shown]
	v_cndmask_b32_e64 v22, 0x7f800000, 0, s14
	v_cndmask_b32_e64 v20, v43, v25, s19
	;; [unrolled: 1-line block ×6, first 2 shown]
	v_add_f32_e32 v49, 1.0, v40
	v_add_f32_e32 v47, 1.0, v39
	s_and_b32 s14, s8, s26
	v_bfi_b32 v25, 0x7fffffff, v22, v25
	v_cndmask_b32_e64 v43, 0, v16, s14
	v_bfi_b32 v22, 0x7fffffff, v38, v44
	v_add_f32_e32 v44, -1.0, v49
	v_dual_add_f32 v38, -1.0, v47 :: v_dual_add_f32 v51, 1.0, v41
	s_and_b32 s22, s4, s22
	v_bfi_b32 v23, 0x7fffffff, v23, v43
	v_cndmask_b32_e64 v24, 0, v11, s22
	s_delay_alu instid0(VALU_DEP_3)
	v_sub_f32_e32 v38, v39, v38
	v_dual_add_f32 v53, 1.0, v42 :: v_dual_add_f32 v54, -1.0, v51
	v_rcp_f32_e32 v43, v47
	v_rcp_f32_e32 v55, v51
	v_dual_add_f32 v45, -1.0, v39 :: v_dual_add_f32 v48, -1.0, v40
	v_bfi_b32 v24, 0x7fffffff, v46, v24
	v_rcp_f32_e32 v46, v49
	v_rcp_f32_e32 v56, v53
	v_add_f32_e32 v57, -1.0, v53
	v_dual_sub_f32 v39, v40, v44 :: v_dual_sub_f32 v40, v41, v54
	v_frexp_exp_i32_f64_e32 v30, v[30:31]
	s_delay_alu instid0(TRANS32_DEP_3) | instskip(NEXT) | instid1(VALU_DEP_4)
	v_mul_f32_e32 v54, v50, v55
	v_dual_sub_f32 v41, v42, v57 :: v_dual_mul_f32 v42, v45, v43
	v_frexp_exp_i32_f64_e32 v31, v[32:33]
	s_delay_alu instid0(TRANS32_DEP_2)
	v_mul_f32_e32 v44, v48, v46
	s_delay_alu instid0(TRANS32_DEP_1) | instid1(VALU_DEP_4)
	v_dual_mul_f32 v57, v52, v56 :: v_dual_mul_f32 v60, v51, v54
	s_delay_alu instid0(VALU_DEP_4) | instskip(SKIP_1) | instid1(VALU_DEP_4)
	v_mul_f32_e32 v58, v47, v42
	v_frexp_exp_i32_f64_e32 v32, v[34:35]
	v_mul_f32_e32 v59, v49, v44
	s_delay_alu instid0(VALU_DEP_4)
	v_mul_f32_e32 v61, v53, v57
	v_frexp_exp_i32_f64_e32 v33, v[36:37]
	v_fma_f32 v34, v42, v47, -v58
	v_fma_f32 v36, v54, v51, -v60
	;; [unrolled: 1-line block ×4, first 2 shown]
	v_cndmask_b32_e64 v27, 1.0, v15, s13
	v_fmac_f32_e32 v34, v42, v38
	s_delay_alu instid0(VALU_DEP_4) | instskip(NEXT) | instid1(VALU_DEP_4)
	v_dual_fmac_f32 v36, v54, v40 :: v_dual_fmac_f32 v35, v44, v39
	v_fmac_f32_e32 v37, v57, v41
	v_cndmask_b32_e64 v28, 1.0, v16, s14
	s_delay_alu instid0(VALU_DEP_4) | instskip(NEXT) | instid1(VALU_DEP_4)
	v_add_f32_e32 v38, v58, v34
	v_dual_add_f32 v40, v60, v36 :: v_dual_add_f32 v39, v59, v35
	s_delay_alu instid0(VALU_DEP_4) | instskip(SKIP_1) | instid1(VALU_DEP_3)
	v_add_f32_e32 v41, v61, v37
	v_cndmask_b32_e64 v29, 1.0, v17, s15
	v_dual_sub_f32 v47, v38, v58 :: v_dual_sub_f32 v58, v40, v60
	s_delay_alu instid0(VALU_DEP_3) | instskip(NEXT) | instid1(VALU_DEP_2)
	v_dual_sub_f32 v51, v39, v59 :: v_dual_sub_f32 v60, v41, v61
	v_dual_sub_f32 v53, v48, v39 :: v_dual_sub_f32 v34, v47, v34
	s_delay_alu instid0(VALU_DEP_3) | instskip(SKIP_2) | instid1(VALU_DEP_4)
	v_dual_sub_f32 v61, v52, v41 :: v_dual_sub_f32 v36, v58, v36
	v_sub_f32_e32 v59, v50, v40
	v_sub_f32_e32 v49, v45, v38
	;; [unrolled: 1-line block ×3, first 2 shown]
	v_subrev_co_ci_u32_e64 v30, s13, 0, v30, s21
	s_delay_alu instid0(VALU_DEP_3) | instskip(SKIP_2) | instid1(VALU_DEP_3)
	v_dual_sub_f32 v48, v50, v59 :: v_dual_sub_f32 v45, v45, v49
	v_sub_f32_e32 v50, v52, v61
	v_subrev_co_ci_u32_e64 v31, s13, 0, v31, s23
	v_sub_f32_e32 v40, v48, v40
	s_delay_alu instid0(VALU_DEP_4) | instskip(SKIP_2) | instid1(VALU_DEP_4)
	v_dual_sub_f32 v38, v45, v38 :: v_dual_sub_f32 v35, v51, v35
	v_sub_f32_e32 v39, v47, v39
	v_subrev_co_ci_u32_e64 v32, s13, 0, v32, s25
	v_add_f32_e32 v36, v36, v40
	s_delay_alu instid0(VALU_DEP_4) | instskip(SKIP_2) | instid1(VALU_DEP_4)
	v_dual_add_f32 v34, v34, v38 :: v_dual_sub_f32 v37, v60, v37
	v_sub_f32_e32 v41, v50, v41
	v_subrev_co_ci_u32_e64 v33, s13, 0, v33, s27
	v_add_f32_e32 v36, v59, v36
	s_delay_alu instid0(VALU_DEP_4) | instskip(NEXT) | instid1(VALU_DEP_4)
	v_add_f32_e32 v34, v49, v34
	v_add_f32_e32 v37, v37, v41
	v_cvt_f32_i32_e32 v30, v30
	v_cvt_f32_i32_e32 v32, v32
	v_mul_f32_e32 v36, v55, v36
	v_mul_f32_e32 v34, v43, v34
	v_add_f32_e32 v35, v35, v39
	v_add_f32_e32 v37, v61, v37
	v_cvt_f32_i32_e32 v33, v33
	v_add_f32_e32 v40, v54, v36
	s_delay_alu instid0(VALU_DEP_4) | instskip(NEXT) | instid1(VALU_DEP_4)
	v_dual_add_f32 v38, v42, v34 :: v_dual_add_f32 v35, v53, v35
	v_mul_f32_e32 v37, v56, v37
	v_cvt_f32_i32_e32 v31, v31
	s_delay_alu instid0(VALU_DEP_4) | instskip(NEXT) | instid1(VALU_DEP_4)
	v_sub_f32_e32 v52, v40, v54
	v_sub_f32_e32 v42, v38, v42
	v_dual_mul_f32 v35, v46, v35 :: v_dual_mul_f32 v46, 0x3f317218, v32
	v_dual_mul_f32 v47, 0x3f317218, v33 :: v_dual_mul_f32 v48, v38, v38
	s_delay_alu instid0(VALU_DEP_2)
	v_dual_sub_f32 v34, v34, v42 :: v_dual_add_f32 v39, v44, v35
	v_add_f32_e32 v41, v57, v37
	v_mul_f32_e32 v43, 0x3f317218, v30
	v_mul_f32_e32 v45, 0x3f317218, v31
	v_fma_f32 v60, 0x3f317218, v32, -v46
	v_sub_f32_e32 v44, v39, v44
	v_dual_mul_f32 v50, v39, v39 :: v_dual_sub_f32 v55, v41, v57
	v_sub_f32_e32 v36, v36, v52
	v_fma_f32 v58, 0x3f317218, v30, -v43
	v_fma_f32 v61, 0x3f317218, v33, -v47
	v_dual_mul_f32 v53, v40, v40 :: v_dual_mul_f32 v56, v41, v41
	v_fma_f32 v59, 0x3f317218, v31, -v45
	s_delay_alu instid0(VALU_DEP_4) | instskip(SKIP_1) | instid1(VALU_DEP_2)
	v_dual_sub_f32 v35, v35, v44 :: v_dual_fmac_f32 v58, 0xb102e308, v30
	v_dual_sub_f32 v37, v37, v55 :: v_dual_fmac_f32 v60, 0xb102e308, v32
	v_dual_fmac_f32 v61, 0xb102e308, v33 :: v_dual_add_f32 v32, v35, v35
	v_fma_f32 v42, v38, v38, -v48
	v_fma_f32 v44, v39, v39, -v50
	;; [unrolled: 1-line block ×3, first 2 shown]
	v_dual_fmac_f32 v59, 0xb102e308, v31 :: v_dual_add_f32 v30, v34, v34
	v_dual_add_f32 v68, v46, v60 :: v_dual_add_f32 v69, v47, v61
	v_add_f32_e32 v64, v37, v37
	v_add_f32_e32 v66, v43, v58
	v_fma_f32 v52, v40, v40, -v53
	v_dual_add_f32 v62, v36, v36 :: v_dual_add_f32 v67, v45, v59
	v_fmac_f32_e32 v42, v38, v30
	s_delay_alu instid0(VALU_DEP_4) | instskip(SKIP_1) | instid1(VALU_DEP_4)
	v_dual_sub_f32 v30, v66, v43 :: v_dual_sub_f32 v43, v68, v46
	v_fmac_f32_e32 v44, v39, v32
	v_dual_sub_f32 v32, v67, v45 :: v_dual_sub_f32 v45, v69, v47
	v_fmac_f32_e32 v55, v41, v64
	s_delay_alu instid0(VALU_DEP_4) | instskip(NEXT) | instid1(VALU_DEP_4)
	v_sub_f32_e32 v43, v60, v43
	v_dual_fmac_f32 v52, v40, v62 :: v_dual_add_f32 v47, v50, v44
	s_delay_alu instid0(VALU_DEP_4) | instskip(SKIP_2) | instid1(VALU_DEP_4)
	v_dual_add_f32 v46, v48, v42 :: v_dual_sub_f32 v45, v61, v45
	v_sub_f32_e32 v30, v58, v30
	v_ldexp_f32 v33, v35, 1
	v_fmaak_f32 v60, s51, v47, 0x3e91f4c4
	v_sub_f32_e32 v50, v47, v50
	v_dual_mul_f32 v61, v39, v47 :: v_dual_fmaak_f32 v58, s51, v46, 0x3e91f4c4
	v_ldexp_f32 v51, v39, 1
	s_delay_alu instid0(VALU_DEP_4) | instskip(NEXT) | instid1(VALU_DEP_4)
	v_fmaak_f32 v60, v47, v60, 0x3ecccdef
	v_sub_f32_e32 v44, v44, v50
	s_delay_alu instid0(VALU_DEP_4) | instskip(SKIP_3) | instid1(VALU_DEP_4)
	v_fma_f32 v50, v47, v39, -v61
	v_fmaak_f32 v58, v46, v58, 0x3ecccdef
	v_dual_sub_f32 v32, v59, v32 :: v_dual_mul_f32 v59, v38, v46
	v_ldexp_f32 v31, v34, 1
	v_fmac_f32_e32 v50, v47, v35
	v_mul_f32_e32 v35, v47, v60
	v_ldexp_f32 v49, v38, 1
	v_ldexp_f32 v65, v37, 1
	;; [unrolled: 1-line block ×3, first 2 shown]
	v_fmac_f32_e32 v50, v44, v39
	v_fma_f32 v39, v47, v60, -v35
	v_ldexp_f32 v63, v36, 1
	v_ldexp_f32 v54, v40, 1
	v_cndmask_b32_e64 v26, 1.0, v11, s22
	s_or_b32 s2, s2, s10
	v_fmac_f32_e32 v39, v44, v60
	v_sub_f32_e32 v48, v46, v48
	s_or_b32 s3, s3, s11
	s_or_b32 vcc_lo, vcc_lo, s7
	s_delay_alu instid0(VALU_DEP_1) | instskip(SKIP_1) | instid1(VALU_DEP_1)
	v_sub_f32_e32 v42, v42, v48
	v_fma_f32 v48, v46, v38, -v59
	v_fmac_f32_e32 v48, v46, v34
	v_mul_f32_e32 v34, v46, v58
	s_delay_alu instid0(VALU_DEP_2) | instskip(NEXT) | instid1(VALU_DEP_2)
	v_fmac_f32_e32 v48, v42, v38
	v_fma_f32 v38, v46, v58, -v34
	s_delay_alu instid0(VALU_DEP_1) | instskip(SKIP_2) | instid1(VALU_DEP_1)
	v_fmac_f32_e32 v38, v42, v58
	v_add_f32_e32 v62, v53, v52
	v_add_f32_e32 v64, v56, v55
	v_fmaak_f32 v72, s51, v64, 0x3e91f4c4
	v_sub_f32_e32 v56, v64, v56
	v_mul_f32_e32 v73, v41, v64
	s_delay_alu instid0(VALU_DEP_3) | instskip(NEXT) | instid1(VALU_DEP_3)
	v_fmaak_f32 v72, v64, v72, 0x3ecccdef
	v_sub_f32_e32 v55, v55, v56
	s_delay_alu instid0(VALU_DEP_3) | instskip(NEXT) | instid1(VALU_DEP_1)
	v_fma_f32 v56, v64, v41, -v73
	v_fmac_f32_e32 v56, v64, v37
	s_delay_alu instid0(VALU_DEP_1) | instskip(NEXT) | instid1(VALU_DEP_1)
	v_dual_mul_f32 v37, v64, v72 :: v_dual_fmac_f32 v56, v55, v41
	v_fma_f32 v41, v64, v72, -v37
	s_delay_alu instid0(VALU_DEP_2) | instskip(NEXT) | instid1(VALU_DEP_2)
	v_add_f32_e32 v47, v73, v56
	v_fmac_f32_e32 v41, v55, v72
	v_add_f32_e32 v55, v34, v38
	v_sub_f32_e32 v53, v62, v53
	s_delay_alu instid0(VALU_DEP_3) | instskip(NEXT) | instid1(VALU_DEP_2)
	v_dual_mul_f32 v71, v40, v62 :: v_dual_add_f32 v64, v37, v41
	v_sub_f32_e32 v52, v52, v53
	s_delay_alu instid0(VALU_DEP_2) | instskip(NEXT) | instid1(VALU_DEP_3)
	v_fma_f32 v53, v62, v40, -v71
	v_sub_f32_e32 v37, v64, v37
	s_delay_alu instid0(VALU_DEP_2) | instskip(NEXT) | instid1(VALU_DEP_2)
	v_dual_fmac_f32 v53, v62, v36 :: v_dual_fmaak_f32 v70, s51, v62, 0x3e91f4c4
	v_sub_f32_e32 v37, v41, v37
	s_delay_alu instid0(VALU_DEP_2) | instskip(NEXT) | instid1(VALU_DEP_1)
	v_dual_fmac_f32 v53, v52, v40 :: v_dual_fmaak_f32 v70, v62, v70, 0x3ecccdef
	v_dual_add_f32 v37, 0x31739010, v37 :: v_dual_mul_f32 v36, v62, v70
	s_delay_alu instid0(VALU_DEP_1) | instskip(SKIP_1) | instid1(VALU_DEP_1)
	v_fma_f32 v40, v62, v70, -v36
	v_sub_f32_e32 v62, v47, v73
	v_sub_f32_e32 v56, v56, v62
	v_add_f32_e32 v62, 0x3f2aaaaa, v64
	s_delay_alu instid0(VALU_DEP_1) | instskip(NEXT) | instid1(VALU_DEP_1)
	v_add_f32_e32 v41, 0xbf2aaaaa, v62
	v_dual_sub_f32 v41, v64, v41 :: v_dual_add_f32 v46, v59, v48
	s_delay_alu instid0(VALU_DEP_1) | instskip(SKIP_1) | instid1(VALU_DEP_2)
	v_add_f32_e32 v37, v37, v41
	v_add_f32_e32 v44, v71, v53
	v_dual_add_f32 v42, v61, v50 :: v_dual_add_f32 v41, v62, v37
	s_delay_alu instid0(VALU_DEP_2) | instskip(NEXT) | instid1(VALU_DEP_2)
	v_sub_f32_e32 v60, v44, v71
	v_sub_f32_e32 v62, v62, v41
	s_delay_alu instid0(VALU_DEP_2)
	v_dual_sub_f32 v58, v42, v61 :: v_dual_sub_f32 v53, v53, v60
	v_fmac_f32_e32 v40, v52, v70
	v_sub_f32_e32 v52, v46, v59
	v_add_f32_e32 v59, v35, v39
	v_add_f32_e32 v37, v37, v62
	v_sub_f32_e32 v50, v50, v58
	v_mul_f32_e32 v64, v47, v41
	s_delay_alu instid0(VALU_DEP_4) | instskip(SKIP_1) | instid1(VALU_DEP_3)
	v_add_f32_e32 v58, 0x3f2aaaaa, v59
	v_sub_f32_e32 v35, v59, v35
	v_fma_f32 v62, v47, v41, -v64
	s_delay_alu instid0(VALU_DEP_2) | instskip(NEXT) | instid1(VALU_DEP_2)
	v_sub_f32_e32 v35, v39, v35
	v_dual_add_f32 v39, 0xbf2aaaaa, v58 :: v_dual_fmac_f32 v62, v47, v37
	s_delay_alu instid0(VALU_DEP_2) | instskip(NEXT) | instid1(VALU_DEP_2)
	v_add_f32_e32 v35, 0x31739010, v35
	v_dual_sub_f32 v39, v59, v39 :: v_dual_fmac_f32 v62, v56, v41
	s_delay_alu instid0(VALU_DEP_1) | instskip(NEXT) | instid1(VALU_DEP_2)
	v_add_f32_e32 v35, v35, v39
	v_add_f32_e32 v37, v64, v62
	s_delay_alu instid0(VALU_DEP_2) | instskip(NEXT) | instid1(VALU_DEP_1)
	v_dual_sub_f32 v34, v55, v34 :: v_dual_add_f32 v39, v58, v35
	v_dual_add_f32 v47, v57, v37 :: v_dual_sub_f32 v34, v38, v34
	s_delay_alu instid0(VALU_DEP_2) | instskip(NEXT) | instid1(VALU_DEP_2)
	v_sub_f32_e32 v58, v58, v39
	v_dual_mul_f32 v59, v42, v39 :: v_dual_add_f32 v34, 0x31739010, v34
	v_add_f32_e32 v61, v36, v40
	s_delay_alu instid0(VALU_DEP_3) | instskip(NEXT) | instid1(VALU_DEP_3)
	v_add_f32_e32 v35, v35, v58
	v_fma_f32 v58, v42, v39, -v59
	s_delay_alu instid0(VALU_DEP_1) | instskip(NEXT) | instid1(VALU_DEP_1)
	v_fmac_f32_e32 v58, v42, v35
	v_fmac_f32_e32 v58, v50, v39
	s_delay_alu instid0(VALU_DEP_1) | instskip(SKIP_1) | instid1(VALU_DEP_1)
	v_dual_add_f32 v35, v59, v58 :: v_dual_sub_f32 v48, v48, v52
	v_add_f32_e32 v52, 0x3f2aaaaa, v55
	v_dual_add_f32 v41, v51, v35 :: v_dual_add_f32 v38, 0xbf2aaaaa, v52
	s_delay_alu instid0(VALU_DEP_1) | instskip(NEXT) | instid1(VALU_DEP_1)
	v_sub_f32_e32 v38, v55, v38
	v_add_f32_e32 v34, v34, v38
	s_delay_alu instid0(VALU_DEP_1) | instskip(NEXT) | instid1(VALU_DEP_1)
	v_add_f32_e32 v38, v52, v34
	v_sub_f32_e32 v52, v52, v38
	v_mul_f32_e32 v55, v46, v38
	s_delay_alu instid0(VALU_DEP_2) | instskip(NEXT) | instid1(VALU_DEP_2)
	v_add_f32_e32 v34, v34, v52
	v_fma_f32 v52, v46, v38, -v55
	s_delay_alu instid0(VALU_DEP_1) | instskip(SKIP_1) | instid1(VALU_DEP_2)
	v_fmac_f32_e32 v52, v46, v34
	v_sub_f32_e32 v46, v37, v64
	v_fmac_f32_e32 v52, v48, v38
	s_delay_alu instid0(VALU_DEP_2) | instskip(NEXT) | instid1(VALU_DEP_2)
	v_sub_f32_e32 v46, v62, v46
	v_add_f32_e32 v34, v55, v52
	s_delay_alu instid0(VALU_DEP_1) | instskip(NEXT) | instid1(VALU_DEP_1)
	v_dual_sub_f32 v38, v34, v55 :: v_dual_add_f32 v39, v49, v34
	v_sub_f32_e32 v38, v52, v38
	v_add_f32_e32 v60, 0x3f2aaaaa, v61
	s_delay_alu instid0(VALU_DEP_3) | instskip(NEXT) | instid1(VALU_DEP_3)
	v_dual_sub_f32 v48, v39, v49 :: v_dual_sub_f32 v49, v41, v51
	v_dual_sub_f32 v36, v61, v36 :: v_dual_add_f32 v31, v31, v38
	s_delay_alu instid0(VALU_DEP_2) | instskip(NEXT) | instid1(VALU_DEP_2)
	v_dual_sub_f32 v51, v47, v57 :: v_dual_sub_f32 v34, v34, v48
	v_sub_f32_e32 v36, v40, v36
	s_delay_alu instid0(VALU_DEP_2) | instskip(NEXT) | instid1(VALU_DEP_2)
	v_dual_add_f32 v40, 0xbf2aaaaa, v60 :: v_dual_sub_f32 v37, v37, v51
	v_dual_add_f32 v31, v31, v34 :: v_dual_add_f32 v36, 0x31739010, v36
	s_delay_alu instid0(VALU_DEP_2) | instskip(NEXT) | instid1(VALU_DEP_1)
	v_sub_f32_e32 v40, v61, v40
	v_add_f32_e32 v36, v36, v40
	s_delay_alu instid0(VALU_DEP_1) | instskip(NEXT) | instid1(VALU_DEP_1)
	v_add_f32_e32 v40, v60, v36
	v_sub_f32_e32 v60, v60, v40
	v_mul_f32_e32 v61, v44, v40
	s_delay_alu instid0(VALU_DEP_2) | instskip(NEXT) | instid1(VALU_DEP_2)
	v_add_f32_e32 v36, v36, v60
	v_fma_f32 v60, v44, v40, -v61
	s_delay_alu instid0(VALU_DEP_1) | instskip(NEXT) | instid1(VALU_DEP_1)
	v_fmac_f32_e32 v60, v44, v36
	v_fmac_f32_e32 v60, v53, v40
	v_sub_f32_e32 v40, v35, v59
	s_delay_alu instid0(VALU_DEP_1) | instskip(NEXT) | instid1(VALU_DEP_1)
	v_dual_sub_f32 v35, v35, v49 :: v_dual_sub_f32 v40, v58, v40
	v_add_f32_e32 v33, v33, v40
	v_add_f32_e32 v40, v65, v46
	s_delay_alu instid0(VALU_DEP_2) | instskip(NEXT) | instid1(VALU_DEP_2)
	v_add_f32_e32 v33, v33, v35
	v_add_f32_e32 v35, v40, v37
	s_delay_alu instid0(VALU_DEP_1) | instskip(NEXT) | instid1(VALU_DEP_1)
	v_dual_add_f32 v37, v41, v33 :: v_dual_add_f32 v40, v47, v35
	v_sub_f32_e32 v41, v37, v41
	s_delay_alu instid0(VALU_DEP_2) | instskip(SKIP_1) | instid1(VALU_DEP_3)
	v_dual_add_f32 v46, v67, v37 :: v_dual_sub_f32 v47, v40, v47
	v_add_f32_e32 v49, v69, v40
	v_sub_f32_e32 v33, v33, v41
	s_delay_alu instid0(VALU_DEP_3) | instskip(NEXT) | instid1(VALU_DEP_4)
	v_sub_f32_e32 v41, v46, v67
	v_sub_f32_e32 v35, v35, v47
	s_delay_alu instid0(VALU_DEP_4) | instskip(NEXT) | instid1(VALU_DEP_3)
	v_sub_f32_e32 v47, v49, v69
	v_sub_f32_e32 v51, v46, v41
	;; [unrolled: 1-line block ×3, first 2 shown]
	s_delay_alu instid0(VALU_DEP_3)
	v_sub_f32_e32 v53, v49, v47
	v_sub_f32_e32 v40, v40, v47
	v_add_f32_e32 v47, v45, v35
	v_add_f32_e32 v41, v32, v33
	v_sub_f32_e32 v51, v67, v51
	v_sub_f32_e32 v53, v69, v53
	s_delay_alu instid0(VALU_DEP_4) | instskip(NEXT) | instid1(VALU_DEP_4)
	v_dual_sub_f32 v57, v47, v45 :: v_dual_add_f32 v36, v61, v60
	v_sub_f32_e32 v55, v41, v32
	s_delay_alu instid0(VALU_DEP_3) | instskip(NEXT) | instid1(VALU_DEP_3)
	v_dual_add_f32 v37, v37, v51 :: v_dual_add_f32 v40, v40, v53
	v_dual_sub_f32 v53, v47, v57 :: v_dual_add_f32 v44, v54, v36
	s_delay_alu instid0(VALU_DEP_3) | instskip(SKIP_1) | instid1(VALU_DEP_4)
	v_sub_f32_e32 v51, v41, v55
	v_sub_f32_e32 v35, v35, v57
	v_add_f32_e32 v37, v41, v37
	s_delay_alu instid0(VALU_DEP_4) | instskip(SKIP_1) | instid1(VALU_DEP_2)
	v_dual_sub_f32 v41, v45, v53 :: v_dual_add_f32 v40, v47, v40
	v_dual_sub_f32 v42, v36, v61 :: v_dual_sub_f32 v33, v33, v55
	v_dual_sub_f32 v32, v32, v51 :: v_dual_add_f32 v35, v35, v41
	s_delay_alu instid0(VALU_DEP_2) | instskip(SKIP_1) | instid1(VALU_DEP_3)
	v_dual_add_f32 v41, v49, v40 :: v_dual_sub_f32 v42, v60, v42
	v_sub_f32_e32 v50, v44, v54
	v_dual_add_f32 v32, v33, v32 :: v_dual_add_f32 v33, v46, v37
	s_delay_alu instid0(VALU_DEP_3) | instskip(NEXT) | instid1(VALU_DEP_1)
	v_dual_sub_f32 v45, v41, v49 :: v_dual_add_f32 v38, v63, v42
	v_sub_f32_e32 v40, v40, v45
	s_delay_alu instid0(VALU_DEP_1) | instskip(NEXT) | instid1(VALU_DEP_1)
	v_dual_sub_f32 v36, v36, v50 :: v_dual_add_f32 v35, v35, v40
	v_add_f32_e32 v34, v38, v36
	v_add_f32_e32 v36, v39, v31
	s_delay_alu instid0(VALU_DEP_3) | instskip(NEXT) | instid1(VALU_DEP_3)
	v_add_f32_e32 v40, v41, v35
	v_add_f32_e32 v38, v44, v34
	s_delay_alu instid0(VALU_DEP_3) | instskip(NEXT) | instid1(VALU_DEP_3)
	v_dual_sub_f32 v39, v36, v39 :: v_dual_add_f32 v42, v66, v36
	v_sub_f32_e32 v41, v40, v41
	v_mul_f32_e32 v45, v6, v40
	s_delay_alu instid0(VALU_DEP_3) | instskip(NEXT) | instid1(VALU_DEP_4)
	v_sub_f32_e32 v31, v31, v39
	v_sub_f32_e32 v39, v42, v66
	s_delay_alu instid0(VALU_DEP_4) | instskip(SKIP_2) | instid1(VALU_DEP_4)
	v_dual_sub_f32 v44, v38, v44 :: v_dual_sub_f32 v35, v35, v41
	v_add_f32_e32 v48, v68, v38
	v_cmp_class_f32_e64 s15, v45, 0x204
	v_sub_f32_e32 v50, v42, v39
	v_sub_f32_e32 v36, v36, v39
	v_add_f32_e32 v39, v30, v31
	s_delay_alu instid0(VALU_DEP_3) | instskip(NEXT) | instid1(VALU_DEP_2)
	v_sub_f32_e32 v50, v66, v50
	v_sub_f32_e32 v54, v39, v30
	s_delay_alu instid0(VALU_DEP_2) | instskip(NEXT) | instid1(VALU_DEP_2)
	v_add_f32_e32 v36, v36, v50
	v_sub_f32_e32 v50, v39, v54
	v_sub_f32_e32 v31, v31, v54
	s_delay_alu instid0(VALU_DEP_3) | instskip(NEXT) | instid1(VALU_DEP_3)
	v_add_f32_e32 v36, v39, v36
	v_sub_f32_e32 v30, v30, v50
	s_delay_alu instid0(VALU_DEP_1) | instskip(NEXT) | instid1(VALU_DEP_1)
	v_dual_add_f32 v30, v31, v30 :: v_dual_add_f32 v31, v42, v36
	v_sub_f32_e32 v42, v31, v42
	s_delay_alu instid0(VALU_DEP_1) | instskip(NEXT) | instid1(VALU_DEP_1)
	v_sub_f32_e32 v36, v36, v42
	v_add_f32_e32 v30, v30, v36
	s_delay_alu instid0(VALU_DEP_1) | instskip(NEXT) | instid1(VALU_DEP_1)
	v_add_f32_e32 v36, v31, v30
	v_dual_sub_f32 v31, v36, v31 :: v_dual_mul_f32 v42, v3, v36
	s_delay_alu instid0(VALU_DEP_1) | instskip(NEXT) | instid1(VALU_DEP_2)
	v_sub_f32_e32 v30, v30, v31
	v_fma_f32 v31, v3, v36, -v42
	v_sub_f32_e32 v34, v34, v44
	v_sub_f32_e32 v44, v48, v68
	v_cmp_class_f32_e64 s16, v42, 0x204
	s_delay_alu instid0(VALU_DEP_2) | instskip(SKIP_2) | instid1(VALU_DEP_3)
	v_dual_fmac_f32 v31, v3, v30 :: v_dual_sub_f32 v52, v48, v44
	v_sub_f32_e32 v38, v38, v44
	v_add_f32_e32 v44, v43, v34
	v_add_f32_e32 v30, v42, v31
	s_delay_alu instid0(VALU_DEP_4) | instskip(NEXT) | instid1(VALU_DEP_3)
	v_sub_f32_e32 v52, v68, v52
	v_sub_f32_e32 v56, v44, v43
	s_delay_alu instid0(VALU_DEP_2) | instskip(NEXT) | instid1(VALU_DEP_2)
	v_add_f32_e32 v38, v38, v52
	v_sub_f32_e32 v52, v44, v56
	v_sub_f32_e32 v34, v34, v56
	s_delay_alu instid0(VALU_DEP_2) | instskip(NEXT) | instid1(VALU_DEP_1)
	v_dual_add_f32 v38, v44, v38 :: v_dual_sub_f32 v39, v43, v52
	v_dual_add_f32 v34, v34, v39 :: v_dual_add_f32 v39, v48, v38
	s_delay_alu instid0(VALU_DEP_1) | instskip(NEXT) | instid1(VALU_DEP_1)
	v_sub_f32_e32 v44, v39, v48
	v_sub_f32_e32 v38, v38, v44
	s_delay_alu instid0(VALU_DEP_1) | instskip(NEXT) | instid1(VALU_DEP_1)
	v_add_f32_e32 v34, v34, v38
	v_add_f32_e32 v38, v39, v34
	s_delay_alu instid0(VALU_DEP_1) | instskip(SKIP_2) | instid1(VALU_DEP_3)
	v_sub_f32_e32 v39, v38, v39
	v_sub_f32_e32 v43, v33, v46
	v_mul_f32_e32 v44, v5, v38
	v_sub_f32_e32 v34, v34, v39
	s_delay_alu instid0(VALU_DEP_3) | instskip(NEXT) | instid1(VALU_DEP_3)
	v_sub_f32_e32 v37, v37, v43
	v_fma_f32 v36, v5, v38, -v44
	v_cmp_class_f32_e64 s14, v44, 0x204
	v_sub_f32_e32 v38, v30, v42
	v_cndmask_b32_e64 v30, v30, v42, s16
	v_add_f32_e32 v32, v32, v37
	v_fmac_f32_e32 v36, v5, v34
	s_delay_alu instid0(VALU_DEP_4) | instskip(NEXT) | instid1(VALU_DEP_3)
	v_sub_f32_e32 v31, v31, v38
	v_add_f32_e32 v37, v33, v32
	s_delay_alu instid0(VALU_DEP_1) | instskip(SKIP_1) | instid1(VALU_DEP_2)
	v_dual_add_f32 v34, v44, v36 :: v_dual_sub_f32 v33, v37, v33
	v_mul_f32_e32 v43, v4, v37
	v_sub_f32_e32 v32, v32, v33
	s_delay_alu instid0(VALU_DEP_2)
	v_fma_f32 v33, v4, v37, -v43
	v_fma_f32 v37, v6, v40, -v45
	v_cmp_class_f32_e64 s13, v43, 0x204
	v_sub_f32_e32 v40, v34, v44
	v_cndmask_b32_e64 v34, v34, v44, s14
	v_fmac_f32_e32 v33, v4, v32
	s_delay_alu instid0(VALU_DEP_3) | instskip(NEXT) | instid1(VALU_DEP_2)
	v_dual_fmac_f32 v37, v6, v35 :: v_dual_sub_f32 v36, v36, v40
	v_add_f32_e32 v32, v43, v33
	s_delay_alu instid0(VALU_DEP_2) | instskip(NEXT) | instid1(VALU_DEP_2)
	v_add_f32_e32 v35, v45, v37
	v_sub_f32_e32 v39, v32, v43
	v_cndmask_b32_e64 v32, v32, v43, s13
	s_delay_alu instid0(VALU_DEP_3)
	v_sub_f32_e32 v41, v35, v45
	v_cndmask_b32_e64 v35, v35, v45, s15
	v_cmp_eq_f32_e64 s13, 0x42b17218, v30
	v_cmp_eq_f32_e64 s15, 0x42b17218, v34
	;; [unrolled: 1-line block ×3, first 2 shown]
	v_sub_f32_e32 v33, v33, v39
	v_cmp_eq_f32_e64 s16, 0x42b17218, v35
	v_cndmask_b32_e64 v38, 0, 0x37000000, s13
	v_cmp_neq_f32_e64 s13, 0x7f800000, |v32|
	v_cndmask_b32_e64 v39, 0, 0x37000000, s14
	v_cmp_neq_f32_e64 s14, 0x7f800000, |v34|
	v_cndmask_b32_e64 v40, 0, 0x37000000, s15
	v_sub_f32_e32 v37, v37, v41
	v_cmp_neq_f32_e64 s15, 0x7f800000, |v35|
	v_cndmask_b32_e64 v41, 0, 0x37000000, s16
	v_cmp_neq_f32_e64 s16, 0x7f800000, |v30|
	v_sub_f32_e32 v30, v30, v38
	v_cndmask_b32_e64 v33, 0, v33, s13
	v_sub_f32_e32 v32, v32, v39
	v_cndmask_b32_e64 v36, 0, v36, s14
	v_cndmask_b32_e64 v31, 0, v31, s16
	v_sub_f32_e32 v34, v34, v40
	v_cndmask_b32_e64 v37, 0, v37, s15
	v_sub_f32_e32 v35, v35, v41
	v_add_f32_e32 v33, v39, v33
	v_dual_add_f32 v31, v38, v31 :: v_dual_mul_f32 v38, 0x3fb8aa3b, v30
	v_mul_f32_e32 v39, 0x3fb8aa3b, v32
	v_add_f32_e32 v36, v40, v36
	v_dual_mul_f32 v40, 0x3fb8aa3b, v34 :: v_dual_add_f32 v37, v41, v37
	v_mul_f32_e32 v41, 0x3fb8aa3b, v35
	v_fma_f32 v42, 0x3fb8aa3b, v30, -v38
	v_rndne_f32_e32 v43, v38
	v_fma_f32 v44, 0x3fb8aa3b, v32, -v39
	v_rndne_f32_e32 v45, v39
	;; [unrolled: 2-line block ×4, first 2 shown]
	v_dual_sub_f32 v39, v39, v45 :: v_dual_fmac_f32 v42, 0x32a5705f, v30
	v_sub_f32_e32 v38, v38, v43
	v_fmac_f32_e32 v44, 0x32a5705f, v32
	v_fmac_f32_e32 v46, 0x32a5705f, v34
	v_sub_f32_e32 v40, v40, v47
	v_dual_fmac_f32 v48, 0x32a5705f, v35 :: v_dual_sub_f32 v41, v41, v49
	s_delay_alu instid0(VALU_DEP_4) | instskip(NEXT) | instid1(VALU_DEP_3)
	v_dual_add_f32 v38, v38, v42 :: v_dual_add_f32 v39, v39, v44
	v_add_f32_e32 v40, v40, v46
	v_cvt_i32_f32_e32 v43, v43
	s_delay_alu instid0(VALU_DEP_4) | instskip(NEXT) | instid1(VALU_DEP_4)
	v_add_f32_e32 v41, v41, v48
	v_exp_f32_e32 v38, v38
	v_exp_f32_e32 v39, v39
	;; [unrolled: 1-line block ×3, first 2 shown]
	v_cvt_i32_f32_e32 v45, v45
	v_exp_f32_e32 v41, v41
	v_cvt_i32_f32_e32 v47, v47
	v_cvt_i32_f32_e32 v49, v49
	v_cmp_ngt_f32_e64 s13, 0xc2ce8ed0, v32
	v_cmp_ngt_f32_e64 s14, 0xc2ce8ed0, v34
	;; [unrolled: 1-line block ×3, first 2 shown]
	v_ldexp_f32 v38, v38, v43
	v_ldexp_f32 v39, v39, v45
	;; [unrolled: 1-line block ×3, first 2 shown]
	v_cmp_ngt_f32_e64 s16, 0xc2ce8ed0, v30
	v_ldexp_f32 v41, v41, v49
	s_delay_alu instid0(VALU_DEP_4) | instskip(SKIP_1) | instid1(VALU_DEP_4)
	v_cndmask_b32_e64 v39, 0, v39, s13
	v_cmp_nlt_f32_e64 s13, 0x42b17218, v32
	v_cndmask_b32_e64 v38, 0, v38, s16
	v_cndmask_b32_e64 v32, 0, v40, s14
	v_cmp_nlt_f32_e64 s14, 0x42b17218, v34
	v_cndmask_b32_e64 v34, 0, v41, s15
	v_cmp_nlt_f32_e64 s15, 0x42b17218, v35
	v_cmp_nlt_f32_e64 s16, 0x42b17218, v30
	v_cndmask_b32_e64 v35, 0x7f800000, v39, s13
	v_cndmask_b32_e64 v32, 0x7f800000, v32, s14
	s_delay_alu instid0(VALU_DEP_4) | instskip(NEXT) | instid1(VALU_DEP_4)
	v_cndmask_b32_e64 v34, 0x7f800000, v34, s15
	v_cndmask_b32_e64 v30, 0x7f800000, v38, s16
	s_delay_alu instid0(VALU_DEP_4)
	v_fma_f32 v33, v35, v33, v35
	v_cmp_class_f32_e64 s13, v35, 0x204
	v_fma_f32 v36, v32, v36, v32
	v_cmp_class_f32_e64 s14, v32, 0x204
	v_fma_f32 v31, v30, v31, v30
	v_fma_f32 v37, v34, v37, v34
	v_cmp_class_f32_e64 s15, v34, 0x204
	v_cmp_class_f32_e64 s16, v30, 0x204
	v_cndmask_b32_e64 v32, v36, v32, s14
	s_delay_alu instid0(VALU_DEP_2) | instskip(SKIP_2) | instid1(VALU_DEP_4)
	v_cndmask_b32_e64 v30, v31, v30, s16
	v_cndmask_b32_e64 v31, v33, v35, s13
	;; [unrolled: 1-line block ×3, first 2 shown]
	v_bfi_b32 v28, 0x7fffffff, v32, v28
	s_delay_alu instid0(VALU_DEP_4) | instskip(NEXT) | instid1(VALU_DEP_4)
	v_bfi_b32 v26, 0x7fffffff, v30, v26
	v_bfi_b32 v27, 0x7fffffff, v31, v27
	s_delay_alu instid0(VALU_DEP_4) | instskip(NEXT) | instid1(VALU_DEP_4)
	v_bfi_b32 v29, 0x7fffffff, v33, v29
	v_cndmask_b32_e64 v32, 0x7fc00000, v28, s8
	v_cmp_gt_f32_e64 s8, 0, v17
	v_cndmask_b32_e64 v30, 0x7fc00000, v26, s4
	v_cndmask_b32_e64 v31, 0x7fc00000, v27, s6
	v_cmp_gt_f32_e64 s4, 0, v15
	v_cmp_gt_f32_e64 s6, 0, v16
	v_cndmask_b32_e64 v33, 0x7fc00000, v29, s9
	v_cmp_gt_f32_e64 s9, 0, v11
	s_delay_alu instid0(VALU_DEP_4) | instskip(SKIP_2) | instid1(VALU_DEP_4)
	v_cndmask_b32_e64 v27, v27, v31, s4
	v_cmp_eq_f32_e64 s4, 0x7f800000, v12
	v_cndmask_b32_e64 v12, v28, v32, s6
	v_cndmask_b32_e64 v26, v26, v30, s9
	v_cmp_eq_f32_e64 s6, 0x7f800000, v13
	v_cndmask_b32_e64 v13, v29, v33, s8
	v_cmp_eq_f32_e64 s8, 0x7f800000, v14
	v_cmp_eq_f32_e64 s9, 0x7f800000, v10
	v_cndmask_b32_e64 v14, v27, v19, s4
	v_cndmask_b32_e64 v12, v12, v20, s6
	s_or_b32 s4, s5, s12
	v_cndmask_b32_e64 v13, v13, v21, s8
	v_cndmask_b32_e64 v10, v26, v18, s9
	s_add_u32 s33, s33, s50
	v_cndmask_b32_e64 v14, v14, v25, s2
	v_cndmask_b32_e64 v12, v12, v23, s3
	v_cmp_o_f32_e64 s2, v16, v5
	v_cndmask_b32_e32 v10, v10, v24, vcc_lo
	v_cmp_o_f32_e32 vcc_lo, v15, v4
	v_cndmask_b32_e64 v13, v13, v22, s4
	v_cmp_o_f32_e64 s3, v17, v6
	v_cmp_o_f32_e64 s4, v11, v3
	s_addc_u32 s42, s42, 0
	s_add_u32 s45, s45, s50
	s_addc_u32 s46, s46, 0
	s_add_u32 s43, s43, s50
	s_addc_u32 s44, s44, 0
	v_cndmask_b32_e64 v3, 0x7fc00000, v10, s4
	v_cndmask_b32_e32 v4, 0x7fc00000, v14, vcc_lo
	v_cndmask_b32_e64 v5, 0x7fc00000, v12, s2
	v_cndmask_b32_e64 v6, 0x7fc00000, v13, s3
	s_and_b32 s2, exec_lo, s52
	s_delay_alu instid0(SALU_CYCLE_1)
	s_or_b32 s48, s2, s48
	global_store_b128 v[7:8], v[3:6], off
	s_and_not1_b32 exec_lo, exec_lo, s48
	s_cbranch_execnz .LBB151_3
.LBB151_4:
	s_or_b32 exec_lo, exec_lo, s47
	s_mov_b32 s2, 0
.LBB151_5:
	s_delay_alu instid0(SALU_CYCLE_1)
	s_and_not1_b32 vcc_lo, exec_lo, s2
	s_cbranch_vccnz .LBB151_25
; %bb.6:
	v_cmp_lt_i64_e64 s2, s[34:35], 1
	s_delay_alu instid0(VALU_DEP_1)
	s_and_b32 vcc_lo, exec_lo, s2
	s_cbranch_vccnz .LBB151_25
; %bb.7:
	s_load_b32 s0, s[0:1], 0xc5c
	v_dual_mov_b32 v14, 0 :: v_dual_lshlrev_b32 v13, 2, v0
	v_cmp_gt_u64_e64 s1, 0x10000, s[34:35]
	s_mov_b64 s[10:11], 0
	s_mov_b32 s13, 0x3e76c4e1
	s_delay_alu instid0(VALU_DEP_2) | instskip(NEXT) | instid1(VALU_DEP_1)
	v_add_co_u32 v1, s2, s36, v13
	v_add_co_ci_u32_e64 v2, null, s37, 0, s2
	v_add_co_u32 v3, s2, s38, v13
	s_delay_alu instid0(VALU_DEP_1) | instskip(SKIP_1) | instid1(VALU_DEP_1)
	v_add_co_ci_u32_e64 v4, null, s39, 0, s2
	v_add_co_u32 v5, s2, s40, v13
	v_add_co_ci_u32_e64 v6, null, s41, 0, s2
	s_waitcnt lgkmcnt(0)
	s_and_b32 s0, s0, 0xffff
	s_and_b32 s1, s1, exec_lo
	v_mad_u64_u32 v[11:12], null, s0, 12, v[13:14]
	s_cselect_b32 s9, s35, 0
	s_cselect_b32 s8, s34, 0x10000
	s_mul_i32 s2, s0, 3
	s_lshl_b32 s3, s0, 3
	s_lshl_b32 s1, s0, 1
	v_add_co_u32 v20, s3, s3, v13
	v_add_co_u32 v13, s2, s2, v0
	v_add_co_u32 v7, vcc_lo, s36, v11
	v_add_co_ci_u32_e64 v14, null, 0, 0, s2
	v_add_co_u32 v19, s2, v0, s0
	v_add_co_ci_u32_e32 v8, vcc_lo, s37, v12, vcc_lo
	v_add_co_u32 v9, vcc_lo, s38, v11
	v_add_co_ci_u32_e32 v10, vcc_lo, s39, v12, vcc_lo
	v_add_co_u32 v11, vcc_lo, s40, v11
	v_add_co_ci_u32_e64 v21, null, 0, 0, s3
	v_lshlrev_b32_e32 v29, 2, v19
	v_add_co_ci_u32_e32 v12, vcc_lo, s41, v12, vcc_lo
	v_add_co_u32 v15, vcc_lo, s36, v20
	v_add_co_u32 v23, s1, s1, v0
	v_add_co_ci_u32_e32 v16, vcc_lo, s37, v21, vcc_lo
	v_add_co_ci_u32_e64 v24, null, 0, 0, s1
	v_add_co_u32 v25, s1, s36, v29
	v_add_co_u32 v17, vcc_lo, s38, v20
	v_add_co_ci_u32_e64 v26, null, s37, 0, s1
	v_add_co_u32 v27, s1, s38, v29
	v_add_co_ci_u32_e32 v18, vcc_lo, s39, v21, vcc_lo
	v_add_co_u32 v20, vcc_lo, s40, v20
	v_add_co_ci_u32_e64 v28, null, s39, 0, s1
	v_add_co_u32 v29, s1, s40, v29
	v_add_co_ci_u32_e32 v21, vcc_lo, s41, v21, vcc_lo
	v_add_co_ci_u32_e64 v22, null, 0, 0, s2
	v_add_co_ci_u32_e64 v30, null, s41, 0, s1
	s_lshl_b32 s7, s0, 2
	s_lshl_b32 s12, s0, 4
	s_branch .LBB151_9
.LBB151_8:                              ;   in Loop: Header=BB151_9 Depth=1
	s_or_b32 exec_lo, exec_lo, s4
	v_add_co_u32 v1, vcc_lo, v1, s12
	v_add_co_ci_u32_e32 v2, vcc_lo, 0, v2, vcc_lo
	v_add_co_u32 v3, vcc_lo, v3, s12
	v_add_co_ci_u32_e32 v4, vcc_lo, 0, v4, vcc_lo
	;; [unrolled: 2-line block ×9, first 2 shown]
	s_add_u32 s10, s10, s7
	v_add_co_u32 v25, vcc_lo, v25, s12
	s_addc_u32 s11, s11, 0
	v_add_co_ci_u32_e32 v26, vcc_lo, 0, v26, vcc_lo
	v_cmp_ge_i64_e64 s0, s[10:11], s[34:35]
	v_cmp_lt_u64_e64 s1, 0xffff, s[10:11]
	v_add_co_u32 v27, vcc_lo, v27, s12
	v_add_co_ci_u32_e32 v28, vcc_lo, 0, v28, vcc_lo
	v_add_co_u32 v29, vcc_lo, v29, s12
	v_add_co_ci_u32_e32 v30, vcc_lo, 0, v30, vcc_lo
	s_or_b32 s0, s0, s1
	s_delay_alu instid0(SALU_CYCLE_1)
	s_and_b32 vcc_lo, exec_lo, s0
	s_cbranch_vccnz .LBB151_25
.LBB151_9:                              ; =>This Inner Loop Header: Depth=1
	s_waitcnt vmcnt(1)
	v_add_co_u32 v31, s0, v0, s10
	s_delay_alu instid0(VALU_DEP_1) | instskip(SKIP_2) | instid1(VALU_DEP_2)
	v_add_co_ci_u32_e64 v32, null, 0, s11, s0
	s_waitcnt vmcnt(0)
	v_dual_mov_b32 v37, 0 :: v_dual_mov_b32 v38, 0
	v_cmp_gt_u64_e64 s2, s[8:9], v[31:32]
	s_delay_alu instid0(VALU_DEP_1)
	s_and_saveexec_b32 s0, s2
	s_cbranch_execz .LBB151_11
; %bb.10:                               ;   in Loop: Header=BB151_9 Depth=1
	v_add_co_u32 v31, vcc_lo, v1, s30
	v_add_co_ci_u32_e32 v32, vcc_lo, s31, v2, vcc_lo
	v_add_co_u32 v33, vcc_lo, v3, s30
	v_add_co_ci_u32_e32 v34, vcc_lo, s31, v4, vcc_lo
	global_load_b32 v37, v[31:32], off
	global_load_b32 v38, v[33:34], off
.LBB151_11:                             ;   in Loop: Header=BB151_9 Depth=1
	s_or_b32 exec_lo, exec_lo, s0
	v_add_co_u32 v33, vcc_lo, v19, s10
	v_add_co_ci_u32_e32 v34, vcc_lo, s11, v22, vcc_lo
	v_dual_mov_b32 v32, 0 :: v_dual_mov_b32 v35, 0
	v_mov_b32_e32 v36, 0
	s_delay_alu instid0(VALU_DEP_3) | instskip(NEXT) | instid1(VALU_DEP_1)
	v_cmp_gt_u64_e64 s1, s[8:9], v[33:34]
	s_and_saveexec_b32 s0, s1
	s_cbranch_execz .LBB151_13
; %bb.12:                               ;   in Loop: Header=BB151_9 Depth=1
	v_add_co_u32 v33, vcc_lo, v25, s30
	v_add_co_ci_u32_e32 v34, vcc_lo, s31, v26, vcc_lo
	v_add_co_u32 v39, vcc_lo, v27, s30
	v_add_co_ci_u32_e32 v40, vcc_lo, s31, v28, vcc_lo
	global_load_b32 v35, v[33:34], off
	global_load_b32 v36, v[39:40], off
.LBB151_13:                             ;   in Loop: Header=BB151_9 Depth=1
	s_or_b32 exec_lo, exec_lo, s0
	v_add_co_u32 v33, vcc_lo, v23, s10
	v_add_co_ci_u32_e32 v34, vcc_lo, s11, v24, vcc_lo
	s_delay_alu instid0(VALU_DEP_1) | instskip(SKIP_1) | instid1(VALU_DEP_2)
	v_cmp_gt_u64_e64 s0, s[8:9], v[33:34]
	v_mov_b32_e32 v34, 0
	s_and_saveexec_b32 s3, s0
	s_cbranch_execz .LBB151_15
; %bb.14:                               ;   in Loop: Header=BB151_9 Depth=1
	v_add_co_u32 v31, vcc_lo, v15, s30
	v_add_co_ci_u32_e32 v32, vcc_lo, s31, v16, vcc_lo
	v_add_co_u32 v33, vcc_lo, v17, s30
	v_add_co_ci_u32_e32 v34, vcc_lo, s31, v18, vcc_lo
	global_load_b32 v32, v[31:32], off
	global_load_b32 v34, v[33:34], off
.LBB151_15:                             ;   in Loop: Header=BB151_9 Depth=1
	s_or_b32 exec_lo, exec_lo, s3
	v_add_co_u32 v39, vcc_lo, v13, s10
	v_add_co_ci_u32_e32 v40, vcc_lo, s11, v14, vcc_lo
	v_mov_b32_e32 v31, 0
	v_mov_b32_e32 v33, 0
	s_delay_alu instid0(VALU_DEP_3)
	v_cmp_gt_u64_e32 vcc_lo, s[8:9], v[39:40]
	s_and_saveexec_b32 s4, vcc_lo
	s_cbranch_execnz .LBB151_20
; %bb.16:                               ;   in Loop: Header=BB151_9 Depth=1
	s_or_b32 exec_lo, exec_lo, s4
	s_and_saveexec_b32 s14, s2
	s_cbranch_execnz .LBB151_21
.LBB151_17:                             ;   in Loop: Header=BB151_9 Depth=1
	s_or_b32 exec_lo, exec_lo, s14
	s_and_saveexec_b32 s6, s1
	s_cbranch_execnz .LBB151_22
.LBB151_18:                             ;   in Loop: Header=BB151_9 Depth=1
	s_or_b32 exec_lo, exec_lo, s6
	s_and_saveexec_b32 s5, s0
	s_cbranch_execnz .LBB151_23
.LBB151_19:                             ;   in Loop: Header=BB151_9 Depth=1
	s_or_b32 exec_lo, exec_lo, s5
	s_and_saveexec_b32 s4, vcc_lo
	s_cbranch_execz .LBB151_8
	s_branch .LBB151_24
.LBB151_20:                             ;   in Loop: Header=BB151_9 Depth=1
	v_add_co_u32 v39, s3, v7, s30
	s_delay_alu instid0(VALU_DEP_1) | instskip(SKIP_1) | instid1(VALU_DEP_1)
	v_add_co_ci_u32_e64 v40, s3, s31, v8, s3
	v_add_co_u32 v41, s3, v9, s30
	v_add_co_ci_u32_e64 v42, s3, s31, v10, s3
	global_load_b32 v31, v[39:40], off
	global_load_b32 v33, v[41:42], off
	s_or_b32 exec_lo, exec_lo, s4
	s_and_saveexec_b32 s14, s2
	s_cbranch_execz .LBB151_17
.LBB151_21:                             ;   in Loop: Header=BB151_9 Depth=1
	s_waitcnt vmcnt(0)
	v_mul_f32_e32 v39, s29, v38
	v_cmp_eq_f32_e64 s2, 1.0, v37
	s_delay_alu instid0(VALU_DEP_1) | instskip(NEXT) | instid1(VALU_DEP_1)
	v_cndmask_b32_e64 v40, v39, 1.0, s2
	v_cmp_eq_f32_e64 s3, 0, v40
	v_cmp_gt_f32_e64 s5, 0, v40
	s_delay_alu instid0(VALU_DEP_2) | instskip(SKIP_1) | instid1(VALU_DEP_2)
	v_cndmask_b32_e64 v42, |v37|, 1.0, s3
	v_cndmask_b32_e64 v41, v37, 1.0, s3
	v_cvt_f64_f32_e32 v[37:38], v42
	s_delay_alu instid0(VALU_DEP_2) | instskip(NEXT) | instid1(VALU_DEP_2)
	v_cmp_eq_f32_e64 s6, 0, v41
	v_frexp_exp_i32_f64_e32 v37, v[37:38]
	v_frexp_mant_f32_e32 v38, v42
	s_delay_alu instid0(VALU_DEP_1) | instskip(NEXT) | instid1(VALU_DEP_1)
	v_cmp_gt_f32_e64 s3, 0x3f2aaaab, v38
	v_cndmask_b32_e64 v43, 1.0, 2.0, s3
	s_delay_alu instid0(VALU_DEP_1) | instskip(SKIP_1) | instid1(VALU_DEP_2)
	v_mul_f32_e32 v38, v38, v43
	v_cndmask_b32_e64 v39, |v39|, 1.0, s2
	v_add_f32_e32 v45, -1.0, v38
	v_add_f32_e32 v43, 1.0, v38
	s_delay_alu instid0(VALU_DEP_1) | instskip(SKIP_3) | instid1(VALU_DEP_2)
	v_rcp_f32_e32 v44, v43
	s_waitcnt_depctr 0xfff
	v_dual_mul_f32 v46, v45, v44 :: v_dual_add_f32 v47, -1.0, v43
	v_subrev_co_ci_u32_e64 v37, s4, 0, v37, s3
	v_mul_f32_e32 v48, v43, v46
	s_delay_alu instid0(VALU_DEP_3) | instskip(NEXT) | instid1(VALU_DEP_3)
	v_sub_f32_e32 v38, v38, v47
	v_cvt_f32_i32_e32 v37, v37
	s_delay_alu instid0(VALU_DEP_3) | instskip(NEXT) | instid1(VALU_DEP_1)
	v_fma_f32 v43, v46, v43, -v48
	v_fmac_f32_e32 v43, v46, v38
	s_delay_alu instid0(VALU_DEP_1) | instskip(NEXT) | instid1(VALU_DEP_1)
	v_add_f32_e32 v38, v48, v43
	v_dual_sub_f32 v47, v45, v38 :: v_dual_sub_f32 v48, v38, v48
	s_delay_alu instid0(VALU_DEP_1) | instskip(NEXT) | instid1(VALU_DEP_2)
	v_sub_f32_e32 v43, v48, v43
	v_sub_f32_e32 v45, v45, v47
	s_delay_alu instid0(VALU_DEP_1) | instskip(NEXT) | instid1(VALU_DEP_1)
	v_sub_f32_e32 v38, v45, v38
	v_add_f32_e32 v38, v43, v38
	s_delay_alu instid0(VALU_DEP_1) | instskip(NEXT) | instid1(VALU_DEP_1)
	v_add_f32_e32 v38, v47, v38
	v_mul_f32_e32 v38, v44, v38
	s_delay_alu instid0(VALU_DEP_1) | instskip(NEXT) | instid1(VALU_DEP_1)
	v_add_f32_e32 v43, v46, v38
	v_mul_f32_e32 v45, v43, v43
	v_sub_f32_e32 v44, v43, v46
	s_delay_alu instid0(VALU_DEP_1) | instskip(NEXT) | instid1(VALU_DEP_3)
	v_sub_f32_e32 v38, v38, v44
	v_fma_f32 v44, v43, v43, -v45
	s_delay_alu instid0(VALU_DEP_2) | instskip(NEXT) | instid1(VALU_DEP_1)
	v_add_f32_e32 v46, v38, v38
	v_fmac_f32_e32 v44, v43, v46
	s_delay_alu instid0(VALU_DEP_1) | instskip(NEXT) | instid1(VALU_DEP_1)
	v_add_f32_e32 v46, v45, v44
	v_fmaak_f32 v47, s13, v46, 0x3e91f4c4
	v_sub_f32_e32 v45, v46, v45
	s_delay_alu instid0(VALU_DEP_1) | instskip(NEXT) | instid1(VALU_DEP_1)
	v_dual_fmaak_f32 v47, v46, v47, 0x3ecccdef :: v_dual_sub_f32 v44, v44, v45
	v_mul_f32_e32 v48, v46, v47
	s_delay_alu instid0(VALU_DEP_1) | instskip(NEXT) | instid1(VALU_DEP_1)
	v_fma_f32 v45, v46, v47, -v48
	v_dual_fmac_f32 v45, v44, v47 :: v_dual_mul_f32 v50, v43, v46
	s_delay_alu instid0(VALU_DEP_1) | instskip(NEXT) | instid1(VALU_DEP_2)
	v_add_f32_e32 v47, v48, v45
	v_fma_f32 v51, v46, v43, -v50
	s_delay_alu instid0(VALU_DEP_1) | instskip(SKIP_2) | instid1(VALU_DEP_3)
	v_dual_sub_f32 v48, v47, v48 :: v_dual_fmac_f32 v51, v46, v38
	v_add_f32_e32 v49, 0x3f2aaaaa, v47
	v_ldexp_f32 v38, v38, 1
	v_sub_f32_e32 v45, v45, v48
	s_delay_alu instid0(VALU_DEP_4) | instskip(SKIP_1) | instid1(VALU_DEP_3)
	v_fmac_f32_e32 v51, v44, v43
	v_ldexp_f32 v43, v43, 1
	v_add_f32_e32 v45, 0x31739010, v45
	v_add_f32_e32 v48, 0xbf2aaaaa, v49
	s_delay_alu instid0(VALU_DEP_1) | instskip(NEXT) | instid1(VALU_DEP_1)
	v_sub_f32_e32 v47, v47, v48
	v_add_f32_e32 v45, v45, v47
	s_delay_alu instid0(VALU_DEP_1) | instskip(NEXT) | instid1(VALU_DEP_1)
	v_add_f32_e32 v44, v49, v45
	v_dual_add_f32 v46, v50, v51 :: v_dual_sub_f32 v47, v49, v44
	s_delay_alu instid0(VALU_DEP_1) | instskip(SKIP_1) | instid1(VALU_DEP_3)
	v_mul_f32_e32 v48, v46, v44
	v_sub_f32_e32 v49, v46, v50
	v_add_f32_e32 v45, v45, v47
	s_delay_alu instid0(VALU_DEP_3) | instskip(NEXT) | instid1(VALU_DEP_3)
	v_fma_f32 v47, v46, v44, -v48
	v_sub_f32_e32 v49, v51, v49
	s_delay_alu instid0(VALU_DEP_2) | instskip(NEXT) | instid1(VALU_DEP_1)
	v_fmac_f32_e32 v47, v46, v45
	v_fmac_f32_e32 v47, v49, v44
	s_delay_alu instid0(VALU_DEP_1) | instskip(NEXT) | instid1(VALU_DEP_1)
	v_add_f32_e32 v44, v48, v47
	v_sub_f32_e32 v45, v44, v48
	v_add_f32_e32 v46, v43, v44
	v_mul_f32_e32 v48, 0x3f317218, v37
	s_delay_alu instid0(VALU_DEP_3) | instskip(NEXT) | instid1(VALU_DEP_3)
	v_sub_f32_e32 v45, v47, v45
	v_sub_f32_e32 v43, v46, v43
	s_delay_alu instid0(VALU_DEP_3) | instskip(NEXT) | instid1(VALU_DEP_2)
	v_fma_f32 v47, 0x3f317218, v37, -v48
	v_dual_add_f32 v38, v38, v45 :: v_dual_sub_f32 v43, v44, v43
	s_delay_alu instid0(VALU_DEP_2) | instskip(NEXT) | instid1(VALU_DEP_2)
	v_fmac_f32_e32 v47, 0xb102e308, v37
	v_add_f32_e32 v37, v38, v43
	s_delay_alu instid0(VALU_DEP_1) | instskip(NEXT) | instid1(VALU_DEP_1)
	v_dual_add_f32 v38, v48, v47 :: v_dual_add_f32 v43, v46, v37
	v_sub_f32_e32 v48, v38, v48
	s_delay_alu instid0(VALU_DEP_2) | instskip(SKIP_1) | instid1(VALU_DEP_2)
	v_add_f32_e32 v44, v38, v43
	v_sub_f32_e32 v46, v43, v46
	v_sub_f32_e32 v45, v44, v38
	s_delay_alu instid0(VALU_DEP_2) | instskip(NEXT) | instid1(VALU_DEP_2)
	v_sub_f32_e32 v37, v37, v46
	v_sub_f32_e32 v49, v44, v45
	s_delay_alu instid0(VALU_DEP_1) | instskip(SKIP_1) | instid1(VALU_DEP_1)
	v_sub_f32_e32 v38, v38, v49
	v_sub_f32_e32 v43, v43, v45
	v_add_f32_e32 v38, v43, v38
	v_sub_f32_e32 v47, v47, v48
	s_delay_alu instid0(VALU_DEP_1) | instskip(NEXT) | instid1(VALU_DEP_1)
	v_add_f32_e32 v45, v47, v37
	v_add_f32_e32 v38, v45, v38
	s_delay_alu instid0(VALU_DEP_1) | instskip(NEXT) | instid1(VALU_DEP_1)
	v_dual_sub_f32 v43, v45, v47 :: v_dual_add_f32 v46, v44, v38
	v_dual_sub_f32 v45, v45, v43 :: v_dual_sub_f32 v44, v46, v44
	s_delay_alu instid0(VALU_DEP_1) | instskip(NEXT) | instid1(VALU_DEP_2)
	v_dual_sub_f32 v38, v38, v44 :: v_dual_sub_f32 v37, v37, v43
	v_sub_f32_e32 v43, v47, v45
	s_delay_alu instid0(VALU_DEP_1) | instskip(NEXT) | instid1(VALU_DEP_1)
	v_add_f32_e32 v37, v37, v43
	v_add_f32_e32 v37, v37, v38
	s_delay_alu instid0(VALU_DEP_1) | instskip(NEXT) | instid1(VALU_DEP_1)
	v_add_f32_e32 v38, v46, v37
	v_sub_f32_e32 v43, v38, v46
	s_delay_alu instid0(VALU_DEP_1) | instskip(NEXT) | instid1(VALU_DEP_1)
	v_dual_mul_f32 v44, v40, v38 :: v_dual_sub_f32 v37, v37, v43
	v_fma_f32 v38, v40, v38, -v44
	v_cmp_class_f32_e64 s3, v44, 0x204
	s_delay_alu instid0(VALU_DEP_2) | instskip(NEXT) | instid1(VALU_DEP_1)
	v_fmac_f32_e32 v38, v40, v37
	v_add_f32_e32 v37, v44, v38
	s_delay_alu instid0(VALU_DEP_1) | instskip(SKIP_1) | instid1(VALU_DEP_2)
	v_cndmask_b32_e64 v43, v37, v44, s3
	v_sub_f32_e32 v37, v37, v44
	v_cmp_eq_f32_e64 s3, 0x42b17218, v43
	s_delay_alu instid0(VALU_DEP_2) | instskip(SKIP_1) | instid1(VALU_DEP_3)
	v_sub_f32_e32 v37, v38, v37
	v_trunc_f32_e32 v38, v40
	v_cndmask_b32_e64 v45, 0, 0x37000000, s3
	v_cmp_neq_f32_e64 s3, 0x7f800000, |v43|
	s_delay_alu instid0(VALU_DEP_2) | instskip(NEXT) | instid1(VALU_DEP_2)
	v_sub_f32_e32 v46, v43, v45
	v_cndmask_b32_e64 v37, 0, v37, s3
	s_delay_alu instid0(VALU_DEP_2) | instskip(SKIP_2) | instid1(VALU_DEP_4)
	v_mul_f32_e32 v47, 0x3fb8aa3b, v46
	v_cmp_ngt_f32_e64 s3, 0xc2ce8ed0, v46
	v_cmp_nlt_f32_e64 s4, 0x42b17218, v46
	v_add_f32_e32 v37, v45, v37
	s_delay_alu instid0(VALU_DEP_4) | instskip(SKIP_1) | instid1(VALU_DEP_1)
	v_fma_f32 v48, 0x3fb8aa3b, v46, -v47
	v_rndne_f32_e32 v49, v47
	v_dual_fmac_f32 v48, 0x32a5705f, v46 :: v_dual_sub_f32 v47, v47, v49
	v_cvt_i32_f32_e32 v44, v49
	s_delay_alu instid0(VALU_DEP_2) | instskip(NEXT) | instid1(VALU_DEP_1)
	v_add_f32_e32 v47, v47, v48
	v_exp_f32_e32 v47, v47
	s_waitcnt_depctr 0xfff
	v_ldexp_f32 v44, v47, v44
	v_mul_f32_e32 v47, 0.5, v40
	s_delay_alu instid0(VALU_DEP_2) | instskip(NEXT) | instid1(VALU_DEP_2)
	v_cndmask_b32_e64 v43, 0, v44, s3
	v_trunc_f32_e32 v44, v47
	v_cmp_eq_f32_e64 s3, v38, v40
	s_delay_alu instid0(VALU_DEP_3) | instskip(NEXT) | instid1(VALU_DEP_3)
	v_cndmask_b32_e64 v38, 0x7f800000, v43, s4
	v_cmp_neq_f32_e64 s4, v44, v47
	s_delay_alu instid0(VALU_DEP_2) | instskip(NEXT) | instid1(VALU_DEP_2)
	v_fma_f32 v37, v38, v37, v38
	s_and_b32 s2, s3, s4
	v_cmp_gt_f32_e64 s4, 1.0, v42
	v_cndmask_b32_e64 v43, 0, v41, s2
	v_cndmask_b32_e64 v44, 1.0, v41, s2
	v_cmp_class_f32_e64 s2, v38, 0x204
	s_delay_alu instid0(VALU_DEP_1) | instskip(SKIP_1) | instid1(VALU_DEP_2)
	v_cndmask_b32_e64 v37, v37, v38, s2
	v_cmp_neq_f32_e64 s2, v40, v39
	v_bfi_b32 v37, 0x7fffffff, v37, v44
	s_delay_alu instid0(VALU_DEP_2) | instskip(NEXT) | instid1(SALU_CYCLE_1)
	s_xor_b32 s2, s2, s4
	v_cndmask_b32_e64 v38, v39, 0, s2
	s_xor_b32 s2, s5, s6
	s_delay_alu instid0(VALU_DEP_2) | instskip(SKIP_3) | instid1(VALU_DEP_2)
	v_cndmask_b32_e64 v44, 0x7fc00000, v37, s3
	v_cndmask_b32_e64 v45, 0x7f800000, 0, s2
	v_cmp_eq_f32_e64 s2, 1.0, v42
	v_cmp_eq_f32_e64 s3, 0x7f800000, v39
	v_cndmask_b32_e64 v38, v38, v42, s2
	v_cmp_gt_f32_e64 s2, 0, v41
	s_delay_alu instid0(VALU_DEP_1) | instskip(SKIP_2) | instid1(VALU_DEP_3)
	v_cndmask_b32_e64 v37, v37, v44, s2
	v_cmp_eq_f32_e64 s2, 0x7f800000, v42
	v_bfi_b32 v42, 0x7fffffff, v45, v43
	v_cndmask_b32_e64 v37, v37, v38, s3
	s_delay_alu instid0(VALU_DEP_3)
	s_or_b32 s2, s2, s6
	s_delay_alu instid0(VALU_DEP_1) | instid1(SALU_CYCLE_1)
	v_cndmask_b32_e64 v37, v37, v42, s2
	v_cmp_o_f32_e64 s2, v41, v40
	s_delay_alu instid0(VALU_DEP_1) | instskip(SKIP_1) | instid1(VALU_DEP_1)
	v_cndmask_b32_e64 v39, 0x7fc00000, v37, s2
	v_add_co_u32 v37, s2, v5, s30
	v_add_co_ci_u32_e64 v38, s2, s31, v6, s2
	global_store_b32 v[37:38], v39, off
	s_or_b32 exec_lo, exec_lo, s14
	s_and_saveexec_b32 s6, s1
	s_cbranch_execz .LBB151_18
.LBB151_22:                             ;   in Loop: Header=BB151_9 Depth=1
	s_waitcnt vmcnt(0)
	v_mul_f32_e32 v38, s29, v36
	v_cmp_eq_f32_e64 s2, 1.0, v35
	s_delay_alu instid0(VALU_DEP_1) | instskip(NEXT) | instid1(VALU_DEP_1)
	v_cndmask_b32_e64 v39, v38, 1.0, s2
	v_cmp_eq_f32_e64 s1, 0, v39
	s_delay_alu instid0(VALU_DEP_1) | instskip(SKIP_1) | instid1(VALU_DEP_2)
	v_cndmask_b32_e64 v40, |v35|, 1.0, s1
	v_cndmask_b32_e64 v35, v35, 1.0, s1
	v_frexp_mant_f32_e32 v36, v40
	v_cmp_gt_f32_e64 s4, 1.0, v40
	s_delay_alu instid0(VALU_DEP_2) | instskip(NEXT) | instid1(VALU_DEP_1)
	v_cmp_gt_f32_e64 s3, 0x3f2aaaab, v36
	v_cndmask_b32_e64 v37, 1.0, 2.0, s3
	s_delay_alu instid0(VALU_DEP_1) | instskip(NEXT) | instid1(VALU_DEP_1)
	v_mul_f32_e32 v36, v36, v37
	v_add_f32_e32 v37, 1.0, v36
	v_add_f32_e32 v42, -1.0, v36
	s_delay_alu instid0(VALU_DEP_2) | instskip(SKIP_2) | instid1(VALU_DEP_1)
	v_rcp_f32_e32 v41, v37
	s_waitcnt_depctr 0xfff
	v_mul_f32_e32 v43, v42, v41
	v_dual_add_f32 v44, -1.0, v37 :: v_dual_mul_f32 v45, v37, v43
	s_delay_alu instid0(VALU_DEP_1) | instskip(NEXT) | instid1(VALU_DEP_2)
	v_sub_f32_e32 v36, v36, v44
	v_fma_f32 v37, v43, v37, -v45
	s_delay_alu instid0(VALU_DEP_1) | instskip(NEXT) | instid1(VALU_DEP_1)
	v_fmac_f32_e32 v37, v43, v36
	v_add_f32_e32 v36, v45, v37
	s_delay_alu instid0(VALU_DEP_1) | instskip(NEXT) | instid1(VALU_DEP_1)
	v_dual_sub_f32 v45, v36, v45 :: v_dual_sub_f32 v44, v42, v36
	v_dual_sub_f32 v37, v45, v37 :: v_dual_sub_f32 v42, v42, v44
	s_delay_alu instid0(VALU_DEP_1) | instskip(NEXT) | instid1(VALU_DEP_1)
	v_sub_f32_e32 v36, v42, v36
	v_add_f32_e32 v36, v37, v36
	s_delay_alu instid0(VALU_DEP_1) | instskip(NEXT) | instid1(VALU_DEP_1)
	v_add_f32_e32 v36, v44, v36
	v_mul_f32_e32 v36, v41, v36
	s_delay_alu instid0(VALU_DEP_1) | instskip(NEXT) | instid1(VALU_DEP_1)
	v_add_f32_e32 v41, v43, v36
	v_sub_f32_e32 v37, v41, v43
	v_mul_f32_e32 v42, v41, v41
	s_delay_alu instid0(VALU_DEP_2) | instskip(NEXT) | instid1(VALU_DEP_2)
	v_sub_f32_e32 v43, v36, v37
	v_fma_f32 v44, v41, v41, -v42
	s_delay_alu instid0(VALU_DEP_2) | instskip(NEXT) | instid1(VALU_DEP_1)
	v_add_f32_e32 v36, v43, v43
	v_fmac_f32_e32 v44, v41, v36
	v_cvt_f64_f32_e32 v[36:37], v40
	s_delay_alu instid0(VALU_DEP_2) | instskip(NEXT) | instid1(VALU_DEP_1)
	v_add_f32_e32 v45, v42, v44
	v_fmaak_f32 v46, s13, v45, 0x3e91f4c4
	v_sub_f32_e32 v42, v45, v42
	v_mul_f32_e32 v49, v41, v45
	s_delay_alu instid0(VALU_DEP_3) | instskip(NEXT) | instid1(VALU_DEP_3)
	v_fmaak_f32 v46, v45, v46, 0x3ecccdef
	v_sub_f32_e32 v42, v44, v42
	s_delay_alu instid0(VALU_DEP_2) | instskip(NEXT) | instid1(VALU_DEP_1)
	v_mul_f32_e32 v47, v45, v46
	v_fma_f32 v44, v45, v46, -v47
	s_delay_alu instid0(VALU_DEP_1) | instskip(NEXT) | instid1(VALU_DEP_1)
	v_fmac_f32_e32 v44, v42, v46
	v_add_f32_e32 v46, v47, v44
	v_frexp_exp_i32_f64_e32 v36, v[36:37]
	s_delay_alu instid0(VALU_DEP_2) | instskip(NEXT) | instid1(VALU_DEP_1)
	v_sub_f32_e32 v47, v46, v47
	v_sub_f32_e32 v37, v44, v47
	v_fma_f32 v47, v45, v41, -v49
	s_delay_alu instid0(VALU_DEP_2) | instskip(NEXT) | instid1(VALU_DEP_2)
	v_add_f32_e32 v37, 0x31739010, v37
	v_dual_add_f32 v48, 0x3f2aaaaa, v46 :: v_dual_fmac_f32 v47, v45, v43
	v_ldexp_f32 v43, v43, 1
	s_delay_alu instid0(VALU_DEP_2) | instskip(NEXT) | instid1(VALU_DEP_1)
	v_dual_add_f32 v44, 0xbf2aaaaa, v48 :: v_dual_fmac_f32 v47, v42, v41
	v_sub_f32_e32 v44, v46, v44
	s_delay_alu instid0(VALU_DEP_1) | instskip(NEXT) | instid1(VALU_DEP_3)
	v_add_f32_e32 v37, v37, v44
	v_add_f32_e32 v44, v49, v47
	s_delay_alu instid0(VALU_DEP_2) | instskip(NEXT) | instid1(VALU_DEP_1)
	v_add_f32_e32 v42, v48, v37
	v_sub_f32_e32 v45, v48, v42
	s_delay_alu instid0(VALU_DEP_3) | instskip(SKIP_1) | instid1(VALU_DEP_3)
	v_mul_f32_e32 v46, v44, v42
	v_subrev_co_ci_u32_e64 v36, s3, 0, v36, s3
	v_add_f32_e32 v37, v37, v45
	s_delay_alu instid0(VALU_DEP_3) | instskip(NEXT) | instid1(VALU_DEP_3)
	v_fma_f32 v45, v44, v42, -v46
	v_cvt_f32_i32_e32 v36, v36
	v_sub_f32_e32 v48, v44, v49
	s_delay_alu instid0(VALU_DEP_3) | instskip(SKIP_1) | instid1(VALU_DEP_3)
	v_fmac_f32_e32 v45, v44, v37
	v_ldexp_f32 v37, v41, 1
	v_sub_f32_e32 v47, v47, v48
	s_delay_alu instid0(VALU_DEP_1) | instskip(NEXT) | instid1(VALU_DEP_1)
	v_fmac_f32_e32 v45, v47, v42
	v_add_f32_e32 v41, v46, v45
	s_delay_alu instid0(VALU_DEP_1) | instskip(NEXT) | instid1(VALU_DEP_1)
	v_add_f32_e32 v42, v37, v41
	v_dual_sub_f32 v37, v42, v37 :: v_dual_sub_f32 v44, v41, v46
	s_delay_alu instid0(VALU_DEP_1) | instskip(NEXT) | instid1(VALU_DEP_2)
	v_dual_mul_f32 v46, 0x3f317218, v36 :: v_dual_sub_f32 v37, v41, v37
	v_sub_f32_e32 v44, v45, v44
	s_delay_alu instid0(VALU_DEP_2) | instskip(NEXT) | instid1(VALU_DEP_2)
	v_fma_f32 v45, 0x3f317218, v36, -v46
	v_add_f32_e32 v41, v43, v44
	s_delay_alu instid0(VALU_DEP_1) | instskip(NEXT) | instid1(VALU_DEP_1)
	v_dual_fmac_f32 v45, 0xb102e308, v36 :: v_dual_add_f32 v36, v41, v37
	v_add_f32_e32 v37, v46, v45
	s_delay_alu instid0(VALU_DEP_2) | instskip(NEXT) | instid1(VALU_DEP_1)
	v_add_f32_e32 v41, v42, v36
	v_add_f32_e32 v43, v37, v41
	v_sub_f32_e32 v46, v37, v46
	s_delay_alu instid0(VALU_DEP_1) | instskip(NEXT) | instid1(VALU_DEP_1)
	v_dual_sub_f32 v44, v43, v37 :: v_dual_sub_f32 v45, v45, v46
	v_dual_sub_f32 v47, v43, v44 :: v_dual_sub_f32 v42, v41, v42
	s_delay_alu instid0(VALU_DEP_1) | instskip(NEXT) | instid1(VALU_DEP_2)
	v_dual_sub_f32 v41, v41, v44 :: v_dual_sub_f32 v36, v36, v42
	v_sub_f32_e32 v37, v37, v47
	s_delay_alu instid0(VALU_DEP_2) | instskip(NEXT) | instid1(VALU_DEP_2)
	v_add_f32_e32 v42, v45, v36
	v_add_f32_e32 v37, v41, v37
	s_delay_alu instid0(VALU_DEP_2) | instskip(NEXT) | instid1(VALU_DEP_2)
	v_sub_f32_e32 v41, v42, v45
	v_add_f32_e32 v37, v42, v37
	s_delay_alu instid0(VALU_DEP_2) | instskip(NEXT) | instid1(VALU_DEP_2)
	v_sub_f32_e32 v42, v42, v41
	v_add_f32_e32 v44, v43, v37
	s_delay_alu instid0(VALU_DEP_2) | instskip(NEXT) | instid1(VALU_DEP_2)
	v_dual_sub_f32 v36, v36, v41 :: v_dual_sub_f32 v41, v45, v42
	v_sub_f32_e32 v42, v44, v43
	s_delay_alu instid0(VALU_DEP_1) | instskip(NEXT) | instid1(VALU_DEP_1)
	v_dual_add_f32 v36, v36, v41 :: v_dual_sub_f32 v37, v37, v42
	v_add_f32_e32 v36, v36, v37
	s_delay_alu instid0(VALU_DEP_1) | instskip(NEXT) | instid1(VALU_DEP_1)
	v_add_f32_e32 v37, v44, v36
	v_dual_sub_f32 v41, v37, v44 :: v_dual_mul_f32 v42, v39, v37
	s_delay_alu instid0(VALU_DEP_1) | instskip(NEXT) | instid1(VALU_DEP_2)
	v_sub_f32_e32 v36, v36, v41
	v_fma_f32 v37, v39, v37, -v42
	v_cmp_class_f32_e64 s3, v42, 0x204
	s_delay_alu instid0(VALU_DEP_2) | instskip(NEXT) | instid1(VALU_DEP_1)
	v_fmac_f32_e32 v37, v39, v36
	v_add_f32_e32 v36, v42, v37
	s_delay_alu instid0(VALU_DEP_1) | instskip(NEXT) | instid1(VALU_DEP_1)
	v_cndmask_b32_e64 v41, v36, v42, s3
	v_cmp_eq_f32_e64 s3, 0x42b17218, v41
	s_delay_alu instid0(VALU_DEP_1) | instskip(NEXT) | instid1(VALU_DEP_1)
	v_cndmask_b32_e64 v43, 0, 0x37000000, s3
	v_sub_f32_e32 v44, v41, v43
	s_delay_alu instid0(VALU_DEP_1) | instskip(NEXT) | instid1(VALU_DEP_1)
	v_mul_f32_e32 v45, 0x3fb8aa3b, v44
	v_fma_f32 v46, 0x3fb8aa3b, v44, -v45
	v_rndne_f32_e32 v47, v45
	s_delay_alu instid0(VALU_DEP_1) | instskip(SKIP_2) | instid1(VALU_DEP_3)
	v_dual_fmac_f32 v46, 0x32a5705f, v44 :: v_dual_sub_f32 v45, v45, v47
	v_sub_f32_e32 v36, v36, v42
	v_cvt_i32_f32_e32 v42, v47
	v_add_f32_e32 v45, v45, v46
	s_delay_alu instid0(VALU_DEP_3) | instskip(SKIP_4) | instid1(VALU_DEP_3)
	v_sub_f32_e32 v36, v37, v36
	v_cndmask_b32_e64 v37, |v38|, 1.0, s2
	v_cmp_neq_f32_e64 s2, 0x7f800000, |v41|
	v_trunc_f32_e32 v41, v39
	v_exp_f32_e32 v45, v45
	v_cmp_neq_f32_e64 s1, v39, v37
	s_delay_alu instid0(VALU_DEP_3) | instskip(SKIP_1) | instid1(VALU_DEP_3)
	v_cndmask_b32_e64 v36, 0, v36, s2
	v_cmp_ngt_f32_e64 s2, 0xc2ce8ed0, v44
	s_xor_b32 s1, s1, s4
	s_delay_alu instid0(VALU_DEP_2) | instskip(SKIP_4) | instid1(VALU_DEP_2)
	v_add_f32_e32 v36, v43, v36
	v_cmp_eq_f32_e64 s4, 1.0, v40
	s_waitcnt_depctr 0xfff
	v_ldexp_f32 v38, v45, v42
	v_mul_f32_e32 v42, 0.5, v39
	v_cndmask_b32_e64 v38, 0, v38, s2
	v_cmp_nlt_f32_e64 s2, 0x42b17218, v44
	s_delay_alu instid0(VALU_DEP_3) | instskip(NEXT) | instid1(VALU_DEP_2)
	v_trunc_f32_e32 v45, v42
	v_cndmask_b32_e64 v38, 0x7f800000, v38, s2
	v_cmp_eq_f32_e64 s2, v41, v39
	s_delay_alu instid0(VALU_DEP_3) | instskip(NEXT) | instid1(VALU_DEP_3)
	v_cmp_neq_f32_e64 s3, v45, v42
	v_fma_f32 v36, v38, v36, v38
	v_cmp_class_f32_e64 s5, v38, 0x204
	s_delay_alu instid0(VALU_DEP_3) | instskip(NEXT) | instid1(SALU_CYCLE_1)
	s_and_b32 s3, s2, s3
	v_cndmask_b32_e64 v41, 1.0, v35, s3
	v_cndmask_b32_e64 v43, 0, v35, s3
	s_delay_alu instid0(VALU_DEP_3)
	v_cndmask_b32_e64 v36, v36, v38, s5
	v_cmp_gt_f32_e64 s5, 0, v39
	v_cndmask_b32_e64 v38, v37, 0, s1
	v_cmp_eq_f32_e64 s1, 0, v35
	v_cmp_eq_f32_e64 s3, 0x7f800000, v37
	v_bfi_b32 v36, 0x7fffffff, v36, v41
	s_delay_alu instid0(VALU_DEP_4) | instskip(NEXT) | instid1(VALU_DEP_2)
	v_cndmask_b32_e64 v38, v38, v40, s4
	v_cndmask_b32_e64 v41, 0x7fc00000, v36, s2
	s_xor_b32 s2, s5, s1
	s_delay_alu instid0(SALU_CYCLE_1) | instskip(SKIP_1) | instid1(VALU_DEP_1)
	v_cndmask_b32_e64 v42, 0x7f800000, 0, s2
	v_cmp_gt_f32_e64 s2, 0, v35
	v_cndmask_b32_e64 v36, v36, v41, s2
	v_cmp_eq_f32_e64 s2, 0x7f800000, v40
	s_delay_alu instid0(VALU_DEP_4) | instskip(NEXT) | instid1(VALU_DEP_3)
	v_bfi_b32 v40, 0x7fffffff, v42, v43
	v_cndmask_b32_e64 v36, v36, v38, s3
	s_delay_alu instid0(VALU_DEP_3)
	s_or_b32 s1, s2, s1
	s_delay_alu instid0(VALU_DEP_1) | instid1(SALU_CYCLE_1)
	v_cndmask_b32_e64 v36, v36, v40, s1
	v_cmp_o_f32_e64 s1, v35, v39
	s_delay_alu instid0(VALU_DEP_1) | instskip(SKIP_1) | instid1(VALU_DEP_1)
	v_cndmask_b32_e64 v37, 0x7fc00000, v36, s1
	v_add_co_u32 v35, s1, v29, s30
	v_add_co_ci_u32_e64 v36, s1, s31, v30, s1
	global_store_b32 v[35:36], v37, off
	s_or_b32 exec_lo, exec_lo, s6
	s_and_saveexec_b32 s5, s0
	s_cbranch_execz .LBB151_19
.LBB151_23:                             ;   in Loop: Header=BB151_9 Depth=1
	s_waitcnt vmcnt(0)
	v_mul_f32_e32 v36, s29, v34
	v_cmp_eq_f32_e64 s1, 1.0, v32
	s_delay_alu instid0(VALU_DEP_1) | instskip(NEXT) | instid1(VALU_DEP_1)
	v_cndmask_b32_e64 v37, v36, 1.0, s1
	v_cmp_eq_f32_e64 s0, 0, v37
	s_delay_alu instid0(VALU_DEP_1) | instskip(SKIP_1) | instid1(VALU_DEP_2)
	v_cndmask_b32_e64 v38, |v32|, 1.0, s0
	v_cndmask_b32_e64 v32, v32, 1.0, s0
	v_frexp_mant_f32_e32 v34, v38
	v_cmp_gt_f32_e64 s3, 1.0, v38
	s_delay_alu instid0(VALU_DEP_2) | instskip(NEXT) | instid1(VALU_DEP_1)
	v_cmp_gt_f32_e64 s2, 0x3f2aaaab, v34
	v_cndmask_b32_e64 v35, 1.0, 2.0, s2
	s_delay_alu instid0(VALU_DEP_1) | instskip(NEXT) | instid1(VALU_DEP_1)
	v_mul_f32_e32 v34, v34, v35
	v_add_f32_e32 v35, 1.0, v34
	v_add_f32_e32 v40, -1.0, v34
	s_delay_alu instid0(VALU_DEP_2) | instskip(SKIP_2) | instid1(VALU_DEP_1)
	v_rcp_f32_e32 v39, v35
	s_waitcnt_depctr 0xfff
	v_mul_f32_e32 v41, v40, v39
	v_dual_add_f32 v42, -1.0, v35 :: v_dual_mul_f32 v43, v35, v41
	s_delay_alu instid0(VALU_DEP_1) | instskip(NEXT) | instid1(VALU_DEP_2)
	v_sub_f32_e32 v34, v34, v42
	v_fma_f32 v35, v41, v35, -v43
	s_delay_alu instid0(VALU_DEP_1) | instskip(NEXT) | instid1(VALU_DEP_1)
	v_fmac_f32_e32 v35, v41, v34
	v_add_f32_e32 v34, v43, v35
	s_delay_alu instid0(VALU_DEP_1) | instskip(NEXT) | instid1(VALU_DEP_1)
	v_dual_sub_f32 v43, v34, v43 :: v_dual_sub_f32 v42, v40, v34
	v_dual_sub_f32 v35, v43, v35 :: v_dual_sub_f32 v40, v40, v42
	s_delay_alu instid0(VALU_DEP_1) | instskip(NEXT) | instid1(VALU_DEP_1)
	v_sub_f32_e32 v34, v40, v34
	v_add_f32_e32 v34, v35, v34
	s_delay_alu instid0(VALU_DEP_1) | instskip(NEXT) | instid1(VALU_DEP_1)
	v_add_f32_e32 v34, v42, v34
	v_mul_f32_e32 v34, v39, v34
	s_delay_alu instid0(VALU_DEP_1) | instskip(NEXT) | instid1(VALU_DEP_1)
	v_add_f32_e32 v39, v41, v34
	v_sub_f32_e32 v35, v39, v41
	v_mul_f32_e32 v40, v39, v39
	s_delay_alu instid0(VALU_DEP_2) | instskip(NEXT) | instid1(VALU_DEP_2)
	v_sub_f32_e32 v41, v34, v35
	v_fma_f32 v42, v39, v39, -v40
	s_delay_alu instid0(VALU_DEP_2) | instskip(NEXT) | instid1(VALU_DEP_1)
	v_add_f32_e32 v34, v41, v41
	v_fmac_f32_e32 v42, v39, v34
	v_cvt_f64_f32_e32 v[34:35], v38
	s_delay_alu instid0(VALU_DEP_2) | instskip(NEXT) | instid1(VALU_DEP_1)
	v_add_f32_e32 v43, v40, v42
	v_fmaak_f32 v44, s13, v43, 0x3e91f4c4
	v_sub_f32_e32 v40, v43, v40
	v_mul_f32_e32 v47, v39, v43
	s_delay_alu instid0(VALU_DEP_3) | instskip(NEXT) | instid1(VALU_DEP_3)
	v_fmaak_f32 v44, v43, v44, 0x3ecccdef
	v_sub_f32_e32 v40, v42, v40
	s_delay_alu instid0(VALU_DEP_2) | instskip(NEXT) | instid1(VALU_DEP_1)
	v_mul_f32_e32 v45, v43, v44
	v_fma_f32 v42, v43, v44, -v45
	s_delay_alu instid0(VALU_DEP_1) | instskip(NEXT) | instid1(VALU_DEP_1)
	v_fmac_f32_e32 v42, v40, v44
	v_add_f32_e32 v44, v45, v42
	v_frexp_exp_i32_f64_e32 v34, v[34:35]
	s_delay_alu instid0(VALU_DEP_2) | instskip(NEXT) | instid1(VALU_DEP_1)
	v_sub_f32_e32 v45, v44, v45
	v_sub_f32_e32 v35, v42, v45
	v_fma_f32 v45, v43, v39, -v47
	s_delay_alu instid0(VALU_DEP_2) | instskip(NEXT) | instid1(VALU_DEP_2)
	v_add_f32_e32 v35, 0x31739010, v35
	v_dual_add_f32 v46, 0x3f2aaaaa, v44 :: v_dual_fmac_f32 v45, v43, v41
	v_ldexp_f32 v41, v41, 1
	s_delay_alu instid0(VALU_DEP_2) | instskip(NEXT) | instid1(VALU_DEP_1)
	v_dual_add_f32 v42, 0xbf2aaaaa, v46 :: v_dual_fmac_f32 v45, v40, v39
	v_sub_f32_e32 v42, v44, v42
	s_delay_alu instid0(VALU_DEP_1) | instskip(NEXT) | instid1(VALU_DEP_3)
	v_add_f32_e32 v35, v35, v42
	v_add_f32_e32 v42, v47, v45
	s_delay_alu instid0(VALU_DEP_2) | instskip(NEXT) | instid1(VALU_DEP_1)
	v_add_f32_e32 v40, v46, v35
	v_sub_f32_e32 v43, v46, v40
	s_delay_alu instid0(VALU_DEP_3) | instskip(SKIP_1) | instid1(VALU_DEP_3)
	v_mul_f32_e32 v44, v42, v40
	v_subrev_co_ci_u32_e64 v34, s2, 0, v34, s2
	v_add_f32_e32 v35, v35, v43
	s_delay_alu instid0(VALU_DEP_3) | instskip(NEXT) | instid1(VALU_DEP_3)
	v_fma_f32 v43, v42, v40, -v44
	v_cvt_f32_i32_e32 v34, v34
	v_sub_f32_e32 v46, v42, v47
	s_delay_alu instid0(VALU_DEP_3) | instskip(SKIP_1) | instid1(VALU_DEP_3)
	v_fmac_f32_e32 v43, v42, v35
	v_ldexp_f32 v35, v39, 1
	v_sub_f32_e32 v45, v45, v46
	s_delay_alu instid0(VALU_DEP_1) | instskip(NEXT) | instid1(VALU_DEP_1)
	v_fmac_f32_e32 v43, v45, v40
	v_add_f32_e32 v39, v44, v43
	s_delay_alu instid0(VALU_DEP_1) | instskip(NEXT) | instid1(VALU_DEP_1)
	v_add_f32_e32 v40, v35, v39
	v_dual_sub_f32 v35, v40, v35 :: v_dual_sub_f32 v42, v39, v44
	s_delay_alu instid0(VALU_DEP_1) | instskip(NEXT) | instid1(VALU_DEP_2)
	v_dual_mul_f32 v44, 0x3f317218, v34 :: v_dual_sub_f32 v35, v39, v35
	v_sub_f32_e32 v42, v43, v42
	s_delay_alu instid0(VALU_DEP_2) | instskip(NEXT) | instid1(VALU_DEP_2)
	v_fma_f32 v43, 0x3f317218, v34, -v44
	v_add_f32_e32 v39, v41, v42
	s_delay_alu instid0(VALU_DEP_1) | instskip(NEXT) | instid1(VALU_DEP_1)
	v_dual_fmac_f32 v43, 0xb102e308, v34 :: v_dual_add_f32 v34, v39, v35
	v_add_f32_e32 v35, v44, v43
	s_delay_alu instid0(VALU_DEP_2) | instskip(NEXT) | instid1(VALU_DEP_1)
	v_add_f32_e32 v39, v40, v34
	v_add_f32_e32 v41, v35, v39
	v_sub_f32_e32 v44, v35, v44
	s_delay_alu instid0(VALU_DEP_1) | instskip(NEXT) | instid1(VALU_DEP_1)
	v_dual_sub_f32 v42, v41, v35 :: v_dual_sub_f32 v43, v43, v44
	v_dual_sub_f32 v45, v41, v42 :: v_dual_sub_f32 v40, v39, v40
	s_delay_alu instid0(VALU_DEP_1) | instskip(NEXT) | instid1(VALU_DEP_2)
	v_dual_sub_f32 v39, v39, v42 :: v_dual_sub_f32 v34, v34, v40
	v_sub_f32_e32 v35, v35, v45
	s_delay_alu instid0(VALU_DEP_2) | instskip(NEXT) | instid1(VALU_DEP_2)
	v_add_f32_e32 v40, v43, v34
	v_add_f32_e32 v35, v39, v35
	s_delay_alu instid0(VALU_DEP_2) | instskip(NEXT) | instid1(VALU_DEP_2)
	v_sub_f32_e32 v39, v40, v43
	v_add_f32_e32 v35, v40, v35
	s_delay_alu instid0(VALU_DEP_2) | instskip(NEXT) | instid1(VALU_DEP_2)
	v_sub_f32_e32 v40, v40, v39
	v_add_f32_e32 v42, v41, v35
	s_delay_alu instid0(VALU_DEP_2) | instskip(NEXT) | instid1(VALU_DEP_2)
	v_dual_sub_f32 v34, v34, v39 :: v_dual_sub_f32 v39, v43, v40
	v_sub_f32_e32 v40, v42, v41
	s_delay_alu instid0(VALU_DEP_1) | instskip(NEXT) | instid1(VALU_DEP_1)
	v_dual_add_f32 v34, v34, v39 :: v_dual_sub_f32 v35, v35, v40
	v_add_f32_e32 v34, v34, v35
	s_delay_alu instid0(VALU_DEP_1) | instskip(NEXT) | instid1(VALU_DEP_1)
	v_add_f32_e32 v35, v42, v34
	v_dual_sub_f32 v39, v35, v42 :: v_dual_mul_f32 v40, v37, v35
	s_delay_alu instid0(VALU_DEP_1) | instskip(NEXT) | instid1(VALU_DEP_2)
	v_sub_f32_e32 v34, v34, v39
	v_fma_f32 v35, v37, v35, -v40
	v_cmp_class_f32_e64 s2, v40, 0x204
	s_delay_alu instid0(VALU_DEP_2) | instskip(NEXT) | instid1(VALU_DEP_1)
	v_fmac_f32_e32 v35, v37, v34
	v_add_f32_e32 v34, v40, v35
	s_delay_alu instid0(VALU_DEP_1) | instskip(NEXT) | instid1(VALU_DEP_1)
	v_cndmask_b32_e64 v39, v34, v40, s2
	v_cmp_eq_f32_e64 s2, 0x42b17218, v39
	s_delay_alu instid0(VALU_DEP_1) | instskip(NEXT) | instid1(VALU_DEP_1)
	v_cndmask_b32_e64 v41, 0, 0x37000000, s2
	v_sub_f32_e32 v42, v39, v41
	s_delay_alu instid0(VALU_DEP_1) | instskip(NEXT) | instid1(VALU_DEP_1)
	v_mul_f32_e32 v43, 0x3fb8aa3b, v42
	v_fma_f32 v44, 0x3fb8aa3b, v42, -v43
	v_rndne_f32_e32 v45, v43
	s_delay_alu instid0(VALU_DEP_1) | instskip(SKIP_2) | instid1(VALU_DEP_3)
	v_dual_fmac_f32 v44, 0x32a5705f, v42 :: v_dual_sub_f32 v43, v43, v45
	v_sub_f32_e32 v34, v34, v40
	v_cvt_i32_f32_e32 v40, v45
	v_add_f32_e32 v43, v43, v44
	s_delay_alu instid0(VALU_DEP_3) | instskip(SKIP_4) | instid1(VALU_DEP_3)
	v_sub_f32_e32 v34, v35, v34
	v_cndmask_b32_e64 v35, |v36|, 1.0, s1
	v_cmp_neq_f32_e64 s1, 0x7f800000, |v39|
	v_trunc_f32_e32 v39, v37
	v_exp_f32_e32 v43, v43
	v_cmp_neq_f32_e64 s0, v37, v35
	s_delay_alu instid0(VALU_DEP_3) | instskip(SKIP_1) | instid1(VALU_DEP_3)
	v_cndmask_b32_e64 v34, 0, v34, s1
	v_cmp_ngt_f32_e64 s1, 0xc2ce8ed0, v42
	s_xor_b32 s0, s0, s3
	s_delay_alu instid0(VALU_DEP_2) | instskip(SKIP_4) | instid1(VALU_DEP_2)
	v_add_f32_e32 v34, v41, v34
	v_cmp_eq_f32_e64 s3, 1.0, v38
	s_waitcnt_depctr 0xfff
	v_ldexp_f32 v36, v43, v40
	v_mul_f32_e32 v40, 0.5, v37
	v_cndmask_b32_e64 v36, 0, v36, s1
	v_cmp_nlt_f32_e64 s1, 0x42b17218, v42
	s_delay_alu instid0(VALU_DEP_3) | instskip(NEXT) | instid1(VALU_DEP_2)
	v_trunc_f32_e32 v43, v40
	v_cndmask_b32_e64 v36, 0x7f800000, v36, s1
	v_cmp_eq_f32_e64 s1, v39, v37
	s_delay_alu instid0(VALU_DEP_3) | instskip(NEXT) | instid1(VALU_DEP_3)
	v_cmp_neq_f32_e64 s2, v43, v40
	v_fma_f32 v34, v36, v34, v36
	v_cmp_class_f32_e64 s4, v36, 0x204
	s_delay_alu instid0(VALU_DEP_3) | instskip(NEXT) | instid1(SALU_CYCLE_1)
	s_and_b32 s2, s1, s2
	v_cndmask_b32_e64 v39, 1.0, v32, s2
	v_cndmask_b32_e64 v41, 0, v32, s2
	s_delay_alu instid0(VALU_DEP_3)
	v_cndmask_b32_e64 v34, v34, v36, s4
	v_cmp_gt_f32_e64 s4, 0, v37
	v_cndmask_b32_e64 v36, v35, 0, s0
	v_cmp_eq_f32_e64 s0, 0, v32
	v_cmp_eq_f32_e64 s2, 0x7f800000, v35
	v_bfi_b32 v34, 0x7fffffff, v34, v39
	s_delay_alu instid0(VALU_DEP_4) | instskip(NEXT) | instid1(VALU_DEP_2)
	v_cndmask_b32_e64 v36, v36, v38, s3
	v_cndmask_b32_e64 v39, 0x7fc00000, v34, s1
	s_xor_b32 s1, s4, s0
	s_delay_alu instid0(SALU_CYCLE_1) | instskip(SKIP_1) | instid1(VALU_DEP_1)
	v_cndmask_b32_e64 v40, 0x7f800000, 0, s1
	v_cmp_gt_f32_e64 s1, 0, v32
	v_cndmask_b32_e64 v34, v34, v39, s1
	v_cmp_eq_f32_e64 s1, 0x7f800000, v38
	s_delay_alu instid0(VALU_DEP_4) | instskip(NEXT) | instid1(VALU_DEP_3)
	v_bfi_b32 v38, 0x7fffffff, v40, v41
	v_cndmask_b32_e64 v34, v34, v36, s2
	s_delay_alu instid0(VALU_DEP_3)
	s_or_b32 s0, s1, s0
	s_delay_alu instid0(VALU_DEP_1) | instid1(SALU_CYCLE_1)
	v_cndmask_b32_e64 v34, v34, v38, s0
	v_cmp_o_f32_e64 s0, v32, v37
	s_delay_alu instid0(VALU_DEP_1) | instskip(SKIP_1) | instid1(VALU_DEP_1)
	v_cndmask_b32_e64 v32, 0x7fc00000, v34, s0
	v_add_co_u32 v34, s0, v20, s30
	v_add_co_ci_u32_e64 v35, s0, s31, v21, s0
	global_store_b32 v[34:35], v32, off
	s_or_b32 exec_lo, exec_lo, s5
	s_and_saveexec_b32 s4, vcc_lo
	s_cbranch_execz .LBB151_8
.LBB151_24:                             ;   in Loop: Header=BB151_9 Depth=1
	s_waitcnt vmcnt(0)
	v_mul_f32_e32 v34, s29, v33
	v_cmp_eq_f32_e64 s0, 1.0, v31
	s_delay_alu instid0(VALU_DEP_1) | instskip(NEXT) | instid1(VALU_DEP_1)
	v_cndmask_b32_e64 v35, v34, 1.0, s0
	v_cmp_eq_f32_e32 vcc_lo, 0, v35
	v_cndmask_b32_e64 v36, |v31|, 1.0, vcc_lo
	v_cndmask_b32_e64 v31, v31, 1.0, vcc_lo
	s_delay_alu instid0(VALU_DEP_2) | instskip(SKIP_1) | instid1(VALU_DEP_2)
	v_frexp_mant_f32_e32 v32, v36
	v_cmp_gt_f32_e64 s2, 1.0, v36
	v_cmp_gt_f32_e64 s1, 0x3f2aaaab, v32
	s_delay_alu instid0(VALU_DEP_1) | instskip(NEXT) | instid1(VALU_DEP_1)
	v_cndmask_b32_e64 v33, 1.0, 2.0, s1
	v_mul_f32_e32 v32, v32, v33
	s_delay_alu instid0(VALU_DEP_1) | instskip(SKIP_1) | instid1(VALU_DEP_2)
	v_add_f32_e32 v33, 1.0, v32
	v_add_f32_e32 v38, -1.0, v32
	v_rcp_f32_e32 v37, v33
	v_add_f32_e32 v40, -1.0, v33
	s_waitcnt_depctr 0xfff
	v_mul_f32_e32 v39, v38, v37
	s_delay_alu instid0(VALU_DEP_1) | instskip(NEXT) | instid1(VALU_DEP_1)
	v_dual_mul_f32 v41, v33, v39 :: v_dual_sub_f32 v32, v32, v40
	v_fma_f32 v33, v39, v33, -v41
	s_delay_alu instid0(VALU_DEP_1) | instskip(NEXT) | instid1(VALU_DEP_1)
	v_fmac_f32_e32 v33, v39, v32
	v_add_f32_e32 v32, v41, v33
	s_delay_alu instid0(VALU_DEP_1) | instskip(NEXT) | instid1(VALU_DEP_1)
	v_dual_sub_f32 v41, v32, v41 :: v_dual_sub_f32 v40, v38, v32
	v_dual_sub_f32 v33, v41, v33 :: v_dual_sub_f32 v38, v38, v40
	s_delay_alu instid0(VALU_DEP_1) | instskip(NEXT) | instid1(VALU_DEP_1)
	v_sub_f32_e32 v32, v38, v32
	v_add_f32_e32 v32, v33, v32
	s_delay_alu instid0(VALU_DEP_1) | instskip(NEXT) | instid1(VALU_DEP_1)
	v_add_f32_e32 v32, v40, v32
	v_mul_f32_e32 v32, v37, v32
	s_delay_alu instid0(VALU_DEP_1) | instskip(NEXT) | instid1(VALU_DEP_1)
	v_add_f32_e32 v37, v39, v32
	v_sub_f32_e32 v33, v37, v39
	v_mul_f32_e32 v38, v37, v37
	s_delay_alu instid0(VALU_DEP_1) | instskip(NEXT) | instid1(VALU_DEP_3)
	v_fma_f32 v40, v37, v37, -v38
	v_sub_f32_e32 v39, v32, v33
	s_delay_alu instid0(VALU_DEP_1) | instskip(NEXT) | instid1(VALU_DEP_1)
	v_add_f32_e32 v32, v39, v39
	v_fmac_f32_e32 v40, v37, v32
	v_cvt_f64_f32_e32 v[32:33], v36
	s_delay_alu instid0(VALU_DEP_2) | instskip(NEXT) | instid1(VALU_DEP_1)
	v_add_f32_e32 v41, v38, v40
	v_fmaak_f32 v42, s13, v41, 0x3e91f4c4
	v_sub_f32_e32 v38, v41, v38
	s_delay_alu instid0(VALU_DEP_1) | instskip(NEXT) | instid1(VALU_DEP_3)
	v_dual_mul_f32 v45, v37, v41 :: v_dual_sub_f32 v38, v40, v38
	v_fmaak_f32 v42, v41, v42, 0x3ecccdef
	s_delay_alu instid0(VALU_DEP_1) | instskip(NEXT) | instid1(VALU_DEP_1)
	v_mul_f32_e32 v43, v41, v42
	v_fma_f32 v40, v41, v42, -v43
	s_delay_alu instid0(VALU_DEP_1) | instskip(NEXT) | instid1(VALU_DEP_1)
	v_fmac_f32_e32 v40, v38, v42
	v_add_f32_e32 v42, v43, v40
	v_frexp_exp_i32_f64_e32 v32, v[32:33]
	s_delay_alu instid0(VALU_DEP_2) | instskip(NEXT) | instid1(VALU_DEP_1)
	v_sub_f32_e32 v43, v42, v43
	v_sub_f32_e32 v33, v40, v43
	v_fma_f32 v43, v41, v37, -v45
	s_delay_alu instid0(VALU_DEP_2) | instskip(NEXT) | instid1(VALU_DEP_2)
	v_add_f32_e32 v33, 0x31739010, v33
	v_dual_add_f32 v44, 0x3f2aaaaa, v42 :: v_dual_fmac_f32 v43, v41, v39
	v_ldexp_f32 v39, v39, 1
	s_delay_alu instid0(VALU_DEP_2) | instskip(NEXT) | instid1(VALU_DEP_1)
	v_dual_add_f32 v40, 0xbf2aaaaa, v44 :: v_dual_fmac_f32 v43, v38, v37
	v_sub_f32_e32 v40, v42, v40
	s_delay_alu instid0(VALU_DEP_1) | instskip(NEXT) | instid1(VALU_DEP_3)
	v_add_f32_e32 v33, v33, v40
	v_add_f32_e32 v40, v45, v43
	s_delay_alu instid0(VALU_DEP_2) | instskip(SKIP_1) | instid1(VALU_DEP_2)
	v_add_f32_e32 v38, v44, v33
	v_subrev_co_ci_u32_e64 v32, s1, 0, v32, s1
	v_sub_f32_e32 v41, v44, v38
	s_delay_alu instid0(VALU_DEP_4) | instskip(NEXT) | instid1(VALU_DEP_3)
	v_mul_f32_e32 v42, v40, v38
	v_cvt_f32_i32_e32 v32, v32
	v_sub_f32_e32 v44, v40, v45
	s_delay_alu instid0(VALU_DEP_4) | instskip(NEXT) | instid1(VALU_DEP_4)
	v_add_f32_e32 v33, v33, v41
	v_fma_f32 v41, v40, v38, -v42
	s_delay_alu instid0(VALU_DEP_3) | instskip(NEXT) | instid1(VALU_DEP_2)
	v_sub_f32_e32 v43, v43, v44
	v_fmac_f32_e32 v41, v40, v33
	v_ldexp_f32 v33, v37, 1
	s_delay_alu instid0(VALU_DEP_2) | instskip(NEXT) | instid1(VALU_DEP_1)
	v_fmac_f32_e32 v41, v43, v38
	v_add_f32_e32 v37, v42, v41
	s_delay_alu instid0(VALU_DEP_1) | instskip(NEXT) | instid1(VALU_DEP_1)
	v_add_f32_e32 v38, v33, v37
	v_dual_sub_f32 v33, v38, v33 :: v_dual_sub_f32 v40, v37, v42
	s_delay_alu instid0(VALU_DEP_1) | instskip(NEXT) | instid1(VALU_DEP_2)
	v_dual_mul_f32 v42, 0x3f317218, v32 :: v_dual_sub_f32 v33, v37, v33
	v_sub_f32_e32 v40, v41, v40
	s_delay_alu instid0(VALU_DEP_2) | instskip(NEXT) | instid1(VALU_DEP_2)
	v_fma_f32 v41, 0x3f317218, v32, -v42
	v_add_f32_e32 v37, v39, v40
	s_delay_alu instid0(VALU_DEP_1) | instskip(NEXT) | instid1(VALU_DEP_1)
	v_dual_fmac_f32 v41, 0xb102e308, v32 :: v_dual_add_f32 v32, v37, v33
	v_add_f32_e32 v33, v42, v41
	s_delay_alu instid0(VALU_DEP_2) | instskip(NEXT) | instid1(VALU_DEP_1)
	v_add_f32_e32 v37, v38, v32
	v_add_f32_e32 v39, v33, v37
	v_sub_f32_e32 v42, v33, v42
	s_delay_alu instid0(VALU_DEP_1) | instskip(NEXT) | instid1(VALU_DEP_1)
	v_dual_sub_f32 v40, v39, v33 :: v_dual_sub_f32 v41, v41, v42
	v_dual_sub_f32 v43, v39, v40 :: v_dual_sub_f32 v38, v37, v38
	s_delay_alu instid0(VALU_DEP_1) | instskip(NEXT) | instid1(VALU_DEP_2)
	v_dual_sub_f32 v37, v37, v40 :: v_dual_sub_f32 v32, v32, v38
	v_sub_f32_e32 v33, v33, v43
	s_delay_alu instid0(VALU_DEP_2) | instskip(NEXT) | instid1(VALU_DEP_2)
	v_add_f32_e32 v38, v41, v32
	v_add_f32_e32 v33, v37, v33
	s_delay_alu instid0(VALU_DEP_2) | instskip(NEXT) | instid1(VALU_DEP_2)
	v_sub_f32_e32 v37, v38, v41
	v_add_f32_e32 v33, v38, v33
	s_delay_alu instid0(VALU_DEP_2) | instskip(NEXT) | instid1(VALU_DEP_2)
	v_sub_f32_e32 v38, v38, v37
	v_add_f32_e32 v40, v39, v33
	s_delay_alu instid0(VALU_DEP_2) | instskip(NEXT) | instid1(VALU_DEP_2)
	v_dual_sub_f32 v32, v32, v37 :: v_dual_sub_f32 v37, v41, v38
	v_sub_f32_e32 v38, v40, v39
	s_delay_alu instid0(VALU_DEP_1) | instskip(NEXT) | instid1(VALU_DEP_1)
	v_dual_add_f32 v32, v32, v37 :: v_dual_sub_f32 v33, v33, v38
	v_add_f32_e32 v32, v32, v33
	s_delay_alu instid0(VALU_DEP_1) | instskip(NEXT) | instid1(VALU_DEP_1)
	v_add_f32_e32 v33, v40, v32
	v_dual_sub_f32 v37, v33, v40 :: v_dual_mul_f32 v38, v35, v33
	s_delay_alu instid0(VALU_DEP_1) | instskip(NEXT) | instid1(VALU_DEP_2)
	v_sub_f32_e32 v32, v32, v37
	v_fma_f32 v33, v35, v33, -v38
	v_cmp_class_f32_e64 s1, v38, 0x204
	s_delay_alu instid0(VALU_DEP_2) | instskip(NEXT) | instid1(VALU_DEP_1)
	v_fmac_f32_e32 v33, v35, v32
	v_add_f32_e32 v32, v38, v33
	s_delay_alu instid0(VALU_DEP_1) | instskip(NEXT) | instid1(VALU_DEP_1)
	v_cndmask_b32_e64 v37, v32, v38, s1
	v_cmp_eq_f32_e64 s1, 0x42b17218, v37
	s_delay_alu instid0(VALU_DEP_1) | instskip(NEXT) | instid1(VALU_DEP_1)
	v_cndmask_b32_e64 v39, 0, 0x37000000, s1
	v_sub_f32_e32 v40, v37, v39
	s_delay_alu instid0(VALU_DEP_1) | instskip(NEXT) | instid1(VALU_DEP_1)
	v_mul_f32_e32 v41, 0x3fb8aa3b, v40
	v_fma_f32 v42, 0x3fb8aa3b, v40, -v41
	v_rndne_f32_e32 v43, v41
	s_delay_alu instid0(VALU_DEP_1) | instskip(SKIP_2) | instid1(VALU_DEP_3)
	v_dual_fmac_f32 v42, 0x32a5705f, v40 :: v_dual_sub_f32 v41, v41, v43
	v_sub_f32_e32 v32, v32, v38
	v_cvt_i32_f32_e32 v38, v43
	v_add_f32_e32 v41, v41, v42
	s_delay_alu instid0(VALU_DEP_3) | instskip(SKIP_4) | instid1(VALU_DEP_3)
	v_sub_f32_e32 v32, v33, v32
	v_cndmask_b32_e64 v33, |v34|, 1.0, s0
	v_cmp_neq_f32_e64 s0, 0x7f800000, |v37|
	v_trunc_f32_e32 v37, v35
	v_exp_f32_e32 v41, v41
	v_cmp_neq_f32_e32 vcc_lo, v35, v33
	s_delay_alu instid0(VALU_DEP_3) | instskip(SKIP_2) | instid1(VALU_DEP_2)
	v_cndmask_b32_e64 v32, 0, v32, s0
	v_cmp_ngt_f32_e64 s0, 0xc2ce8ed0, v40
	s_xor_b32 s2, vcc_lo, s2
	v_add_f32_e32 v32, v39, v32
	v_cmp_eq_f32_e32 vcc_lo, 0, v31
	s_waitcnt_depctr 0xfff
	v_ldexp_f32 v34, v41, v38
	v_mul_f32_e32 v38, 0.5, v35
	s_delay_alu instid0(VALU_DEP_2) | instskip(SKIP_1) | instid1(VALU_DEP_3)
	v_cndmask_b32_e64 v34, 0, v34, s0
	v_cmp_nlt_f32_e64 s0, 0x42b17218, v40
	v_trunc_f32_e32 v41, v38
	s_delay_alu instid0(VALU_DEP_2) | instskip(SKIP_1) | instid1(VALU_DEP_3)
	v_cndmask_b32_e64 v34, 0x7f800000, v34, s0
	v_cmp_eq_f32_e64 s0, v37, v35
	v_cmp_neq_f32_e64 s1, v41, v38
	s_delay_alu instid0(VALU_DEP_3) | instskip(SKIP_1) | instid1(VALU_DEP_3)
	v_fma_f32 v32, v34, v32, v34
	v_cmp_class_f32_e64 s3, v34, 0x204
	s_and_b32 s1, s0, s1
	s_delay_alu instid0(SALU_CYCLE_1) | instskip(SKIP_1) | instid1(VALU_DEP_3)
	v_cndmask_b32_e64 v37, 1.0, v31, s1
	v_cndmask_b32_e64 v39, 0, v31, s1
	v_cndmask_b32_e64 v32, v32, v34, s3
	v_cmp_gt_f32_e64 s3, 0, v35
	v_cndmask_b32_e64 v34, v33, 0, s2
	v_cmp_eq_f32_e64 s2, 1.0, v36
	v_cmp_eq_f32_e64 s1, 0x7f800000, v33
	v_bfi_b32 v32, 0x7fffffff, v32, v37
	s_delay_alu instid0(VALU_DEP_3) | instskip(NEXT) | instid1(VALU_DEP_2)
	v_cndmask_b32_e64 v34, v34, v36, s2
	v_cndmask_b32_e64 v37, 0x7fc00000, v32, s0
	s_xor_b32 s0, s3, vcc_lo
	s_delay_alu instid0(SALU_CYCLE_1) | instskip(SKIP_1) | instid1(VALU_DEP_1)
	v_cndmask_b32_e64 v38, 0x7f800000, 0, s0
	v_cmp_gt_f32_e64 s0, 0, v31
	v_cndmask_b32_e64 v32, v32, v37, s0
	v_cmp_eq_f32_e64 s0, 0x7f800000, v36
	s_delay_alu instid0(VALU_DEP_4) | instskip(NEXT) | instid1(VALU_DEP_3)
	v_bfi_b32 v36, 0x7fffffff, v38, v39
	v_cndmask_b32_e64 v32, v32, v34, s1
	s_delay_alu instid0(VALU_DEP_3) | instskip(NEXT) | instid1(VALU_DEP_1)
	s_or_b32 vcc_lo, s0, vcc_lo
	v_cndmask_b32_e32 v32, v32, v36, vcc_lo
	v_cmp_o_f32_e32 vcc_lo, v31, v35
	s_delay_alu instid0(VALU_DEP_2)
	v_cndmask_b32_e32 v33, 0x7fc00000, v32, vcc_lo
	v_add_co_u32 v31, vcc_lo, v11, s30
	v_add_co_ci_u32_e32 v32, vcc_lo, s31, v12, vcc_lo
	global_store_b32 v[31:32], v33, off
	s_branch .LBB151_8
.LBB151_25:
	s_nop 0
	s_sendmsg sendmsg(MSG_DEALLOC_VGPRS)
	s_endpgm
	.section	.rodata,"a",@progbits
	.p2align	6, 0x0
	.amdhsa_kernel _ZN2at6native12_GLOBAL__N_125multi_tensor_apply_kernelINS1_18TensorListMetadataILi3EEENS1_24BinaryOpListAlphaFunctorIfLi3ELi2ELi2EEEJNS1_13power_functorIfEEfEEEvT_T0_DpT1_
		.amdhsa_group_segment_fixed_size 0
		.amdhsa_private_segment_fixed_size 0
		.amdhsa_kernarg_size 3408
		.amdhsa_user_sgpr_count 15
		.amdhsa_user_sgpr_dispatch_ptr 0
		.amdhsa_user_sgpr_queue_ptr 0
		.amdhsa_user_sgpr_kernarg_segment_ptr 1
		.amdhsa_user_sgpr_dispatch_id 0
		.amdhsa_user_sgpr_private_segment_size 0
		.amdhsa_wavefront_size32 1
		.amdhsa_uses_dynamic_stack 0
		.amdhsa_enable_private_segment 0
		.amdhsa_system_sgpr_workgroup_id_x 1
		.amdhsa_system_sgpr_workgroup_id_y 0
		.amdhsa_system_sgpr_workgroup_id_z 0
		.amdhsa_system_sgpr_workgroup_info 0
		.amdhsa_system_vgpr_workitem_id 0
		.amdhsa_next_free_vgpr 74
		.amdhsa_next_free_sgpr 53
		.amdhsa_reserve_vcc 1
		.amdhsa_float_round_mode_32 0
		.amdhsa_float_round_mode_16_64 0
		.amdhsa_float_denorm_mode_32 3
		.amdhsa_float_denorm_mode_16_64 3
		.amdhsa_dx10_clamp 1
		.amdhsa_ieee_mode 1
		.amdhsa_fp16_overflow 0
		.amdhsa_workgroup_processor_mode 1
		.amdhsa_memory_ordered 1
		.amdhsa_forward_progress 0
		.amdhsa_shared_vgpr_count 0
		.amdhsa_exception_fp_ieee_invalid_op 0
		.amdhsa_exception_fp_denorm_src 0
		.amdhsa_exception_fp_ieee_div_zero 0
		.amdhsa_exception_fp_ieee_overflow 0
		.amdhsa_exception_fp_ieee_underflow 0
		.amdhsa_exception_fp_ieee_inexact 0
		.amdhsa_exception_int_div_zero 0
	.end_amdhsa_kernel
	.section	.text._ZN2at6native12_GLOBAL__N_125multi_tensor_apply_kernelINS1_18TensorListMetadataILi3EEENS1_24BinaryOpListAlphaFunctorIfLi3ELi2ELi2EEEJNS1_13power_functorIfEEfEEEvT_T0_DpT1_,"axG",@progbits,_ZN2at6native12_GLOBAL__N_125multi_tensor_apply_kernelINS1_18TensorListMetadataILi3EEENS1_24BinaryOpListAlphaFunctorIfLi3ELi2ELi2EEEJNS1_13power_functorIfEEfEEEvT_T0_DpT1_,comdat
.Lfunc_end151:
	.size	_ZN2at6native12_GLOBAL__N_125multi_tensor_apply_kernelINS1_18TensorListMetadataILi3EEENS1_24BinaryOpListAlphaFunctorIfLi3ELi2ELi2EEEJNS1_13power_functorIfEEfEEEvT_T0_DpT1_, .Lfunc_end151-_ZN2at6native12_GLOBAL__N_125multi_tensor_apply_kernelINS1_18TensorListMetadataILi3EEENS1_24BinaryOpListAlphaFunctorIfLi3ELi2ELi2EEEJNS1_13power_functorIfEEfEEEvT_T0_DpT1_
                                        ; -- End function
	.section	.AMDGPU.csdata,"",@progbits
; Kernel info:
; codeLenInByte = 11048
; NumSgprs: 55
; NumVgprs: 74
; ScratchSize: 0
; MemoryBound: 0
; FloatMode: 240
; IeeeMode: 1
; LDSByteSize: 0 bytes/workgroup (compile time only)
; SGPRBlocks: 6
; VGPRBlocks: 9
; NumSGPRsForWavesPerEU: 55
; NumVGPRsForWavesPerEU: 74
; Occupancy: 16
; WaveLimiterHint : 0
; COMPUTE_PGM_RSRC2:SCRATCH_EN: 0
; COMPUTE_PGM_RSRC2:USER_SGPR: 15
; COMPUTE_PGM_RSRC2:TRAP_HANDLER: 0
; COMPUTE_PGM_RSRC2:TGID_X_EN: 1
; COMPUTE_PGM_RSRC2:TGID_Y_EN: 0
; COMPUTE_PGM_RSRC2:TGID_Z_EN: 0
; COMPUTE_PGM_RSRC2:TIDIG_COMP_CNT: 0
	.section	.text._ZN2at6native12_GLOBAL__N_125multi_tensor_apply_kernelINS1_18TensorListMetadataILi3EEENS1_24BinaryOpListAlphaFunctorIN3c107complexIdEELi3ELi2ELi2EEEJNS1_13power_functorIS8_EES8_EEEvT_T0_DpT1_,"axG",@progbits,_ZN2at6native12_GLOBAL__N_125multi_tensor_apply_kernelINS1_18TensorListMetadataILi3EEENS1_24BinaryOpListAlphaFunctorIN3c107complexIdEELi3ELi2ELi2EEEJNS1_13power_functorIS8_EES8_EEEvT_T0_DpT1_,comdat
	.globl	_ZN2at6native12_GLOBAL__N_125multi_tensor_apply_kernelINS1_18TensorListMetadataILi3EEENS1_24BinaryOpListAlphaFunctorIN3c107complexIdEELi3ELi2ELi2EEEJNS1_13power_functorIS8_EES8_EEEvT_T0_DpT1_ ; -- Begin function _ZN2at6native12_GLOBAL__N_125multi_tensor_apply_kernelINS1_18TensorListMetadataILi3EEENS1_24BinaryOpListAlphaFunctorIN3c107complexIdEELi3ELi2ELi2EEEJNS1_13power_functorIS8_EES8_EEEvT_T0_DpT1_
	.p2align	8
	.type	_ZN2at6native12_GLOBAL__N_125multi_tensor_apply_kernelINS1_18TensorListMetadataILi3EEENS1_24BinaryOpListAlphaFunctorIN3c107complexIdEELi3ELi2ELi2EEEJNS1_13power_functorIS8_EES8_EEEvT_T0_DpT1_,@function
_ZN2at6native12_GLOBAL__N_125multi_tensor_apply_kernelINS1_18TensorListMetadataILi3EEENS1_24BinaryOpListAlphaFunctorIN3c107complexIdEELi3ELi2ELi2EEEJNS1_13power_functorIS8_EES8_EEEvT_T0_DpT1_: ; @_ZN2at6native12_GLOBAL__N_125multi_tensor_apply_kernelINS1_18TensorListMetadataILi3EEENS1_24BinaryOpListAlphaFunctorIN3c107complexIdEELi3ELi2ELi2EEEJNS1_13power_functorIS8_EES8_EEEvT_T0_DpT1_
; %bb.0:
	v_mov_b32_e32 v60, v0
	v_mov_b32_e32 v0, s15
	s_mov_b64 s[18:19], s[0:1]
	s_mov_b32 s5, 0
	s_mov_b32 s32, 0
	s_load_b128 s[24:27], s[18:19], 0xc50
	global_load_u8 v0, v0, s[0:1] offset:1536
	s_add_u32 s0, s18, s15
	s_mul_hi_u32 s1, s15, 3
	s_mul_i32 s15, s15, 3
	s_addc_u32 s2, s19, 0
	s_add_u32 s0, s0, s15
	s_addc_u32 s1, s2, s1
	s_mov_b32 s7, s5
	s_load_b32 s0, s[0:1], 0x740
	s_waitcnt vmcnt(0)
	v_readfirstlane_b32 s1, v0
	s_delay_alu instid0(VALU_DEP_1)
	s_lshl_b32 s1, s1, 3
	s_clause 0x3
	s_load_b64 s[20:21], s[18:19], s1 offset:0x0
	s_load_b64 s[38:39], s[18:19], s1 offset:0x180
	;; [unrolled: 1-line block ×4, first 2 shown]
	s_waitcnt lgkmcnt(0)
	s_ashr_i32 s1, s0, 31
	s_delay_alu instid0(SALU_CYCLE_1) | instskip(NEXT) | instid1(SALU_CYCLE_1)
	s_lshl_b64 s[22:23], s[0:1], 20
	s_add_u32 s33, s20, s22
	s_addc_u32 s34, s21, s23
	s_add_u32 s35, s38, s22
	s_addc_u32 s36, s39, s23
	;; [unrolled: 2-line block ×3, first 2 shown]
	s_or_b32 s4, s37, s35
	s_lshl_b64 s[0:1], s[0:1], 16
	s_and_b32 s6, s4, 63
	s_and_b32 s4, s33, 63
	s_cmp_lg_u32 s6, 0
	s_cselect_b32 s8, -1, 0
	s_sub_u32 s28, s2, s0
	s_subb_u32 s29, s3, s1
	s_and_b32 s6, s2, 3
	s_delay_alu instid0(SALU_CYCLE_1) | instskip(NEXT) | instid1(SALU_CYCLE_1)
	s_or_b64 s[0:1], s[4:5], s[6:7]
	s_cmp_lg_u64 s[0:1], 0
	s_cselect_b32 s0, -1, 0
	s_delay_alu instid0(SALU_CYCLE_1) | instskip(NEXT) | instid1(SALU_CYCLE_1)
	s_or_b32 s0, s8, s0
	s_and_not1_b32 vcc_lo, exec_lo, s0
	s_mov_b32 s0, -1
	s_cbranch_vccz .LBB152_5
; %bb.1:
	v_dual_mov_b32 v62, 0 :: v_dual_lshlrev_b32 v61, 2, v60
	s_mov_b32 s43, exec_lo
	s_delay_alu instid0(VALU_DEP_1)
	v_cmpx_gt_i64_e64 s[28:29], v[61:62]
	s_cbranch_execz .LBB152_4
; %bb.2:
	s_load_b32 s0, s[18:19], 0xc6c
	v_lshlrev_b32_e32 v63, 6, v60
	s_mov_b32 s44, 0
	s_waitcnt lgkmcnt(0)
	s_and_b32 s0, s0, 0xffff
	s_delay_alu instid0(SALU_CYCLE_1)
	v_add_lshl_u32 v61, v60, s0, 2
	s_lshl_b32 s45, s0, 2
	s_lshl_b32 s46, s0, 6
	s_getpc_b64 s[48:49]
	s_add_u32 s48, s48, _ZNK2at6native12_GLOBAL__N_113power_functorIN3c107complexIdEEEclERKS5_S8_@rel32@lo+4
	s_addc_u32 s49, s49, _ZNK2at6native12_GLOBAL__N_113power_functorIN3c107complexIdEEEclERKS5_S8_@rel32@hi+12
.LBB152_3:                              ; =>This Inner Loop Header: Depth=1
	v_add_co_u32 v4, s0, s35, v63
	s_delay_alu instid0(VALU_DEP_1) | instskip(SKIP_1) | instid1(VALU_DEP_1)
	v_add_co_ci_u32_e64 v5, null, s36, 0, s0
	v_add_co_u32 v10, s0, s33, v63
	v_add_co_ci_u32_e64 v11, null, s34, 0, s0
	global_load_b128 v[6:9], v[4:5], off
	global_load_b128 v[0:3], v[10:11], off
	global_load_b128 v[72:75], v[4:5], off offset:16
	s_clause 0x2
	global_load_b128 v[40:43], v[10:11], off offset:16
	global_load_b128 v[44:47], v[10:11], off offset:48
	;; [unrolled: 1-line block ×3, first 2 shown]
	s_clause 0x1
	global_load_b128 v[76:79], v[4:5], off offset:48
	global_load_b128 v[80:83], v[4:5], off offset:32
	s_waitcnt vmcnt(7)
	v_mul_f64 v[4:5], s[26:27], v[8:9]
	v_mul_f64 v[8:9], s[24:25], v[8:9]
	s_delay_alu instid0(VALU_DEP_2) | instskip(NEXT) | instid1(VALU_DEP_2)
	v_fma_f64 v[4:5], s[24:25], v[6:7], -v[4:5]
	v_fma_f64 v[6:7], s[26:27], v[6:7], v[8:9]
	s_swappc_b64 s[30:31], s[48:49]
	v_dual_mov_b32 v68, v0 :: v_dual_mov_b32 v69, v1
	v_dual_mov_b32 v70, v2 :: v_dual_mov_b32 v71, v3
	v_mul_f64 v[0:1], s[26:27], v[74:75]
	v_mul_f64 v[2:3], s[24:25], v[74:75]
	s_delay_alu instid0(VALU_DEP_2) | instskip(NEXT) | instid1(VALU_DEP_2)
	v_fma_f64 v[4:5], s[24:25], v[72:73], -v[0:1]
	v_fma_f64 v[6:7], s[26:27], v[72:73], v[2:3]
	v_dual_mov_b32 v0, v40 :: v_dual_mov_b32 v1, v41
	v_dual_mov_b32 v2, v42 :: v_dual_mov_b32 v3, v43
	s_swappc_b64 s[30:31], s[48:49]
	s_delay_alu instid0(VALU_DEP_2) | instskip(NEXT) | instid1(VALU_DEP_2)
	v_dual_mov_b32 v40, v0 :: v_dual_mov_b32 v41, v1
	v_dual_mov_b32 v42, v2 :: v_dual_mov_b32 v43, v3
	v_mul_f64 v[0:1], s[26:27], v[82:83]
	v_mul_f64 v[2:3], s[24:25], v[82:83]
	s_delay_alu instid0(VALU_DEP_2) | instskip(NEXT) | instid1(VALU_DEP_2)
	v_fma_f64 v[4:5], s[24:25], v[80:81], -v[0:1]
	v_fma_f64 v[6:7], s[26:27], v[80:81], v[2:3]
	v_dual_mov_b32 v0, v56 :: v_dual_mov_b32 v1, v57
	v_dual_mov_b32 v2, v58 :: v_dual_mov_b32 v3, v59
	s_swappc_b64 s[30:31], s[48:49]
	s_delay_alu instid0(VALU_DEP_2) | instskip(NEXT) | instid1(VALU_DEP_2)
	v_dual_mov_b32 v56, v0 :: v_dual_mov_b32 v57, v1
	v_dual_mov_b32 v58, v2 :: v_dual_mov_b32 v59, v3
	v_mul_f64 v[0:1], s[26:27], v[78:79]
	v_mul_f64 v[2:3], s[24:25], v[78:79]
	s_delay_alu instid0(VALU_DEP_2) | instskip(NEXT) | instid1(VALU_DEP_2)
	v_fma_f64 v[4:5], s[24:25], v[76:77], -v[0:1]
	v_fma_f64 v[6:7], s[26:27], v[76:77], v[2:3]
	v_dual_mov_b32 v0, v44 :: v_dual_mov_b32 v1, v45
	v_dual_mov_b32 v2, v46 :: v_dual_mov_b32 v3, v47
	s_swappc_b64 s[30:31], s[48:49]
	v_add_co_u32 v4, s0, s37, v63
	s_delay_alu instid0(VALU_DEP_1) | instskip(SKIP_3) | instid1(VALU_DEP_1)
	v_add_co_ci_u32_e64 v5, null, s42, 0, s0
	v_cmp_le_i64_e32 vcc_lo, s[28:29], v[61:62]
	v_cmp_lt_u64_e64 s0, 0xffff, v[61:62]
	v_add_co_u32 v61, s1, v61, s45
	v_add_co_ci_u32_e64 v62, s1, 0, v62, s1
	s_clause 0x1
	global_store_b128 v[4:5], v[68:71], off
	global_store_b128 v[4:5], v[40:43], off offset:16
	s_or_b32 s0, vcc_lo, s0
	s_add_u32 s33, s33, s46
	s_addc_u32 s34, s34, 0
	s_add_u32 s37, s37, s46
	s_addc_u32 s42, s42, 0
	;; [unrolled: 2-line block ×3, first 2 shown]
	s_and_b32 s0, exec_lo, s0
	s_clause 0x1
	global_store_b128 v[4:5], v[56:59], off offset:32
	global_store_b128 v[4:5], v[0:3], off offset:48
	s_or_b32 s44, s0, s44
	s_delay_alu instid0(SALU_CYCLE_1)
	s_and_not1_b32 exec_lo, exec_lo, s44
	s_cbranch_execnz .LBB152_3
.LBB152_4:
	s_or_b32 exec_lo, exec_lo, s43
	s_mov_b32 s0, 0
.LBB152_5:
	s_delay_alu instid0(SALU_CYCLE_1)
	s_and_not1_b32 vcc_lo, exec_lo, s0
	s_cbranch_vccnz .LBB152_25
; %bb.6:
	v_cmp_lt_i64_e64 s0, s[28:29], 1
	s_delay_alu instid0(VALU_DEP_1)
	s_and_b32 vcc_lo, exec_lo, s0
	s_cbranch_vccnz .LBB152_25
; %bb.7:
	s_load_b32 s0, s[18:19], 0xc6c
	v_dual_mov_b32 v61, 0 :: v_dual_lshlrev_b32 v4, 4, v60
	v_cmp_gt_u64_e64 s1, 0x10000, s[28:29]
	s_mov_b32 s35, 0
	s_delay_alu instid0(VALU_DEP_2) | instskip(NEXT) | instid1(VALU_DEP_3)
	v_or_b32_e32 v0, 8, v4
	v_mov_b32_e32 v1, v61
	s_delay_alu instid0(VALU_DEP_2) | instskip(NEXT) | instid1(VALU_DEP_1)
	v_add_co_u32 v62, s2, s38, v0
	v_add_co_ci_u32_e64 v63, null, s39, 0, s2
	v_add_co_u32 v80, s2, s20, v0
	s_delay_alu instid0(VALU_DEP_1)
	v_add_co_ci_u32_e64 v81, null, s21, 0, s2
	s_waitcnt lgkmcnt(0)
	s_and_b32 s33, s0, 0xffff
	s_and_b32 s0, s1, exec_lo
	v_add_lshl_u32 v5, v60, s33, 4
	v_mad_u64_u32 v[2:3], null, s33, 48, v[0:1]
	s_cselect_b32 s37, s29, 0
	s_cselect_b32 s36, s28, 0x10000
	s_delay_alu instid0(VALU_DEP_2) | instskip(NEXT) | instid1(VALU_DEP_1)
	v_add_co_u32 v82, s0, s40, v5
	v_add_co_ci_u32_e64 v83, null, s41, 0, s0
	v_add_co_u32 v84, s0, s40, v0
	s_delay_alu instid0(VALU_DEP_1) | instskip(SKIP_1) | instid1(VALU_DEP_1)
	v_add_co_ci_u32_e64 v85, null, s41, 0, s0
	v_add_co_u32 v86, s0, s20, v5
	v_add_co_ci_u32_e64 v87, null, s21, 0, s0
	v_add_co_u32 v90, s0, s38, v5
	v_add_co_u32 v88, vcc_lo, s38, v2
	v_add_co_ci_u32_e64 v91, null, s39, 0, s0
	s_lshl_b32 s0, s33, 5
	v_add_co_ci_u32_e32 v89, vcc_lo, s39, v3, vcc_lo
	v_add_co_u32 v0, s0, s0, v4
	v_add_co_u32 v92, vcc_lo, s20, v2
	v_add_co_ci_u32_e32 v93, vcc_lo, s21, v3, vcc_lo
	v_add_co_u32 v94, vcc_lo, s40, v2
	v_add_co_ci_u32_e64 v1, null, 0, 0, s0
	v_or_b32_e32 v2, 8, v0
	v_add_co_ci_u32_e32 v95, vcc_lo, s41, v3, vcc_lo
	v_add_co_u32 v96, vcc_lo, s40, v0
	s_delay_alu instid0(VALU_DEP_4) | instskip(NEXT) | instid1(VALU_DEP_4)
	v_add_co_ci_u32_e32 v97, vcc_lo, s41, v1, vcc_lo
	v_add_co_u32 v98, vcc_lo, s38, v2
	v_add_co_ci_u32_e32 v99, vcc_lo, s39, v1, vcc_lo
	v_add_co_u32 v100, vcc_lo, s20, v2
	v_add_co_ci_u32_e32 v101, vcc_lo, s21, v1, vcc_lo
	s_lshl_b32 s34, s33, 2
	s_lshl_b32 s42, s33, 1
	s_mul_i32 s43, s33, 3
	s_lshl_b32 s21, s33, 6
	s_mov_b64 s[38:39], s[34:35]
	s_branch .LBB152_9
.LBB152_8:                              ;   in Loop: Header=BB152_9 Depth=1
	s_or_b32 exec_lo, exec_lo, s18
	v_add_co_u32 v60, vcc_lo, v60, s34
	v_add_co_ci_u32_e32 v61, vcc_lo, 0, v61, vcc_lo
	v_add_co_u32 v62, vcc_lo, v62, s21
	v_add_co_ci_u32_e32 v63, vcc_lo, 0, v63, vcc_lo
	;; [unrolled: 2-line block ×11, first 2 shown]
	v_cmp_ge_i64_e64 s0, s[38:39], s[28:29]
	v_cmp_lt_u64_e64 s1, 0xffff, s[38:39]
	v_add_co_u32 v98, vcc_lo, v98, s21
	v_add_co_ci_u32_e32 v99, vcc_lo, 0, v99, vcc_lo
	v_add_co_u32 v100, vcc_lo, v100, s21
	v_add_co_ci_u32_e32 v101, vcc_lo, 0, v101, vcc_lo
	s_or_b32 s0, s0, s1
	s_add_u32 s38, s38, s34
	s_addc_u32 s39, s39, 0
	s_and_b32 vcc_lo, exec_lo, s0
	s_cbranch_vccnz .LBB152_25
.LBB152_9:                              ; =>This Inner Loop Header: Depth=1
	s_waitcnt vmcnt(0)
	v_mov_b32_e32 v70, 0
	v_mov_b32_e32 v71, 0
	v_cmp_gt_u64_e32 vcc_lo, s[36:37], v[60:61]
	s_delay_alu instid0(VALU_DEP_3) | instskip(SKIP_1) | instid1(VALU_DEP_4)
	v_mov_b32_e32 v6, v70
	v_mov_b32_e32 v4, v70
	v_dual_mov_b32 v2, v70 :: v_dual_mov_b32 v3, v71
	v_mov_b32_e32 v7, v71
	v_dual_mov_b32 v5, v71 :: v_dual_mov_b32 v0, v70
	v_mov_b32_e32 v1, v71
	s_and_saveexec_b32 s1, vcc_lo
	s_cbranch_execz .LBB152_11
; %bb.10:                               ;   in Loop: Header=BB152_9 Depth=1
	v_add_co_u32 v0, s0, v80, s22
	s_delay_alu instid0(VALU_DEP_1) | instskip(SKIP_1) | instid1(VALU_DEP_1)
	v_add_co_ci_u32_e64 v1, s0, s23, v81, s0
	v_add_co_u32 v4, s0, v62, s22
	v_add_co_ci_u32_e64 v5, s0, s23, v63, s0
	global_load_b128 v[0:3], v[0:1], off offset:-8
	global_load_b128 v[4:7], v[4:5], off offset:-8
.LBB152_11:                             ;   in Loop: Header=BB152_9 Depth=1
	s_or_b32 exec_lo, exec_lo, s1
	v_add_co_u32 v8, s0, s33, v60
	s_delay_alu instid0(VALU_DEP_1) | instskip(SKIP_2) | instid1(VALU_DEP_3)
	v_add_co_ci_u32_e64 v9, s0, 0, v61, s0
	v_dual_mov_b32 v68, v70 :: v_dual_mov_b32 v69, v71
	v_dual_mov_b32 v42, v70 :: v_dual_mov_b32 v43, v71
	v_cmp_gt_u64_e64 s18, s[36:37], v[8:9]
	v_dual_mov_b32 v40, v70 :: v_dual_mov_b32 v41, v71
	s_delay_alu instid0(VALU_DEP_2)
	s_and_saveexec_b32 s1, s18
	s_cbranch_execz .LBB152_13
; %bb.12:                               ;   in Loop: Header=BB152_9 Depth=1
	v_add_co_u32 v8, s0, v86, s22
	s_delay_alu instid0(VALU_DEP_1) | instskip(SKIP_1) | instid1(VALU_DEP_1)
	v_add_co_ci_u32_e64 v9, s0, s23, v87, s0
	v_add_co_u32 v10, s0, v90, s22
	v_add_co_ci_u32_e64 v11, s0, s23, v91, s0
	global_load_b128 v[40:43], v[8:9], off
	global_load_b128 v[68:71], v[10:11], off
.LBB152_13:                             ;   in Loop: Header=BB152_9 Depth=1
	s_or_b32 exec_lo, exec_lo, s1
	v_add_co_u32 v8, s0, s42, v60
	s_delay_alu instid0(VALU_DEP_1) | instskip(SKIP_2) | instid1(VALU_DEP_2)
	v_add_co_ci_u32_e64 v9, s0, 0, v61, s0
	v_mov_b32_e32 v74, 0
	v_mov_b32_e32 v75, 0
	;; [unrolled: 1-line block ×3, first 2 shown]
	s_delay_alu instid0(VALU_DEP_4) | instskip(NEXT) | instid1(VALU_DEP_3)
	v_cmp_gt_u64_e64 s19, s[36:37], v[8:9]
	v_dual_mov_b32 v44, v74 :: v_dual_mov_b32 v45, v75
	v_dual_mov_b32 v79, v75 :: v_dual_mov_b32 v78, v74
	;; [unrolled: 1-line block ×3, first 2 shown]
	v_mov_b32_e32 v47, v75
	s_and_saveexec_b32 s1, s19
	s_cbranch_execz .LBB152_15
; %bb.14:                               ;   in Loop: Header=BB152_9 Depth=1
	v_add_co_u32 v8, s0, v100, s22
	s_delay_alu instid0(VALU_DEP_1) | instskip(SKIP_1) | instid1(VALU_DEP_1)
	v_add_co_ci_u32_e64 v9, s0, s23, v101, s0
	v_add_co_u32 v10, s0, v98, s22
	v_add_co_ci_u32_e64 v11, s0, s23, v99, s0
	global_load_b128 v[44:47], v[8:9], off offset:-8
	global_load_b128 v[76:79], v[10:11], off offset:-8
.LBB152_15:                             ;   in Loop: Header=BB152_9 Depth=1
	s_or_b32 exec_lo, exec_lo, s1
	v_add_co_u32 v8, s0, s43, v60
	s_delay_alu instid0(VALU_DEP_1) | instskip(SKIP_2) | instid1(VALU_DEP_3)
	v_add_co_ci_u32_e64 v9, s0, 0, v61, s0
	v_dual_mov_b32 v72, v74 :: v_dual_mov_b32 v73, v75
	v_dual_mov_b32 v58, v74 :: v_dual_mov_b32 v59, v75
	v_cmp_gt_u64_e64 s20, s[36:37], v[8:9]
	v_dual_mov_b32 v56, v74 :: v_dual_mov_b32 v57, v75
	s_delay_alu instid0(VALU_DEP_2)
	s_and_saveexec_b32 s1, s20
	s_cbranch_execnz .LBB152_20
; %bb.16:                               ;   in Loop: Header=BB152_9 Depth=1
	s_or_b32 exec_lo, exec_lo, s1
	s_and_saveexec_b32 s35, vcc_lo
	s_cbranch_execnz .LBB152_21
.LBB152_17:                             ;   in Loop: Header=BB152_9 Depth=1
	s_or_b32 exec_lo, exec_lo, s35
	s_and_saveexec_b32 s35, s18
	s_cbranch_execnz .LBB152_22
.LBB152_18:                             ;   in Loop: Header=BB152_9 Depth=1
	s_or_b32 exec_lo, exec_lo, s35
	s_and_saveexec_b32 s18, s19
	s_cbranch_execnz .LBB152_23
.LBB152_19:                             ;   in Loop: Header=BB152_9 Depth=1
	s_or_b32 exec_lo, exec_lo, s18
	s_and_saveexec_b32 s18, s20
	s_cbranch_execz .LBB152_8
	s_branch .LBB152_24
.LBB152_20:                             ;   in Loop: Header=BB152_9 Depth=1
	v_add_co_u32 v8, s0, v92, s22
	s_delay_alu instid0(VALU_DEP_1) | instskip(SKIP_1) | instid1(VALU_DEP_1)
	v_add_co_ci_u32_e64 v9, s0, s23, v93, s0
	v_add_co_u32 v10, s0, v88, s22
	v_add_co_ci_u32_e64 v11, s0, s23, v89, s0
	global_load_b128 v[56:59], v[8:9], off offset:-8
	global_load_b128 v[72:75], v[10:11], off offset:-8
	s_or_b32 exec_lo, exec_lo, s1
	s_and_saveexec_b32 s35, vcc_lo
	s_cbranch_execz .LBB152_17
.LBB152_21:                             ;   in Loop: Header=BB152_9 Depth=1
	s_waitcnt vmcnt(0)
	v_mul_f64 v[8:9], s[26:27], v[6:7]
	v_mul_f64 v[10:11], s[26:27], v[4:5]
	s_getpc_b64 s[0:1]
	s_add_u32 s0, s0, _ZNK2at6native12_GLOBAL__N_113power_functorIN3c107complexIdEEEclERKS5_S8_@rel32@lo+4
	s_addc_u32 s1, s1, _ZNK2at6native12_GLOBAL__N_113power_functorIN3c107complexIdEEEclERKS5_S8_@rel32@hi+12
	s_delay_alu instid0(VALU_DEP_2) | instskip(NEXT) | instid1(VALU_DEP_2)
	v_fma_f64 v[4:5], s[24:25], v[4:5], -v[8:9]
	v_fma_f64 v[6:7], s[24:25], v[6:7], v[10:11]
	s_swappc_b64 s[30:31], s[0:1]
	v_add_co_u32 v4, vcc_lo, v84, s22
	v_add_co_ci_u32_e32 v5, vcc_lo, s23, v85, vcc_lo
	global_store_b128 v[4:5], v[0:3], off offset:-8
	s_or_b32 exec_lo, exec_lo, s35
	s_and_saveexec_b32 s35, s18
	s_cbranch_execz .LBB152_18
.LBB152_22:                             ;   in Loop: Header=BB152_9 Depth=1
	s_waitcnt vmcnt(0)
	v_mul_f64 v[0:1], s[26:27], v[70:71]
	v_mul_f64 v[2:3], s[26:27], v[68:69]
	s_getpc_b64 s[0:1]
	s_add_u32 s0, s0, _ZNK2at6native12_GLOBAL__N_113power_functorIN3c107complexIdEEEclERKS5_S8_@rel32@lo+4
	s_addc_u32 s1, s1, _ZNK2at6native12_GLOBAL__N_113power_functorIN3c107complexIdEEEclERKS5_S8_@rel32@hi+12
	s_delay_alu instid0(VALU_DEP_2) | instskip(NEXT) | instid1(VALU_DEP_2)
	v_fma_f64 v[4:5], s[24:25], v[68:69], -v[0:1]
	v_fma_f64 v[6:7], s[24:25], v[70:71], v[2:3]
	v_dual_mov_b32 v0, v40 :: v_dual_mov_b32 v1, v41
	v_dual_mov_b32 v2, v42 :: v_dual_mov_b32 v3, v43
	s_swappc_b64 s[30:31], s[0:1]
	v_add_co_u32 v4, vcc_lo, v82, s22
	v_add_co_ci_u32_e32 v5, vcc_lo, s23, v83, vcc_lo
	global_store_b128 v[4:5], v[0:3], off
	s_or_b32 exec_lo, exec_lo, s35
	s_and_saveexec_b32 s18, s19
	s_cbranch_execz .LBB152_19
.LBB152_23:                             ;   in Loop: Header=BB152_9 Depth=1
	s_waitcnt vmcnt(0)
	v_mul_f64 v[0:1], s[26:27], v[78:79]
	v_mul_f64 v[2:3], s[26:27], v[76:77]
	s_getpc_b64 s[0:1]
	s_add_u32 s0, s0, _ZNK2at6native12_GLOBAL__N_113power_functorIN3c107complexIdEEEclERKS5_S8_@rel32@lo+4
	s_addc_u32 s1, s1, _ZNK2at6native12_GLOBAL__N_113power_functorIN3c107complexIdEEEclERKS5_S8_@rel32@hi+12
	s_delay_alu instid0(VALU_DEP_2) | instskip(NEXT) | instid1(VALU_DEP_2)
	v_fma_f64 v[4:5], s[24:25], v[76:77], -v[0:1]
	v_fma_f64 v[6:7], s[24:25], v[78:79], v[2:3]
	v_dual_mov_b32 v0, v44 :: v_dual_mov_b32 v1, v45
	v_dual_mov_b32 v2, v46 :: v_dual_mov_b32 v3, v47
	s_swappc_b64 s[30:31], s[0:1]
	v_add_co_u32 v4, vcc_lo, v96, s22
	v_add_co_ci_u32_e32 v5, vcc_lo, s23, v97, vcc_lo
	global_store_b128 v[4:5], v[0:3], off
	s_or_b32 exec_lo, exec_lo, s18
	s_and_saveexec_b32 s18, s20
	s_cbranch_execz .LBB152_8
.LBB152_24:                             ;   in Loop: Header=BB152_9 Depth=1
	s_waitcnt vmcnt(0)
	v_mul_f64 v[0:1], s[26:27], v[74:75]
	v_mul_f64 v[2:3], s[26:27], v[72:73]
	s_getpc_b64 s[0:1]
	s_add_u32 s0, s0, _ZNK2at6native12_GLOBAL__N_113power_functorIN3c107complexIdEEEclERKS5_S8_@rel32@lo+4
	s_addc_u32 s1, s1, _ZNK2at6native12_GLOBAL__N_113power_functorIN3c107complexIdEEEclERKS5_S8_@rel32@hi+12
	s_delay_alu instid0(VALU_DEP_2) | instskip(NEXT) | instid1(VALU_DEP_2)
	v_fma_f64 v[4:5], s[24:25], v[72:73], -v[0:1]
	v_fma_f64 v[6:7], s[24:25], v[74:75], v[2:3]
	v_dual_mov_b32 v0, v56 :: v_dual_mov_b32 v1, v57
	v_dual_mov_b32 v2, v58 :: v_dual_mov_b32 v3, v59
	s_swappc_b64 s[30:31], s[0:1]
	v_add_co_u32 v4, vcc_lo, v94, s22
	v_add_co_ci_u32_e32 v5, vcc_lo, s23, v95, vcc_lo
	global_store_b128 v[4:5], v[0:3], off offset:-8
	s_branch .LBB152_8
.LBB152_25:
	s_endpgm
	.section	.rodata,"a",@progbits
	.p2align	6, 0x0
	.amdhsa_kernel _ZN2at6native12_GLOBAL__N_125multi_tensor_apply_kernelINS1_18TensorListMetadataILi3EEENS1_24BinaryOpListAlphaFunctorIN3c107complexIdEELi3ELi2ELi2EEEJNS1_13power_functorIS8_EES8_EEEvT_T0_DpT1_
		.amdhsa_group_segment_fixed_size 0
		.amdhsa_private_segment_fixed_size 0
		.amdhsa_kernarg_size 3424
		.amdhsa_user_sgpr_count 15
		.amdhsa_user_sgpr_dispatch_ptr 0
		.amdhsa_user_sgpr_queue_ptr 0
		.amdhsa_user_sgpr_kernarg_segment_ptr 1
		.amdhsa_user_sgpr_dispatch_id 0
		.amdhsa_user_sgpr_private_segment_size 0
		.amdhsa_wavefront_size32 1
		.amdhsa_uses_dynamic_stack 0
		.amdhsa_enable_private_segment 0
		.amdhsa_system_sgpr_workgroup_id_x 1
		.amdhsa_system_sgpr_workgroup_id_y 0
		.amdhsa_system_sgpr_workgroup_id_z 0
		.amdhsa_system_sgpr_workgroup_info 0
		.amdhsa_system_vgpr_workitem_id 0
		.amdhsa_next_free_vgpr 102
		.amdhsa_next_free_sgpr 50
		.amdhsa_reserve_vcc 1
		.amdhsa_float_round_mode_32 0
		.amdhsa_float_round_mode_16_64 0
		.amdhsa_float_denorm_mode_32 3
		.amdhsa_float_denorm_mode_16_64 3
		.amdhsa_dx10_clamp 1
		.amdhsa_ieee_mode 1
		.amdhsa_fp16_overflow 0
		.amdhsa_workgroup_processor_mode 1
		.amdhsa_memory_ordered 1
		.amdhsa_forward_progress 0
		.amdhsa_shared_vgpr_count 0
		.amdhsa_exception_fp_ieee_invalid_op 0
		.amdhsa_exception_fp_denorm_src 0
		.amdhsa_exception_fp_ieee_div_zero 0
		.amdhsa_exception_fp_ieee_overflow 0
		.amdhsa_exception_fp_ieee_underflow 0
		.amdhsa_exception_fp_ieee_inexact 0
		.amdhsa_exception_int_div_zero 0
	.end_amdhsa_kernel
	.section	.text._ZN2at6native12_GLOBAL__N_125multi_tensor_apply_kernelINS1_18TensorListMetadataILi3EEENS1_24BinaryOpListAlphaFunctorIN3c107complexIdEELi3ELi2ELi2EEEJNS1_13power_functorIS8_EES8_EEEvT_T0_DpT1_,"axG",@progbits,_ZN2at6native12_GLOBAL__N_125multi_tensor_apply_kernelINS1_18TensorListMetadataILi3EEENS1_24BinaryOpListAlphaFunctorIN3c107complexIdEELi3ELi2ELi2EEEJNS1_13power_functorIS8_EES8_EEEvT_T0_DpT1_,comdat
.Lfunc_end152:
	.size	_ZN2at6native12_GLOBAL__N_125multi_tensor_apply_kernelINS1_18TensorListMetadataILi3EEENS1_24BinaryOpListAlphaFunctorIN3c107complexIdEELi3ELi2ELi2EEEJNS1_13power_functorIS8_EES8_EEEvT_T0_DpT1_, .Lfunc_end152-_ZN2at6native12_GLOBAL__N_125multi_tensor_apply_kernelINS1_18TensorListMetadataILi3EEENS1_24BinaryOpListAlphaFunctorIN3c107complexIdEELi3ELi2ELi2EEEJNS1_13power_functorIS8_EES8_EEEvT_T0_DpT1_
                                        ; -- End function
	.section	.AMDGPU.csdata,"",@progbits
; Kernel info:
; codeLenInByte = 2392
; NumSgprs: 52
; NumVgprs: 102
; ScratchSize: 0
; MemoryBound: 1
; FloatMode: 240
; IeeeMode: 1
; LDSByteSize: 0 bytes/workgroup (compile time only)
; SGPRBlocks: 6
; VGPRBlocks: 12
; NumSGPRsForWavesPerEU: 52
; NumVGPRsForWavesPerEU: 102
; Occupancy: 12
; WaveLimiterHint : 0
; COMPUTE_PGM_RSRC2:SCRATCH_EN: 0
; COMPUTE_PGM_RSRC2:USER_SGPR: 15
; COMPUTE_PGM_RSRC2:TRAP_HANDLER: 0
; COMPUTE_PGM_RSRC2:TGID_X_EN: 1
; COMPUTE_PGM_RSRC2:TGID_Y_EN: 0
; COMPUTE_PGM_RSRC2:TGID_Z_EN: 0
; COMPUTE_PGM_RSRC2:TIDIG_COMP_CNT: 0
	.section	.text._ZN2at6native12_GLOBAL__N_125multi_tensor_apply_kernelINS1_18TensorListMetadataILi3EEENS1_24BinaryOpListAlphaFunctorIN3c107complexIfEELi3ELi2ELi2EEEJNS1_13power_functorIS8_EES8_EEEvT_T0_DpT1_,"axG",@progbits,_ZN2at6native12_GLOBAL__N_125multi_tensor_apply_kernelINS1_18TensorListMetadataILi3EEENS1_24BinaryOpListAlphaFunctorIN3c107complexIfEELi3ELi2ELi2EEEJNS1_13power_functorIS8_EES8_EEEvT_T0_DpT1_,comdat
	.globl	_ZN2at6native12_GLOBAL__N_125multi_tensor_apply_kernelINS1_18TensorListMetadataILi3EEENS1_24BinaryOpListAlphaFunctorIN3c107complexIfEELi3ELi2ELi2EEEJNS1_13power_functorIS8_EES8_EEEvT_T0_DpT1_ ; -- Begin function _ZN2at6native12_GLOBAL__N_125multi_tensor_apply_kernelINS1_18TensorListMetadataILi3EEENS1_24BinaryOpListAlphaFunctorIN3c107complexIfEELi3ELi2ELi2EEEJNS1_13power_functorIS8_EES8_EEEvT_T0_DpT1_
	.p2align	8
	.type	_ZN2at6native12_GLOBAL__N_125multi_tensor_apply_kernelINS1_18TensorListMetadataILi3EEENS1_24BinaryOpListAlphaFunctorIN3c107complexIfEELi3ELi2ELi2EEEJNS1_13power_functorIS8_EES8_EEEvT_T0_DpT1_,@function
_ZN2at6native12_GLOBAL__N_125multi_tensor_apply_kernelINS1_18TensorListMetadataILi3EEENS1_24BinaryOpListAlphaFunctorIN3c107complexIfEELi3ELi2ELi2EEEJNS1_13power_functorIS8_EES8_EEEvT_T0_DpT1_: ; @_ZN2at6native12_GLOBAL__N_125multi_tensor_apply_kernelINS1_18TensorListMetadataILi3EEENS1_24BinaryOpListAlphaFunctorIN3c107complexIfEELi3ELi2ELi2EEEJNS1_13power_functorIS8_EES8_EEEvT_T0_DpT1_
; %bb.0:
	v_dual_mov_b32 v23, v0 :: v_dual_mov_b32 v0, s15
	s_mov_b64 s[16:17], s[0:1]
	s_mov_b32 s5, 0
	s_mov_b32 s32, 0
	s_load_b64 s[24:25], s[16:17], 0xc50
	global_load_u8 v0, v0, s[0:1] offset:1536
	s_add_u32 s0, s16, s15
	s_mul_hi_u32 s1, s15, 3
	s_mul_i32 s15, s15, 3
	s_addc_u32 s2, s17, 0
	s_add_u32 s0, s0, s15
	s_addc_u32 s1, s2, s1
	s_mov_b32 s7, s5
	s_load_b32 s0, s[0:1], 0x740
	s_waitcnt vmcnt(0)
	v_readfirstlane_b32 s1, v0
	s_delay_alu instid0(VALU_DEP_1)
	s_lshl_b32 s1, s1, 3
	s_clause 0x3
	s_load_b64 s[18:19], s[16:17], s1 offset:0x0
	s_load_b64 s[34:35], s[16:17], s1 offset:0x180
	;; [unrolled: 1-line block ×4, first 2 shown]
	s_waitcnt lgkmcnt(0)
	s_ashr_i32 s1, s0, 31
	s_delay_alu instid0(SALU_CYCLE_1) | instskip(NEXT) | instid1(SALU_CYCLE_1)
	s_lshl_b64 s[20:21], s[0:1], 19
	s_add_u32 s26, s18, s20
	s_addc_u32 s27, s19, s21
	s_add_u32 s28, s34, s20
	s_addc_u32 s29, s35, s21
	;; [unrolled: 2-line block ×3, first 2 shown]
	s_or_b32 s4, s33, s28
	s_lshl_b64 s[0:1], s[0:1], 16
	s_and_b32 s6, s4, 31
	s_and_b32 s4, s26, 31
	s_cmp_lg_u32 s6, 0
	s_cselect_b32 s8, -1, 0
	s_sub_u32 s22, s2, s0
	s_subb_u32 s23, s3, s1
	s_and_b32 s6, s2, 3
	s_delay_alu instid0(SALU_CYCLE_1) | instskip(NEXT) | instid1(SALU_CYCLE_1)
	s_or_b64 s[0:1], s[4:5], s[6:7]
	s_cmp_lg_u64 s[0:1], 0
	s_cselect_b32 s0, -1, 0
	s_delay_alu instid0(SALU_CYCLE_1) | instskip(NEXT) | instid1(SALU_CYCLE_1)
	s_or_b32 s0, s8, s0
	s_and_not1_b32 vcc_lo, exec_lo, s0
	s_mov_b32 s0, -1
	s_cbranch_vccz .LBB153_5
; %bb.1:
	v_dual_mov_b32 v33, 0 :: v_dual_lshlrev_b32 v32, 2, v23
	s_mov_b32 s39, exec_lo
	s_delay_alu instid0(VALU_DEP_1)
	v_cmpx_gt_i64_e64 s[22:23], v[32:33]
	s_cbranch_execz .LBB153_4
; %bb.2:
	s_load_b32 s0, s[16:17], 0xc64
	v_lshlrev_b32_e32 v34, 5, v23
	s_mov_b32 s40, 0
	s_waitcnt lgkmcnt(0)
	s_and_b32 s0, s0, 0xffff
	s_delay_alu instid0(SALU_CYCLE_1)
	v_add_lshl_u32 v32, v23, s0, 2
	s_lshl_b32 s41, s0, 2
	s_lshl_b32 s42, s0, 5
	s_getpc_b64 s[44:45]
	s_add_u32 s44, s44, _ZNK2at6native12_GLOBAL__N_113power_functorIN3c107complexIfEEEclERKS5_S8_@rel32@lo+4
	s_addc_u32 s45, s45, _ZNK2at6native12_GLOBAL__N_113power_functorIN3c107complexIfEEEclERKS5_S8_@rel32@hi+12
.LBB153_3:                              ; =>This Inner Loop Header: Depth=1
	v_add_co_u32 v0, s0, s28, v34
	s_delay_alu instid0(VALU_DEP_1) | instskip(SKIP_1) | instid1(VALU_DEP_1)
	v_add_co_ci_u32_e64 v1, null, s29, 0, s0
	v_add_co_u32 v2, s0, s26, v34
	v_add_co_ci_u32_e64 v3, null, s27, 0, s0
	global_load_b128 v[35:38], v[0:1], off
	global_load_b128 v[24:27], v[2:3], off
	global_load_b128 v[39:42], v[0:1], off offset:16
	global_load_b128 v[28:31], v[2:3], off offset:16
	s_waitcnt vmcnt(3)
	v_mul_f32_e32 v3, s24, v36
	s_waitcnt vmcnt(2)
	v_dual_mul_f32 v0, s25, v36 :: v_dual_mov_b32 v1, v25
	s_delay_alu instid0(VALU_DEP_2) | instskip(NEXT) | instid1(VALU_DEP_2)
	v_fmac_f32_e32 v3, s25, v35
	v_fma_f32 v2, v35, s24, -v0
	v_mov_b32_e32 v0, v24
	s_swappc_b64 s[30:31], s[44:45]
	s_delay_alu instid0(VALU_DEP_1) | instskip(SKIP_2) | instid1(VALU_DEP_2)
	v_dual_mov_b32 v24, v0 :: v_dual_mov_b32 v25, v1
	v_mul_f32_e32 v3, s24, v38
	v_dual_mul_f32 v0, s25, v38 :: v_dual_mov_b32 v1, v27
	v_fmac_f32_e32 v3, s25, v37
	s_delay_alu instid0(VALU_DEP_2) | instskip(SKIP_2) | instid1(VALU_DEP_1)
	v_fma_f32 v2, v37, s24, -v0
	v_mov_b32_e32 v0, v26
	s_swappc_b64 s[30:31], s[44:45]
	v_dual_mov_b32 v26, v0 :: v_dual_mov_b32 v27, v1
	v_mul_f32_e32 v3, s24, v40
	v_dual_mul_f32 v0, s25, v40 :: v_dual_mov_b32 v1, v29
	s_delay_alu instid0(VALU_DEP_2) | instskip(NEXT) | instid1(VALU_DEP_2)
	v_fmac_f32_e32 v3, s25, v39
	v_fma_f32 v2, v39, s24, -v0
	v_mov_b32_e32 v0, v28
	s_swappc_b64 s[30:31], s[44:45]
	s_delay_alu instid0(VALU_DEP_1) | instskip(SKIP_2) | instid1(VALU_DEP_2)
	v_dual_mov_b32 v28, v0 :: v_dual_mov_b32 v29, v1
	v_mul_f32_e32 v3, s24, v42
	v_dual_mul_f32 v0, s25, v42 :: v_dual_mov_b32 v1, v31
	v_fmac_f32_e32 v3, s25, v41
	s_delay_alu instid0(VALU_DEP_2) | instskip(SKIP_4) | instid1(VALU_DEP_3)
	v_fma_f32 v2, v41, s24, -v0
	v_mov_b32_e32 v0, v30
	s_swappc_b64 s[30:31], s[44:45]
	v_cmp_le_i64_e32 vcc_lo, s[22:23], v[32:33]
	v_cmp_lt_u64_e64 s0, 0xffff, v[32:33]
	v_dual_mov_b32 v30, v0 :: v_dual_mov_b32 v31, v1
	v_add_co_u32 v0, s1, s33, v34
	s_delay_alu instid0(VALU_DEP_1) | instskip(NEXT) | instid1(VALU_DEP_4)
	v_add_co_ci_u32_e64 v1, null, s38, 0, s1
	s_or_b32 s0, vcc_lo, s0
	s_add_u32 s26, s26, s42
	s_addc_u32 s27, s27, 0
	s_add_u32 s33, s33, s42
	v_add_co_u32 v32, s1, v32, s41
	s_addc_u32 s38, s38, 0
	s_add_u32 s28, s28, s42
	v_add_co_ci_u32_e64 v33, s1, 0, v33, s1
	s_addc_u32 s29, s29, 0
	s_and_b32 s0, exec_lo, s0
	s_clause 0x1
	global_store_b128 v[0:1], v[24:27], off
	global_store_b128 v[0:1], v[28:31], off offset:16
	s_or_b32 s40, s0, s40
	s_delay_alu instid0(SALU_CYCLE_1)
	s_and_not1_b32 exec_lo, exec_lo, s40
	s_cbranch_execnz .LBB153_3
.LBB153_4:
	s_or_b32 exec_lo, exec_lo, s39
	s_mov_b32 s0, 0
.LBB153_5:
	s_delay_alu instid0(SALU_CYCLE_1)
	s_and_not1_b32 vcc_lo, exec_lo, s0
	s_cbranch_vccnz .LBB153_25
; %bb.6:
	v_cmp_lt_i64_e64 s0, s[22:23], 1
	s_delay_alu instid0(VALU_DEP_1)
	s_and_b32 vcc_lo, exec_lo, s0
	s_cbranch_vccnz .LBB153_25
; %bb.7:
	s_load_b32 s0, s[16:17], 0xc64
	v_mov_b32_e32 v24, 0
	v_lshlrev_b32_e32 v4, 3, v23
	v_cmp_gt_u64_e64 s1, 0x10000, s[22:23]
	s_mov_b32 s27, 0
	s_delay_alu instid0(VALU_DEP_3) | instskip(NEXT) | instid1(VALU_DEP_3)
	v_mov_b32_e32 v1, v24
	v_or_b32_e32 v0, 4, v4
	s_delay_alu instid0(VALU_DEP_1) | instskip(NEXT) | instid1(VALU_DEP_1)
	v_add_co_u32 v37, s2, s34, v0
	v_add_co_ci_u32_e64 v38, null, s35, 0, s2
	v_add_co_u32 v39, s2, s18, v0
	s_delay_alu instid0(VALU_DEP_1)
	v_add_co_ci_u32_e64 v40, null, s19, 0, s2
	s_waitcnt lgkmcnt(0)
	s_and_b32 s33, s0, 0xffff
	s_and_b32 s0, s1, exec_lo
	v_add_lshl_u32 v5, v23, s33, 3
	v_mad_u64_u32 v[2:3], null, s33, 24, v[0:1]
	s_cselect_b32 s29, s23, 0
	s_cselect_b32 s28, s22, 0x10000
	s_delay_alu instid0(VALU_DEP_2) | instskip(NEXT) | instid1(VALU_DEP_1)
	v_add_co_u32 v41, s0, s36, v5
	v_add_co_ci_u32_e64 v42, null, s37, 0, s0
	v_add_co_u32 v43, s0, s36, v0
	s_delay_alu instid0(VALU_DEP_1) | instskip(SKIP_1) | instid1(VALU_DEP_1)
	v_add_co_ci_u32_e64 v44, null, s37, 0, s0
	v_add_co_u32 v45, s0, s18, v5
	v_add_co_ci_u32_e64 v46, null, s19, 0, s0
	v_add_co_u32 v49, s0, s34, v5
	v_add_co_u32 v47, vcc_lo, s34, v2
	v_add_co_ci_u32_e64 v50, null, s35, 0, s0
	s_lshl_b32 s0, s33, 4
	v_add_co_ci_u32_e32 v48, vcc_lo, s35, v3, vcc_lo
	v_add_co_u32 v0, s0, s0, v4
	v_add_co_u32 v51, vcc_lo, s18, v2
	v_add_co_ci_u32_e32 v52, vcc_lo, s19, v3, vcc_lo
	v_add_co_u32 v53, vcc_lo, s36, v2
	v_add_co_ci_u32_e64 v1, null, 0, 0, s0
	v_or_b32_e32 v2, 4, v0
	v_add_co_ci_u32_e32 v54, vcc_lo, s37, v3, vcc_lo
	v_add_co_u32 v55, vcc_lo, s36, v0
	s_delay_alu instid0(VALU_DEP_4) | instskip(NEXT) | instid1(VALU_DEP_4)
	v_add_co_ci_u32_e32 v56, vcc_lo, s37, v1, vcc_lo
	v_add_co_u32 v57, vcc_lo, s34, v2
	v_add_co_ci_u32_e32 v58, vcc_lo, s35, v1, vcc_lo
	v_add_co_u32 v59, vcc_lo, s18, v2
	v_add_co_ci_u32_e32 v60, vcc_lo, s19, v1, vcc_lo
	s_lshl_b32 s26, s33, 2
	s_lshl_b32 s38, s33, 1
	s_mul_i32 s39, s33, 3
	s_lshl_b32 s19, s33, 5
	s_mov_b64 s[34:35], s[26:27]
	s_branch .LBB153_9
.LBB153_8:                              ;   in Loop: Header=BB153_9 Depth=1
	s_or_b32 exec_lo, exec_lo, s16
	v_add_co_u32 v23, vcc_lo, v23, s26
	v_add_co_ci_u32_e32 v24, vcc_lo, 0, v24, vcc_lo
	v_add_co_u32 v37, vcc_lo, v37, s19
	v_add_co_ci_u32_e32 v38, vcc_lo, 0, v38, vcc_lo
	;; [unrolled: 2-line block ×11, first 2 shown]
	v_cmp_ge_i64_e64 s0, s[34:35], s[22:23]
	v_cmp_lt_u64_e64 s1, 0xffff, s[34:35]
	v_add_co_u32 v57, vcc_lo, v57, s19
	v_add_co_ci_u32_e32 v58, vcc_lo, 0, v58, vcc_lo
	v_add_co_u32 v59, vcc_lo, v59, s19
	v_add_co_ci_u32_e32 v60, vcc_lo, 0, v60, vcc_lo
	s_or_b32 s0, s0, s1
	s_add_u32 s34, s34, s26
	s_addc_u32 s35, s35, 0
	s_and_b32 vcc_lo, exec_lo, s0
	s_cbranch_vccnz .LBB153_25
.LBB153_9:                              ; =>This Inner Loop Header: Depth=1
	v_cmp_gt_u64_e32 vcc_lo, s[28:29], v[23:24]
	s_waitcnt vmcnt(1)
	v_dual_mov_b32 v26, 0 :: v_dual_mov_b32 v1, 0
	s_waitcnt vmcnt(0)
	v_dual_mov_b32 v0, 0 :: v_dual_mov_b32 v5, 0
	v_mov_b32_e32 v4, 0
	s_and_saveexec_b32 s1, vcc_lo
	s_cbranch_execz .LBB153_11
; %bb.10:                               ;   in Loop: Header=BB153_9 Depth=1
	v_add_co_u32 v0, s0, v39, s20
	s_delay_alu instid0(VALU_DEP_1) | instskip(SKIP_1) | instid1(VALU_DEP_1)
	v_add_co_ci_u32_e64 v1, s0, s21, v40, s0
	v_add_co_u32 v2, s0, v37, s20
	v_add_co_ci_u32_e64 v3, s0, s21, v38, s0
	global_load_b64 v[0:1], v[0:1], off offset:-4
	global_load_b64 v[4:5], v[2:3], off offset:-4
.LBB153_11:                             ;   in Loop: Header=BB153_9 Depth=1
	s_or_b32 exec_lo, exec_lo, s1
	v_add_co_u32 v2, s0, s33, v23
	s_delay_alu instid0(VALU_DEP_1) | instskip(SKIP_2) | instid1(VALU_DEP_3)
	v_add_co_ci_u32_e64 v3, s0, 0, v24, s0
	v_dual_mov_b32 v25, 0 :: v_dual_mov_b32 v32, 0
	v_mov_b32_e32 v31, 0
	v_cmp_gt_u64_e64 s16, s[28:29], v[2:3]
	s_delay_alu instid0(VALU_DEP_1)
	s_and_saveexec_b32 s1, s16
	s_cbranch_execz .LBB153_13
; %bb.12:                               ;   in Loop: Header=BB153_9 Depth=1
	v_add_co_u32 v2, s0, v45, s20
	s_delay_alu instid0(VALU_DEP_1) | instskip(SKIP_1) | instid1(VALU_DEP_1)
	v_add_co_ci_u32_e64 v3, s0, s21, v46, s0
	v_add_co_u32 v6, s0, v49, s20
	v_add_co_ci_u32_e64 v7, s0, s21, v50, s0
	global_load_b64 v[25:26], v[2:3], off
	global_load_b64 v[31:32], v[6:7], off
.LBB153_13:                             ;   in Loop: Header=BB153_9 Depth=1
	s_or_b32 exec_lo, exec_lo, s1
	v_add_co_u32 v2, s0, s38, v23
	s_delay_alu instid0(VALU_DEP_1) | instskip(SKIP_2) | instid1(VALU_DEP_3)
	v_add_co_ci_u32_e64 v3, s0, 0, v24, s0
	v_dual_mov_b32 v30, 0 :: v_dual_mov_b32 v29, 0
	v_dual_mov_b32 v28, 0 :: v_dual_mov_b32 v33, 0
	v_cmp_gt_u64_e64 s17, s[28:29], v[2:3]
	v_mov_b32_e32 v34, 0
	s_delay_alu instid0(VALU_DEP_2)
	s_and_saveexec_b32 s1, s17
	s_cbranch_execz .LBB153_15
; %bb.14:                               ;   in Loop: Header=BB153_9 Depth=1
	v_add_co_u32 v2, s0, v59, s20
	s_delay_alu instid0(VALU_DEP_1) | instskip(SKIP_1) | instid1(VALU_DEP_1)
	v_add_co_ci_u32_e64 v3, s0, s21, v60, s0
	v_add_co_u32 v6, s0, v57, s20
	v_add_co_ci_u32_e64 v7, s0, s21, v58, s0
	global_load_b64 v[29:30], v[2:3], off offset:-4
	global_load_b64 v[33:34], v[6:7], off offset:-4
.LBB153_15:                             ;   in Loop: Header=BB153_9 Depth=1
	s_or_b32 exec_lo, exec_lo, s1
	v_add_co_u32 v2, s0, s39, v23
	s_delay_alu instid0(VALU_DEP_1) | instskip(SKIP_2) | instid1(VALU_DEP_3)
	v_add_co_ci_u32_e64 v3, s0, 0, v24, s0
	v_dual_mov_b32 v27, 0 :: v_dual_mov_b32 v36, 0
	v_mov_b32_e32 v35, 0
	v_cmp_gt_u64_e64 s18, s[28:29], v[2:3]
	s_delay_alu instid0(VALU_DEP_1)
	s_and_saveexec_b32 s1, s18
	s_cbranch_execnz .LBB153_20
; %bb.16:                               ;   in Loop: Header=BB153_9 Depth=1
	s_or_b32 exec_lo, exec_lo, s1
	s_and_saveexec_b32 s27, vcc_lo
	s_cbranch_execnz .LBB153_21
.LBB153_17:                             ;   in Loop: Header=BB153_9 Depth=1
	s_or_b32 exec_lo, exec_lo, s27
	s_and_saveexec_b32 s27, s16
	s_cbranch_execnz .LBB153_22
.LBB153_18:                             ;   in Loop: Header=BB153_9 Depth=1
	s_or_b32 exec_lo, exec_lo, s27
	s_and_saveexec_b32 s16, s17
	s_cbranch_execnz .LBB153_23
.LBB153_19:                             ;   in Loop: Header=BB153_9 Depth=1
	s_or_b32 exec_lo, exec_lo, s16
	s_and_saveexec_b32 s16, s18
	s_cbranch_execz .LBB153_8
	s_branch .LBB153_24
.LBB153_20:                             ;   in Loop: Header=BB153_9 Depth=1
	v_add_co_u32 v2, s0, v51, s20
	s_delay_alu instid0(VALU_DEP_1) | instskip(SKIP_1) | instid1(VALU_DEP_1)
	v_add_co_ci_u32_e64 v3, s0, s21, v52, s0
	v_add_co_u32 v6, s0, v47, s20
	v_add_co_ci_u32_e64 v7, s0, s21, v48, s0
	global_load_b64 v[27:28], v[2:3], off offset:-4
	global_load_b64 v[35:36], v[6:7], off offset:-4
	s_or_b32 exec_lo, exec_lo, s1
	s_and_saveexec_b32 s27, vcc_lo
	s_cbranch_execz .LBB153_17
.LBB153_21:                             ;   in Loop: Header=BB153_9 Depth=1
	s_waitcnt vmcnt(0)
	v_dual_mul_f32 v2, s25, v5 :: v_dual_mul_f32 v3, s25, v4
	s_getpc_b64 s[0:1]
	s_add_u32 s0, s0, _ZNK2at6native12_GLOBAL__N_113power_functorIN3c107complexIfEEEclERKS5_S8_@rel32@lo+4
	s_addc_u32 s1, s1, _ZNK2at6native12_GLOBAL__N_113power_functorIN3c107complexIfEEEclERKS5_S8_@rel32@hi+12
	s_delay_alu instid0(VALU_DEP_1)
	v_fma_f32 v2, v4, s24, -v2
	v_fmac_f32_e32 v3, s24, v5
	s_swappc_b64 s[30:31], s[0:1]
	v_add_co_u32 v2, vcc_lo, v43, s20
	v_add_co_ci_u32_e32 v3, vcc_lo, s21, v44, vcc_lo
	global_store_b64 v[2:3], v[0:1], off offset:-4
	s_or_b32 exec_lo, exec_lo, s27
	s_and_saveexec_b32 s27, s16
	s_cbranch_execz .LBB153_18
.LBB153_22:                             ;   in Loop: Header=BB153_9 Depth=1
	s_waitcnt vmcnt(0)
	v_dual_mul_f32 v0, s25, v32 :: v_dual_mul_f32 v3, s25, v31
	v_mov_b32_e32 v1, v26
	s_getpc_b64 s[0:1]
	s_add_u32 s0, s0, _ZNK2at6native12_GLOBAL__N_113power_functorIN3c107complexIfEEEclERKS5_S8_@rel32@lo+4
	s_addc_u32 s1, s1, _ZNK2at6native12_GLOBAL__N_113power_functorIN3c107complexIfEEEclERKS5_S8_@rel32@hi+12
	v_fma_f32 v2, v31, s24, -v0
	v_dual_fmac_f32 v3, s24, v32 :: v_dual_mov_b32 v0, v25
	s_swappc_b64 s[30:31], s[0:1]
	v_add_co_u32 v2, vcc_lo, v41, s20
	v_add_co_ci_u32_e32 v3, vcc_lo, s21, v42, vcc_lo
	global_store_b64 v[2:3], v[0:1], off
	s_or_b32 exec_lo, exec_lo, s27
	s_and_saveexec_b32 s16, s17
	s_cbranch_execz .LBB153_19
.LBB153_23:                             ;   in Loop: Header=BB153_9 Depth=1
	s_waitcnt vmcnt(0)
	v_dual_mul_f32 v0, s25, v34 :: v_dual_mul_f32 v3, s25, v33
	v_mov_b32_e32 v1, v30
	s_getpc_b64 s[0:1]
	s_add_u32 s0, s0, _ZNK2at6native12_GLOBAL__N_113power_functorIN3c107complexIfEEEclERKS5_S8_@rel32@lo+4
	s_addc_u32 s1, s1, _ZNK2at6native12_GLOBAL__N_113power_functorIN3c107complexIfEEEclERKS5_S8_@rel32@hi+12
	v_fma_f32 v2, v33, s24, -v0
	v_dual_fmac_f32 v3, s24, v34 :: v_dual_mov_b32 v0, v29
	s_swappc_b64 s[30:31], s[0:1]
	v_add_co_u32 v2, vcc_lo, v55, s20
	v_add_co_ci_u32_e32 v3, vcc_lo, s21, v56, vcc_lo
	global_store_b64 v[2:3], v[0:1], off
	s_or_b32 exec_lo, exec_lo, s16
	s_and_saveexec_b32 s16, s18
	s_cbranch_execz .LBB153_8
.LBB153_24:                             ;   in Loop: Header=BB153_9 Depth=1
	s_waitcnt vmcnt(0)
	v_dual_mul_f32 v0, s25, v36 :: v_dual_mul_f32 v3, s25, v35
	v_mov_b32_e32 v1, v28
	s_getpc_b64 s[0:1]
	s_add_u32 s0, s0, _ZNK2at6native12_GLOBAL__N_113power_functorIN3c107complexIfEEEclERKS5_S8_@rel32@lo+4
	s_addc_u32 s1, s1, _ZNK2at6native12_GLOBAL__N_113power_functorIN3c107complexIfEEEclERKS5_S8_@rel32@hi+12
	v_fma_f32 v2, v35, s24, -v0
	v_dual_fmac_f32 v3, s24, v36 :: v_dual_mov_b32 v0, v27
	s_swappc_b64 s[30:31], s[0:1]
	v_add_co_u32 v2, vcc_lo, v53, s20
	v_add_co_ci_u32_e32 v3, vcc_lo, s21, v54, vcc_lo
	global_store_b64 v[2:3], v[0:1], off offset:-4
	s_branch .LBB153_8
.LBB153_25:
	s_endpgm
	.section	.rodata,"a",@progbits
	.p2align	6, 0x0
	.amdhsa_kernel _ZN2at6native12_GLOBAL__N_125multi_tensor_apply_kernelINS1_18TensorListMetadataILi3EEENS1_24BinaryOpListAlphaFunctorIN3c107complexIfEELi3ELi2ELi2EEEJNS1_13power_functorIS8_EES8_EEEvT_T0_DpT1_
		.amdhsa_group_segment_fixed_size 0
		.amdhsa_private_segment_fixed_size 0
		.amdhsa_kernarg_size 3416
		.amdhsa_user_sgpr_count 15
		.amdhsa_user_sgpr_dispatch_ptr 0
		.amdhsa_user_sgpr_queue_ptr 0
		.amdhsa_user_sgpr_kernarg_segment_ptr 1
		.amdhsa_user_sgpr_dispatch_id 0
		.amdhsa_user_sgpr_private_segment_size 0
		.amdhsa_wavefront_size32 1
		.amdhsa_uses_dynamic_stack 0
		.amdhsa_enable_private_segment 0
		.amdhsa_system_sgpr_workgroup_id_x 1
		.amdhsa_system_sgpr_workgroup_id_y 0
		.amdhsa_system_sgpr_workgroup_id_z 0
		.amdhsa_system_sgpr_workgroup_info 0
		.amdhsa_system_vgpr_workitem_id 0
		.amdhsa_next_free_vgpr 61
		.amdhsa_next_free_sgpr 46
		.amdhsa_reserve_vcc 1
		.amdhsa_float_round_mode_32 0
		.amdhsa_float_round_mode_16_64 0
		.amdhsa_float_denorm_mode_32 3
		.amdhsa_float_denorm_mode_16_64 3
		.amdhsa_dx10_clamp 1
		.amdhsa_ieee_mode 1
		.amdhsa_fp16_overflow 0
		.amdhsa_workgroup_processor_mode 1
		.amdhsa_memory_ordered 1
		.amdhsa_forward_progress 0
		.amdhsa_shared_vgpr_count 0
		.amdhsa_exception_fp_ieee_invalid_op 0
		.amdhsa_exception_fp_denorm_src 0
		.amdhsa_exception_fp_ieee_div_zero 0
		.amdhsa_exception_fp_ieee_overflow 0
		.amdhsa_exception_fp_ieee_underflow 0
		.amdhsa_exception_fp_ieee_inexact 0
		.amdhsa_exception_int_div_zero 0
	.end_amdhsa_kernel
	.section	.text._ZN2at6native12_GLOBAL__N_125multi_tensor_apply_kernelINS1_18TensorListMetadataILi3EEENS1_24BinaryOpListAlphaFunctorIN3c107complexIfEELi3ELi2ELi2EEEJNS1_13power_functorIS8_EES8_EEEvT_T0_DpT1_,"axG",@progbits,_ZN2at6native12_GLOBAL__N_125multi_tensor_apply_kernelINS1_18TensorListMetadataILi3EEENS1_24BinaryOpListAlphaFunctorIN3c107complexIfEELi3ELi2ELi2EEEJNS1_13power_functorIS8_EES8_EEEvT_T0_DpT1_,comdat
.Lfunc_end153:
	.size	_ZN2at6native12_GLOBAL__N_125multi_tensor_apply_kernelINS1_18TensorListMetadataILi3EEENS1_24BinaryOpListAlphaFunctorIN3c107complexIfEELi3ELi2ELi2EEEJNS1_13power_functorIS8_EES8_EEEvT_T0_DpT1_, .Lfunc_end153-_ZN2at6native12_GLOBAL__N_125multi_tensor_apply_kernelINS1_18TensorListMetadataILi3EEENS1_24BinaryOpListAlphaFunctorIN3c107complexIfEELi3ELi2ELi2EEEJNS1_13power_functorIS8_EES8_EEEvT_T0_DpT1_
                                        ; -- End function
	.section	.AMDGPU.csdata,"",@progbits
; Kernel info:
; codeLenInByte = 2108
; NumSgprs: 48
; NumVgprs: 61
; ScratchSize: 0
; MemoryBound: 0
; FloatMode: 240
; IeeeMode: 1
; LDSByteSize: 0 bytes/workgroup (compile time only)
; SGPRBlocks: 5
; VGPRBlocks: 7
; NumSGPRsForWavesPerEU: 48
; NumVGPRsForWavesPerEU: 61
; Occupancy: 16
; WaveLimiterHint : 0
; COMPUTE_PGM_RSRC2:SCRATCH_EN: 0
; COMPUTE_PGM_RSRC2:USER_SGPR: 15
; COMPUTE_PGM_RSRC2:TRAP_HANDLER: 0
; COMPUTE_PGM_RSRC2:TGID_X_EN: 1
; COMPUTE_PGM_RSRC2:TGID_Y_EN: 0
; COMPUTE_PGM_RSRC2:TGID_Z_EN: 0
; COMPUTE_PGM_RSRC2:TIDIG_COMP_CNT: 0
	.section	.text._ZN2at6native12_GLOBAL__N_125multi_tensor_apply_kernelINS1_18TensorListMetadataILi3EEENS1_24BinaryOpListAlphaFunctorIN3c108BFloat16ELi3ELi2ELi2EEEJNS1_13power_functorIfEEfEEEvT_T0_DpT1_,"axG",@progbits,_ZN2at6native12_GLOBAL__N_125multi_tensor_apply_kernelINS1_18TensorListMetadataILi3EEENS1_24BinaryOpListAlphaFunctorIN3c108BFloat16ELi3ELi2ELi2EEEJNS1_13power_functorIfEEfEEEvT_T0_DpT1_,comdat
	.globl	_ZN2at6native12_GLOBAL__N_125multi_tensor_apply_kernelINS1_18TensorListMetadataILi3EEENS1_24BinaryOpListAlphaFunctorIN3c108BFloat16ELi3ELi2ELi2EEEJNS1_13power_functorIfEEfEEEvT_T0_DpT1_ ; -- Begin function _ZN2at6native12_GLOBAL__N_125multi_tensor_apply_kernelINS1_18TensorListMetadataILi3EEENS1_24BinaryOpListAlphaFunctorIN3c108BFloat16ELi3ELi2ELi2EEEJNS1_13power_functorIfEEfEEEvT_T0_DpT1_
	.p2align	8
	.type	_ZN2at6native12_GLOBAL__N_125multi_tensor_apply_kernelINS1_18TensorListMetadataILi3EEENS1_24BinaryOpListAlphaFunctorIN3c108BFloat16ELi3ELi2ELi2EEEJNS1_13power_functorIfEEfEEEvT_T0_DpT1_,@function
_ZN2at6native12_GLOBAL__N_125multi_tensor_apply_kernelINS1_18TensorListMetadataILi3EEENS1_24BinaryOpListAlphaFunctorIN3c108BFloat16ELi3ELi2ELi2EEEJNS1_13power_functorIfEEfEEEvT_T0_DpT1_: ; @_ZN2at6native12_GLOBAL__N_125multi_tensor_apply_kernelINS1_18TensorListMetadataILi3EEENS1_24BinaryOpListAlphaFunctorIN3c108BFloat16ELi3ELi2ELi2EEEJNS1_13power_functorIfEEfEEEvT_T0_DpT1_
; %bb.0:
	v_mov_b32_e32 v1, s15
	s_add_u32 s2, s0, s15
	s_mul_hi_u32 s3, s15, 3
	s_mul_i32 s15, s15, 3
	s_addc_u32 s4, s1, 0
	global_load_u8 v1, v1, s[0:1] offset:1536
	s_load_b32 s33, s[0:1], 0xc4c
	s_add_u32 s2, s2, s15
	s_addc_u32 s3, s4, s3
	s_load_b32 s2, s[2:3], 0x740
	s_waitcnt vmcnt(0)
	v_readfirstlane_b32 s3, v1
	s_delay_alu instid0(VALU_DEP_1)
	s_lshl_b32 s3, s3, 3
	s_clause 0x3
	s_load_b64 s[38:39], s[0:1], s3 offset:0x180
	s_load_b64 s[36:37], s[0:1], s3 offset:0x300
	;; [unrolled: 1-line block ×4, first 2 shown]
	s_waitcnt lgkmcnt(0)
	s_ashr_i32 s3, s2, 31
	s_delay_alu instid0(SALU_CYCLE_1) | instskip(NEXT) | instid1(SALU_CYCLE_1)
	s_lshl_b64 s[30:31], s[2:3], 17
	s_add_u32 s6, s38, s30
	s_delay_alu instid0(SALU_CYCLE_1) | instskip(NEXT) | instid1(SALU_CYCLE_1)
	s_or_b32 s6, s36, s6
	s_and_b32 s7, s6, 7
	s_and_b32 s6, s40, 7
	s_cmp_lg_u32 s7, 0
	s_mov_b32 s7, 0
	s_cselect_b32 s10, -1, 0
	s_lshl_b64 s[2:3], s[2:3], 16
	s_mov_b32 s9, s7
	s_sub_u32 s34, s4, s2
	s_subb_u32 s35, s5, s3
	s_and_b32 s8, s4, 3
	s_delay_alu instid0(SALU_CYCLE_1) | instskip(NEXT) | instid1(SALU_CYCLE_1)
	s_or_b64 s[2:3], s[6:7], s[8:9]
	s_cmp_lg_u64 s[2:3], 0
	s_cselect_b32 s2, -1, 0
	s_delay_alu instid0(SALU_CYCLE_1) | instskip(NEXT) | instid1(SALU_CYCLE_1)
	s_or_b32 s2, s10, s2
	s_and_not1_b32 vcc_lo, exec_lo, s2
	s_mov_b32 s2, -1
	s_cbranch_vccz .LBB154_5
; %bb.1:
	v_dual_mov_b32 v2, 0 :: v_dual_lshlrev_b32 v1, 2, v0
	s_mov_b32 s42, exec_lo
	s_delay_alu instid0(VALU_DEP_1)
	v_cmpx_gt_i64_e64 s[34:35], v[1:2]
	s_cbranch_execz .LBB154_4
; %bb.2:
	s_load_b32 s2, s[0:1], 0xc5c
	v_lshlrev_b32_e32 v1, 3, v0
	s_mov_b32 s43, 0
	s_mov_b32 s46, 0x3e76c4e1
	s_delay_alu instid0(VALU_DEP_1) | instskip(NEXT) | instid1(VALU_DEP_1)
	v_add_co_u32 v9, s3, s30, v1
	v_add_co_ci_u32_e64 v10, null, s31, 0, s3
	s_waitcnt lgkmcnt(0)
	s_and_b32 s2, s2, 0xffff
	s_delay_alu instid0(SALU_CYCLE_1)
	v_add_lshl_u32 v1, v0, s2, 2
	s_lshl_b32 s44, s2, 3
	s_lshl_b32 s45, s2, 2
.LBB154_3:                              ; =>This Inner Loop Header: Depth=1
	v_add_co_u32 v3, vcc_lo, s38, v9
	v_add_co_ci_u32_e32 v4, vcc_lo, s39, v10, vcc_lo
	v_add_co_u32 v5, vcc_lo, s40, v9
	v_add_co_ci_u32_e32 v6, vcc_lo, s41, v10, vcc_lo
	v_add_co_u32 v7, vcc_lo, s36, v9
	global_load_b64 v[3:4], v[3:4], off
	global_load_b64 v[5:6], v[5:6], off
	v_add_co_ci_u32_e32 v8, vcc_lo, s37, v10, vcc_lo
	v_cmp_le_i64_e32 vcc_lo, s[34:35], v[1:2]
	v_cmp_lt_u64_e64 s2, 0xffff, v[1:2]
	v_add_co_u32 v9, s3, v9, s44
	s_delay_alu instid0(VALU_DEP_1) | instskip(SKIP_1) | instid1(VALU_DEP_4)
	v_add_co_ci_u32_e64 v10, s3, 0, v10, s3
	v_add_co_u32 v1, s3, v1, s45
	s_or_b32 s2, vcc_lo, s2
	v_add_co_ci_u32_e64 v2, s3, 0, v2, s3
	s_waitcnt vmcnt(1)
	v_and_b32_e32 v12, 0xffff0000, v3
	v_lshlrev_b32_e32 v11, 16, v3
	s_waitcnt vmcnt(0)
	v_and_b32_e32 v16, 0xffff0000, v5
	v_alignbit_b32 v3, v4, v3, 16
	v_and_b32_e32 v4, 0xffff0000, v4
	v_lshlrev_b32_e32 v14, 16, v5
	v_alignbit_b32 v5, v6, v5, 16
	s_delay_alu instid0(VALU_DEP_3) | instskip(NEXT) | instid1(VALU_DEP_3)
	v_mul_f32_e32 v13, s33, v4
	v_cmp_eq_f32_e64 s5, 1.0, v14
	s_delay_alu instid0(VALU_DEP_3) | instskip(SKIP_1) | instid1(VALU_DEP_1)
	v_and_b32_e32 v18, 0xffff0000, v5
	v_and_b32_e32 v5, 0xffff0000, v3
	v_dual_mul_f32 v15, s33, v5 :: v_dual_mul_f32 v12, s33, v12
	v_dual_mul_f32 v6, s33, v11 :: v_dual_and_b32 v17, 0xffff0000, v6
	s_delay_alu instid0(VALU_DEP_1) | instskip(NEXT) | instid1(VALU_DEP_2)
	v_cmp_eq_f32_e64 s6, 1.0, v17
	v_cndmask_b32_e64 v3, v6, 1.0, s5
	v_cndmask_b32_e64 v11, |v6|, 1.0, s5
	s_delay_alu instid0(VALU_DEP_3) | instskip(NEXT) | instid1(VALU_DEP_3)
	v_cndmask_b32_e64 v5, v13, 1.0, s6
	v_cmp_eq_f32_e64 s5, 0, v3
	v_mul_f32_e32 v21, 0.5, v3
	v_cmp_eq_f32_e64 s4, 1.0, v16
	v_trunc_f32_e32 v20, v3
	v_cmp_eq_f32_e64 s10, 0, v5
	v_cndmask_b32_e64 v19, |v14|, 1.0, s5
	v_cmp_neq_f32_e64 s9, v3, v11
	v_cndmask_b32_e64 v4, v12, 1.0, s4
	v_cndmask_b32_e64 v12, |v12|, 1.0, s4
	v_cndmask_b32_e64 v25, |v17|, 1.0, s10
	v_frexp_mant_f32_e32 v28, v19
	v_cmp_gt_f32_e64 s12, 1.0, v19
	v_cmp_eq_f32_e64 s7, 0, v4
	v_cndmask_b32_e64 v13, |v13|, 1.0, s6
	v_frexp_mant_f32_e32 v41, v25
	v_cmp_gt_f32_e64 s22, 0x3f2aaaab, v28
	v_cndmask_b32_e64 v14, v14, 1.0, s5
	v_cndmask_b32_e64 v23, |v16|, 1.0, s7
	v_cmp_eq_f32_e64 s6, v20, v3
	v_trunc_f32_e32 v20, v21
	v_cndmask_b32_e64 v42, 1.0, 2.0, s22
	v_trunc_f32_e32 v26, v5
	v_mul_f32_e32 v27, 0.5, v5
	v_cndmask_b32_e64 v16, v16, 1.0, s7
	v_cmp_gt_f32_e64 s28, 0x3f2aaaab, v41
	v_mul_f32_e32 v42, v28, v42
	s_xor_b32 s9, s9, s12
	v_cmp_gt_f32_e64 s15, 0, v3
	v_cmp_neq_f32_e64 s11, v4, v12
	v_cmp_gt_f32_e64 s14, 1.0, v23
	v_add_f32_e32 v47, -1.0, v42
	v_cmp_eq_f32_e64 s4, 1.0, v18
	v_cmp_neq_f32_e64 s23, v20, v21
	v_cndmask_b32_e64 v20, v11, 0, s9
	v_cmp_eq_f32_e64 s9, 0, v14
	v_cmp_gt_f32_e64 s16, 0, v4
	v_cndmask_b32_e64 v6, v15, 1.0, s4
	v_cndmask_b32_e64 v17, v17, 1.0, s10
	v_cmp_eq_f32_e64 s10, v26, v5
	v_trunc_f32_e32 v26, v27
	v_cmp_eq_f32_e64 s12, 0, v16
	v_cmp_eq_f32_e64 s18, 0, v6
	v_cndmask_b32_e64 v45, 1.0, 2.0, s28
	v_trunc_f32_e32 v22, v4
	v_mul_f32_e32 v24, 0.5, v4
	s_xor_b32 s11, s11, s14
	v_cndmask_b32_e64 v39, |v18|, 1.0, s18
	s_xor_b32 s15, s15, s9
	v_frexp_mant_f32_e32 v29, v23
	v_dual_mul_f32 v40, 0.5, v6 :: v_dual_mul_f32 v41, v41, v45
	s_delay_alu instid0(VALU_DEP_3)
	v_frexp_mant_f32_e32 v44, v39
	v_cmp_eq_f32_e64 s24, 1.0, v19
	v_cndmask_b32_e64 v43, v12, 0, s11
	v_cmp_eq_f32_e64 s27, 1.0, v23
	v_cmp_neq_f32_e64 s29, v26, v27
	v_cndmask_b32_e64 v27, 0x7f800000, 0, s15
	s_xor_b32 s15, s16, s12
	v_cmp_gt_f32_e64 s16, 0x3f2aaaab, v44
	v_cndmask_b32_e64 v15, |v15|, 1.0, s4
	v_cmp_neq_f32_e64 s13, v5, v13
	v_cmp_eq_f32_e64 s8, v22, v4
	v_trunc_f32_e32 v22, v24
	v_trunc_f32_e32 v30, v6
	v_cmp_gt_f32_e64 s21, 1.0, v25
	v_cvt_f64_f32_e32 v[31:32], v19
	v_cmp_eq_f32_e64 s4, 0x7f800000, v19
	v_cvt_f64_f32_e32 v[33:34], v23
	v_cmp_eq_f32_e64 s5, 0x7f800000, v23
	v_cmp_gt_f32_e64 s25, 0x3f2aaaab, v29
	v_cndmask_b32_e64 v19, v20, v19, s24
	v_cndmask_b32_e64 v20, v43, v23, s27
	v_cndmask_b32_e64 v23, 1.0, 2.0, s16
	v_add_f32_e32 v51, 1.0, v41
	v_cmp_neq_f32_e64 s19, v6, v15
	v_cndmask_b32_e64 v18, v18, 1.0, s18
	v_cmp_gt_f32_e64 s18, 1.0, v39
	v_cvt_f64_f32_e32 v[35:36], v25
	v_cmp_neq_f32_e64 s26, v22, v24
	v_cmp_eq_f32_e64 s14, v30, v6
	v_trunc_f32_e32 v30, v40
	s_xor_b32 s13, s13, s21
	v_cndmask_b32_e64 v21, 1.0, 2.0, s25
	v_cndmask_b32_e64 v26, v13, 0, s13
	v_cmp_eq_f32_e64 s21, 1.0, v25
	v_add_f32_e32 v56, -1.0, v51
	v_mul_f32_e32 v44, v44, v23
	v_cmp_gt_f32_e64 s17, 0, v5
	v_cmp_eq_f32_e64 s13, 0, v17
	v_cndmask_b32_e64 v28, 0x7f800000, 0, s15
	s_xor_b32 s15, s19, s18
	v_cmp_gt_f32_e64 s20, 0, v6
	s_and_b32 s23, s6, s23
	s_and_b32 s24, s8, s26
	v_cmp_neq_f32_e64 s26, v30, v40
	v_cndmask_b32_e64 v40, v15, 0, s15
	v_cmp_eq_f32_e64 s18, 1.0, v39
	v_cmp_eq_f32_e64 s15, 0, v18
	v_cndmask_b32_e64 v43, 0, v16, s24
	v_dual_add_f32 v48, 1.0, v42 :: v_dual_add_f32 v55, 1.0, v44
	v_mul_f32_e32 v46, v29, v21
	v_cndmask_b32_e64 v21, v26, v25, s21
	v_cndmask_b32_e64 v26, 0, v14, s23
	s_xor_b32 s17, s17, s13
	v_cvt_f64_f32_e32 v[37:38], v39
	v_cmp_eq_f32_e64 s7, 0x7f800000, v25
	v_cndmask_b32_e64 v25, 0x7f800000, 0, s17
	s_and_b32 s17, s14, s26
	v_cndmask_b32_e64 v23, v40, v39, s18
	s_xor_b32 s18, s20, s15
	v_cmp_eq_f32_e64 s11, 0x7f800000, v39
	v_cndmask_b32_e64 v39, 0x7f800000, 0, s18
	v_bfi_b32 v26, 0x7fffffff, v27, v26
	v_bfi_b32 v27, 0x7fffffff, v28, v43
	v_dual_add_f32 v43, -1.0, v48 :: v_dual_add_f32 v50, 1.0, v46
	v_cndmask_b32_e64 v28, 0, v18, s17
	v_dual_add_f32 v49, -1.0, v46 :: v_dual_add_f32 v40, -1.0, v41
	v_rcp_f32_e32 v57, v51
	v_sub_f32_e32 v41, v41, v56
	s_delay_alu instid0(VALU_DEP_3)
	v_bfi_b32 v28, 0x7fffffff, v39, v28
	v_sub_f32_e32 v39, v42, v43
	v_rcp_f32_e32 v53, v50
	v_rcp_f32_e32 v43, v55
	s_and_b32 s19, s10, s29
	v_frexp_exp_i32_f64_e32 v31, v[31:32]
	v_cndmask_b32_e64 v45, 0, v17, s19
	v_frexp_exp_i32_f64_e32 v32, v[33:34]
	v_mul_f32_e32 v58, v40, v57
	v_add_f32_e32 v54, -1.0, v44
	v_frexp_exp_i32_f64_e32 v33, v[35:36]
	v_bfi_b32 v25, 0x7fffffff, v25, v45
	v_mul_f32_e32 v56, v49, v53
	v_add_f32_e32 v52, -1.0, v50
	v_dual_mul_f32 v61, v51, v58 :: v_dual_mul_f32 v60, v54, v43
	v_rcp_f32_e32 v45, v48
	s_delay_alu instid0(VALU_DEP_3) | instskip(NEXT) | instid1(VALU_DEP_3)
	v_mul_f32_e32 v59, v50, v56
	v_sub_f32_e32 v42, v46, v52
	v_cndmask_b32_e64 v30, 1.0, v18, s17
	v_cndmask_b32_e64 v29, 1.0, v17, s19
	v_frexp_exp_i32_f64_e32 v37, v[37:38]
	v_fma_f32 v35, v56, v50, -v59
	v_add_f32_e32 v46, -1.0, v55
	v_cndmask_b32_e64 v22, 1.0, v14, s23
	v_cndmask_b32_e64 v24, 1.0, v16, s24
	s_or_b32 s5, s5, s12
	v_dual_fmac_f32 v35, v56, v42 :: v_dual_mul_f32 v36, v55, v60
	v_sub_f32_e32 v44, v44, v46
	s_or_b32 s4, s4, s9
	s_or_b32 s7, s7, s13
	s_delay_alu instid0(VALU_DEP_2) | instskip(NEXT) | instid1(VALU_DEP_1)
	v_fma_f32 v38, v60, v55, -v36
	v_fmac_f32_e32 v38, v60, v44
	s_delay_alu instid0(VALU_DEP_1) | instskip(NEXT) | instid1(VALU_DEP_1)
	v_dual_mul_f32 v52, v47, v45 :: v_dual_add_f32 v55, v36, v38
	v_mul_f32_e32 v46, v48, v52
	v_subrev_co_ci_u32_e64 v32, s17, 0, v32, s25
	v_subrev_co_ci_u32_e64 v31, s17, 0, v31, s22
	s_delay_alu instid0(VALU_DEP_3) | instskip(NEXT) | instid1(VALU_DEP_3)
	v_fma_f32 v34, v52, v48, -v46
	v_cvt_f32_i32_e32 v32, v32
	v_subrev_co_ci_u32_e64 v33, s17, 0, v33, s28
	s_delay_alu instid0(VALU_DEP_4) | instskip(NEXT) | instid1(VALU_DEP_4)
	v_cvt_f32_i32_e32 v31, v31
	v_fmac_f32_e32 v34, v52, v39
	s_delay_alu instid0(VALU_DEP_3) | instskip(NEXT) | instid1(VALU_DEP_2)
	v_cvt_f32_i32_e32 v33, v33
	v_add_f32_e32 v39, v46, v34
	v_subrev_co_ci_u32_e64 v37, s16, 0, v37, s16
	s_delay_alu instid0(VALU_DEP_2) | instskip(SKIP_1) | instid1(VALU_DEP_3)
	v_sub_f32_e32 v44, v39, v46
	v_sub_f32_e32 v46, v47, v39
	v_cvt_f32_i32_e32 v37, v37
	s_delay_alu instid0(VALU_DEP_3) | instskip(NEXT) | instid1(VALU_DEP_3)
	v_sub_f32_e32 v34, v44, v34
	v_sub_f32_e32 v47, v47, v46
	v_fma_f32 v48, v58, v51, -v61
	s_delay_alu instid0(VALU_DEP_1) | instskip(SKIP_1) | instid1(VALU_DEP_1)
	v_dual_sub_f32 v39, v47, v39 :: v_dual_fmac_f32 v48, v58, v41
	v_add_f32_e32 v41, v59, v35
	v_sub_f32_e32 v51, v49, v41
	v_sub_f32_e32 v50, v41, v59
	s_delay_alu instid0(VALU_DEP_2) | instskip(NEXT) | instid1(VALU_DEP_2)
	v_sub_f32_e32 v44, v49, v51
	v_sub_f32_e32 v35, v50, v35
	v_dual_sub_f32 v49, v54, v55 :: v_dual_sub_f32 v36, v55, v36
	s_delay_alu instid0(VALU_DEP_3) | instskip(NEXT) | instid1(VALU_DEP_1)
	v_sub_f32_e32 v41, v44, v41
	v_dual_sub_f32 v36, v36, v38 :: v_dual_add_f32 v35, v35, v41
	s_delay_alu instid0(VALU_DEP_1) | instskip(NEXT) | instid1(VALU_DEP_1)
	v_dual_add_f32 v42, v61, v48 :: v_dual_add_f32 v35, v51, v35
	v_sub_f32_e32 v59, v42, v61
	v_sub_f32_e32 v61, v40, v42
	s_delay_alu instid0(VALU_DEP_2) | instskip(NEXT) | instid1(VALU_DEP_2)
	v_dual_mul_f32 v35, v53, v35 :: v_dual_sub_f32 v48, v59, v48
	v_sub_f32_e32 v40, v40, v61
	v_add_f32_e32 v34, v34, v39
	s_delay_alu instid0(VALU_DEP_2) | instskip(NEXT) | instid1(VALU_DEP_1)
	v_sub_f32_e32 v40, v40, v42
	v_dual_mul_f32 v42, 0x3f317218, v31 :: v_dual_add_f32 v39, v48, v40
	v_add_f32_e32 v40, v56, v35
	v_sub_f32_e32 v44, v54, v49
	s_delay_alu instid0(VALU_DEP_2) | instskip(NEXT) | instid1(VALU_DEP_2)
	v_sub_f32_e32 v48, v40, v56
	v_sub_f32_e32 v38, v44, v55
	v_fma_f32 v55, 0x3f317218, v31, -v42
	s_delay_alu instid0(VALU_DEP_3) | instskip(NEXT) | instid1(VALU_DEP_2)
	v_dual_mul_f32 v44, 0x3f317218, v33 :: v_dual_sub_f32 v35, v35, v48
	v_dual_add_f32 v36, v36, v38 :: v_dual_fmac_f32 v55, 0xb102e308, v31
	v_add_f32_e32 v38, v61, v39
	s_delay_alu instid0(VALU_DEP_3) | instskip(NEXT) | instid1(VALU_DEP_3)
	v_add_f32_e32 v62, v35, v35
	v_add_f32_e32 v36, v49, v36
	v_mul_f32_e32 v49, v40, v40
	v_ldexp_f32 v63, v35, 1
	s_delay_alu instid0(VALU_DEP_3) | instskip(SKIP_1) | instid1(VALU_DEP_4)
	v_mul_f32_e32 v36, v43, v36
	v_mul_f32_e32 v43, 0x3f317218, v32
	v_fma_f32 v48, v40, v40, -v49
	s_delay_alu instid0(VALU_DEP_2) | instskip(NEXT) | instid1(VALU_DEP_2)
	v_fma_f32 v56, 0x3f317218, v32, -v43
	v_fmac_f32_e32 v48, v40, v62
	s_delay_alu instid0(VALU_DEP_1) | instskip(NEXT) | instid1(VALU_DEP_3)
	v_add_f32_e32 v69, v49, v48
	v_fmac_f32_e32 v56, 0xb102e308, v32
	v_ldexp_f32 v50, v40, 1
	s_delay_alu instid0(VALU_DEP_3) | instskip(NEXT) | instid1(VALU_DEP_3)
	v_sub_f32_e32 v49, v69, v49
	v_dual_add_f32 v67, v43, v56 :: v_dual_mul_f32 v70, v40, v69
	s_delay_alu instid0(VALU_DEP_1) | instskip(NEXT) | instid1(VALU_DEP_2)
	v_dual_sub_f32 v48, v48, v49 :: v_dual_sub_f32 v43, v67, v43
	v_fma_f32 v49, v69, v40, -v70
	s_delay_alu instid0(VALU_DEP_2) | instskip(SKIP_1) | instid1(VALU_DEP_3)
	v_sub_f32_e32 v43, v56, v43
	v_dual_add_f32 v51, v60, v36 :: v_dual_add_f32 v34, v46, v34
	v_fmac_f32_e32 v49, v69, v35
	s_delay_alu instid0(VALU_DEP_2) | instskip(NEXT) | instid1(VALU_DEP_2)
	v_dual_sub_f32 v59, v51, v60 :: v_dual_mul_f32 v34, v45, v34
	v_dual_mul_f32 v60, v51, v51 :: v_dual_fmac_f32 v49, v48, v40
	v_ldexp_f32 v61, v51, 1
	s_delay_alu instid0(VALU_DEP_3) | instskip(NEXT) | instid1(VALU_DEP_4)
	v_sub_f32_e32 v36, v36, v59
	v_add_f32_e32 v39, v52, v34
	s_delay_alu instid0(VALU_DEP_4) | instskip(NEXT) | instid1(VALU_DEP_2)
	v_fma_f32 v59, v51, v51, -v60
	v_sub_f32_e32 v45, v39, v52
	v_mul_f32_e32 v46, v39, v39
	v_ldexp_f32 v47, v39, 1
	s_delay_alu instid0(VALU_DEP_3) | instskip(NEXT) | instid1(VALU_DEP_3)
	v_sub_f32_e32 v34, v34, v45
	v_fma_f32 v45, v39, v39, -v46
	s_delay_alu instid0(VALU_DEP_2) | instskip(NEXT) | instid1(VALU_DEP_1)
	v_add_f32_e32 v32, v34, v34
	v_fmac_f32_e32 v45, v39, v32
	v_add_f32_e32 v32, v36, v36
	v_dual_mul_f32 v38, v57, v38 :: v_dual_mul_f32 v57, 0x3f317218, v37
	s_delay_alu instid0(VALU_DEP_2) | instskip(NEXT) | instid1(VALU_DEP_2)
	v_dual_add_f32 v68, v46, v45 :: v_dual_fmac_f32 v59, v51, v32
	v_add_f32_e32 v41, v58, v38
	s_delay_alu instid0(VALU_DEP_3) | instskip(NEXT) | instid1(VALU_DEP_3)
	v_fma_f32 v31, 0x3f317218, v37, -v57
	v_sub_f32_e32 v46, v68, v46
	s_delay_alu instid0(VALU_DEP_3) | instskip(SKIP_1) | instid1(VALU_DEP_4)
	v_dual_add_f32 v71, v60, v59 :: v_dual_sub_f32 v52, v41, v58
	v_mul_f32_e32 v53, v41, v41
	v_fmac_f32_e32 v31, 0xb102e308, v37
	s_delay_alu instid0(VALU_DEP_3) | instskip(NEXT) | instid1(VALU_DEP_4)
	v_dual_sub_f32 v45, v45, v46 :: v_dual_mul_f32 v74, v51, v71
	v_sub_f32_e32 v38, v38, v52
	s_delay_alu instid0(VALU_DEP_4) | instskip(SKIP_1) | instid1(VALU_DEP_3)
	v_fma_f32 v52, v41, v41, -v53
	v_ldexp_f32 v54, v41, 1
	v_add_f32_e32 v64, v38, v38
	v_ldexp_f32 v65, v38, 1
	s_delay_alu instid0(VALU_DEP_2) | instskip(SKIP_1) | instid1(VALU_DEP_2)
	v_fmac_f32_e32 v52, v41, v64
	v_add_f32_e32 v64, v57, v31
	v_add_f32_e32 v32, v53, v52
	s_delay_alu instid0(VALU_DEP_1) | instskip(SKIP_2) | instid1(VALU_DEP_3)
	v_sub_f32_e32 v53, v32, v53
	v_mul_f32_e32 v73, v41, v32
	v_sub_f32_e32 v60, v71, v60
	v_sub_f32_e32 v52, v52, v53
	s_delay_alu instid0(VALU_DEP_3) | instskip(NEXT) | instid1(VALU_DEP_3)
	v_fma_f32 v53, v32, v41, -v73
	v_sub_f32_e32 v59, v59, v60
	v_fma_f32 v60, v71, v51, -v74
	v_ldexp_f32 v62, v36, 1
	s_delay_alu instid0(VALU_DEP_4) | instskip(NEXT) | instid1(VALU_DEP_1)
	v_dual_fmac_f32 v53, v32, v38 :: v_dual_add_f32 v66, v42, v55
	v_dual_fmac_f32 v60, v71, v36 :: v_dual_fmac_f32 v53, v52, v41
	s_delay_alu instid0(VALU_DEP_2) | instskip(SKIP_1) | instid1(VALU_DEP_3)
	v_sub_f32_e32 v42, v66, v42
	v_fmaak_f32 v56, s46, v68, 0x3e91f4c4
	v_dual_fmac_f32 v60, v59, v51 :: v_dual_add_f32 v51, v73, v53
	s_delay_alu instid0(VALU_DEP_3) | instskip(SKIP_2) | instid1(VALU_DEP_3)
	v_dual_sub_f32 v42, v55, v42 :: v_dual_sub_f32 v55, v64, v57
	v_mul_f32_e32 v57, v39, v68
	v_fma_f32 v58, 0x3f317218, v33, -v44
	v_sub_f32_e32 v31, v31, v55
	v_fmaak_f32 v55, v68, v56, 0x3ecccdef
	s_delay_alu instid0(VALU_DEP_4) | instskip(NEXT) | instid1(VALU_DEP_4)
	v_fma_f32 v46, v68, v39, -v57
	v_fmac_f32_e32 v58, 0xb102e308, v33
	v_ldexp_f32 v33, v34, 1
	s_delay_alu instid0(VALU_DEP_3) | instskip(SKIP_1) | instid1(VALU_DEP_2)
	v_fmac_f32_e32 v46, v68, v34
	v_mul_f32_e32 v34, v68, v55
	v_dual_add_f32 v37, v44, v58 :: v_dual_fmac_f32 v46, v45, v39
	s_delay_alu instid0(VALU_DEP_2) | instskip(NEXT) | instid1(VALU_DEP_2)
	v_fma_f32 v39, v68, v55, -v34
	v_dual_add_f32 v68, v74, v60 :: v_dual_add_f32 v41, v57, v46
	s_delay_alu instid0(VALU_DEP_2) | instskip(NEXT) | instid1(VALU_DEP_1)
	v_fmac_f32_e32 v39, v45, v55
	v_dual_sub_f32 v44, v37, v44 :: v_dual_add_f32 v55, v34, v39
	s_delay_alu instid0(VALU_DEP_1) | instskip(SKIP_1) | instid1(VALU_DEP_3)
	v_sub_f32_e32 v44, v58, v44
	v_fmaak_f32 v58, s46, v69, 0x3e91f4c4
	v_sub_f32_e32 v34, v55, v34
	s_delay_alu instid0(VALU_DEP_2) | instskip(SKIP_1) | instid1(VALU_DEP_2)
	v_fmaak_f32 v56, v69, v58, 0x3ecccdef
	v_fmaak_f32 v58, s46, v71, 0x3e91f4c4
	v_dual_sub_f32 v34, v39, v34 :: v_dual_mul_f32 v35, v69, v56
	s_delay_alu instid0(VALU_DEP_1) | instskip(NEXT) | instid1(VALU_DEP_2)
	v_add_f32_e32 v34, 0x31739010, v34
	v_fma_f32 v40, v69, v56, -v35
	v_dual_sub_f32 v69, v68, v74 :: v_dual_fmaak_f32 v72, s46, v32, 0x3e91f4c4
	s_delay_alu instid0(VALU_DEP_2) | instskip(NEXT) | instid1(VALU_DEP_2)
	v_fmac_f32_e32 v40, v48, v56
	v_sub_f32_e32 v60, v60, v69
	s_delay_alu instid0(VALU_DEP_3) | instskip(NEXT) | instid1(VALU_DEP_1)
	v_fmaak_f32 v72, v32, v72, 0x3ecccdef
	v_mul_f32_e32 v38, v32, v72
	s_delay_alu instid0(VALU_DEP_1) | instskip(NEXT) | instid1(VALU_DEP_1)
	v_fma_f32 v32, v32, v72, -v38
	v_fmac_f32_e32 v32, v52, v72
	v_dual_sub_f32 v52, v41, v57 :: v_dual_add_f32 v57, v35, v40
	s_delay_alu instid0(VALU_DEP_1) | instskip(SKIP_1) | instid1(VALU_DEP_3)
	v_sub_f32_e32 v46, v46, v52
	v_add_f32_e32 v52, 0x3f2aaaaa, v55
	v_sub_f32_e32 v35, v57, v35
	s_delay_alu instid0(VALU_DEP_2) | instskip(NEXT) | instid1(VALU_DEP_2)
	v_add_f32_e32 v39, 0xbf2aaaaa, v52
	v_sub_f32_e32 v35, v40, v35
	s_delay_alu instid0(VALU_DEP_2) | instskip(SKIP_1) | instid1(VALU_DEP_3)
	v_sub_f32_e32 v39, v55, v39
	v_add_f32_e32 v45, v70, v49
	v_add_f32_e32 v35, 0x31739010, v35
	s_delay_alu instid0(VALU_DEP_3) | instskip(NEXT) | instid1(VALU_DEP_3)
	v_add_f32_e32 v34, v34, v39
	v_sub_f32_e32 v56, v45, v70
	s_delay_alu instid0(VALU_DEP_1) | instskip(NEXT) | instid1(VALU_DEP_1)
	v_dual_sub_f32 v49, v49, v56 :: v_dual_add_f32 v56, 0x3f2aaaaa, v57
	v_add_f32_e32 v40, 0xbf2aaaaa, v56
	s_delay_alu instid0(VALU_DEP_1) | instskip(NEXT) | instid1(VALU_DEP_1)
	v_sub_f32_e32 v40, v57, v40
	v_add_f32_e32 v35, v35, v40
	s_delay_alu instid0(VALU_DEP_1) | instskip(NEXT) | instid1(VALU_DEP_1)
	v_add_f32_e32 v40, v56, v35
	v_dual_fmaak_f32 v58, v71, v58, 0x3ecccdef :: v_dual_sub_f32 v55, v56, v40
	s_delay_alu instid0(VALU_DEP_1) | instskip(NEXT) | instid1(VALU_DEP_2)
	v_mul_f32_e32 v36, v71, v58
	v_dual_mul_f32 v56, v45, v40 :: v_dual_add_f32 v35, v35, v55
	s_delay_alu instid0(VALU_DEP_2) | instskip(NEXT) | instid1(VALU_DEP_2)
	v_fma_f32 v48, v71, v58, -v36
	v_fma_f32 v55, v45, v40, -v56
	s_delay_alu instid0(VALU_DEP_2) | instskip(NEXT) | instid1(VALU_DEP_2)
	v_fmac_f32_e32 v48, v59, v58
	v_dual_sub_f32 v58, v51, v73 :: v_dual_fmac_f32 v55, v45, v35
	v_add_f32_e32 v59, v38, v32
	s_delay_alu instid0(VALU_DEP_2) | instskip(NEXT) | instid1(VALU_DEP_2)
	v_dual_add_f32 v70, v36, v48 :: v_dual_sub_f32 v53, v53, v58
	v_dual_fmac_f32 v55, v49, v40 :: v_dual_add_f32 v58, 0x3f2aaaaa, v59
	v_sub_f32_e32 v38, v59, v38
	s_delay_alu instid0(VALU_DEP_3) | instskip(NEXT) | instid1(VALU_DEP_2)
	v_dual_add_f32 v69, 0x3f2aaaaa, v70 :: v_dual_sub_f32 v36, v70, v36
	v_sub_f32_e32 v32, v32, v38
	s_delay_alu instid0(VALU_DEP_4) | instskip(NEXT) | instid1(VALU_DEP_3)
	v_add_f32_e32 v38, 0xbf2aaaaa, v58
	v_sub_f32_e32 v36, v48, v36
	s_delay_alu instid0(VALU_DEP_4) | instskip(NEXT) | instid1(VALU_DEP_4)
	v_add_f32_e32 v48, 0xbf2aaaaa, v69
	v_add_f32_e32 v32, 0x31739010, v32
	s_delay_alu instid0(VALU_DEP_4) | instskip(NEXT) | instid1(VALU_DEP_4)
	v_sub_f32_e32 v38, v59, v38
	v_add_f32_e32 v36, 0x31739010, v36
	s_delay_alu instid0(VALU_DEP_2) | instskip(SKIP_1) | instid1(VALU_DEP_2)
	v_dual_sub_f32 v39, v70, v48 :: v_dual_add_f32 v32, v32, v38
	v_add_f32_e32 v38, v52, v34
	v_dual_add_f32 v36, v36, v39 :: v_dual_add_f32 v39, v58, v32
	s_delay_alu instid0(VALU_DEP_2) | instskip(SKIP_1) | instid1(VALU_DEP_3)
	v_sub_f32_e32 v48, v52, v38
	v_mul_f32_e32 v52, v41, v38
	v_dual_add_f32 v57, v69, v36 :: v_dual_sub_f32 v58, v58, v39
	s_delay_alu instid0(VALU_DEP_3) | instskip(NEXT) | instid1(VALU_DEP_3)
	v_add_f32_e32 v34, v34, v48
	v_fma_f32 v48, v41, v38, -v52
	s_delay_alu instid0(VALU_DEP_3) | instskip(SKIP_2) | instid1(VALU_DEP_4)
	v_sub_f32_e32 v69, v69, v57
	v_dual_mul_f32 v70, v68, v57 :: v_dual_mul_f32 v59, v51, v39
	v_add_f32_e32 v32, v32, v58
	v_fmac_f32_e32 v48, v41, v34
	s_delay_alu instid0(VALU_DEP_4) | instskip(NEXT) | instid1(VALU_DEP_4)
	v_add_f32_e32 v34, v36, v69
	v_fma_f32 v35, v68, v57, -v70
	v_fma_f32 v58, v51, v39, -v59
	s_delay_alu instid0(VALU_DEP_4) | instskip(NEXT) | instid1(VALU_DEP_2)
	v_fmac_f32_e32 v48, v46, v38
	v_dual_fmac_f32 v35, v68, v34 :: v_dual_fmac_f32 v58, v51, v32
	v_add_f32_e32 v34, v56, v55
	s_delay_alu instid0(VALU_DEP_3) | instskip(NEXT) | instid1(VALU_DEP_3)
	v_add_f32_e32 v32, v52, v48
	v_dual_fmac_f32 v35, v60, v57 :: v_dual_fmac_f32 v58, v53, v39
	s_delay_alu instid0(VALU_DEP_3) | instskip(NEXT) | instid1(VALU_DEP_3)
	v_sub_f32_e32 v40, v34, v56
	v_sub_f32_e32 v38, v32, v52
	v_add_f32_e32 v39, v47, v32
	v_add_f32_e32 v41, v50, v34
	s_delay_alu instid0(VALU_DEP_4) | instskip(NEXT) | instid1(VALU_DEP_3)
	v_dual_add_f32 v45, v70, v35 :: v_dual_sub_f32 v40, v55, v40
	v_dual_sub_f32 v38, v48, v38 :: v_dual_sub_f32 v47, v39, v47
	s_delay_alu instid0(VALU_DEP_3) | instskip(NEXT) | instid1(VALU_DEP_3)
	v_sub_f32_e32 v48, v41, v50
	v_sub_f32_e32 v50, v45, v70
	v_add_f32_e32 v51, v61, v45
	s_delay_alu instid0(VALU_DEP_4) | instskip(NEXT) | instid1(VALU_DEP_4)
	v_dual_add_f32 v33, v33, v38 :: v_dual_sub_f32 v32, v32, v47
	v_sub_f32_e32 v34, v34, v48
	v_add_f32_e32 v38, v63, v40
	v_sub_f32_e32 v35, v35, v50
	v_sub_f32_e32 v40, v51, v61
	s_delay_alu instid0(VALU_DEP_3) | instskip(NEXT) | instid1(VALU_DEP_2)
	v_dual_add_f32 v32, v33, v32 :: v_dual_add_f32 v33, v38, v34
	v_dual_add_f32 v35, v62, v35 :: v_dual_sub_f32 v34, v45, v40
	s_delay_alu instid0(VALU_DEP_2) | instskip(NEXT) | instid1(VALU_DEP_3)
	v_add_f32_e32 v38, v39, v32
	v_add_f32_e32 v40, v41, v33
	s_delay_alu instid0(VALU_DEP_2) | instskip(SKIP_1) | instid1(VALU_DEP_3)
	v_dual_add_f32 v34, v35, v34 :: v_dual_sub_f32 v39, v38, v39
	v_add_f32_e32 v45, v66, v38
	v_sub_f32_e32 v41, v40, v41
	s_delay_alu instid0(VALU_DEP_3) | instskip(NEXT) | instid1(VALU_DEP_3)
	v_dual_add_f32 v47, v51, v34 :: v_dual_sub_f32 v32, v32, v39
	v_sub_f32_e32 v39, v45, v66
	s_delay_alu instid0(VALU_DEP_2) | instskip(SKIP_1) | instid1(VALU_DEP_3)
	v_dual_sub_f32 v33, v33, v41 :: v_dual_sub_f32 v50, v47, v51
	v_dual_add_f32 v51, v64, v47 :: v_dual_add_f32 v36, v59, v58
	v_sub_f32_e32 v38, v38, v39
	s_delay_alu instid0(VALU_DEP_3) | instskip(NEXT) | instid1(VALU_DEP_3)
	v_sub_f32_e32 v34, v34, v50
	v_sub_f32_e32 v50, v51, v64
	s_delay_alu instid0(VALU_DEP_4) | instskip(NEXT) | instid1(VALU_DEP_2)
	v_dual_sub_f32 v46, v36, v59 :: v_dual_add_f32 v49, v54, v36
	v_sub_f32_e32 v57, v51, v50
	s_delay_alu instid0(VALU_DEP_2) | instskip(NEXT) | instid1(VALU_DEP_3)
	v_sub_f32_e32 v46, v58, v46
	v_sub_f32_e32 v52, v49, v54
	;; [unrolled: 1-line block ×3, first 2 shown]
	v_add_f32_e32 v50, v31, v34
	s_delay_alu instid0(VALU_DEP_4) | instskip(NEXT) | instid1(VALU_DEP_4)
	v_add_f32_e32 v46, v65, v46
	v_sub_f32_e32 v36, v36, v52
	v_dual_sub_f32 v52, v45, v39 :: v_dual_add_f32 v39, v42, v32
	s_delay_alu instid0(VALU_DEP_2) | instskip(SKIP_1) | instid1(VALU_DEP_3)
	v_add_f32_e32 v36, v46, v36
	v_add_f32_e32 v46, v67, v40
	v_dual_sub_f32 v52, v66, v52 :: v_dual_sub_f32 v55, v39, v42
	s_delay_alu instid0(VALU_DEP_3) | instskip(NEXT) | instid1(VALU_DEP_3)
	v_add_f32_e32 v35, v49, v36
	v_sub_f32_e32 v41, v46, v67
	s_delay_alu instid0(VALU_DEP_3) | instskip(NEXT) | instid1(VALU_DEP_4)
	v_add_f32_e32 v38, v38, v52
	v_sub_f32_e32 v52, v39, v55
	v_sub_f32_e32 v32, v32, v55
	v_dual_sub_f32 v48, v35, v49 :: v_dual_add_f32 v49, v37, v35
	v_sub_f32_e32 v53, v46, v41
	v_sub_f32_e32 v40, v40, v41
	s_delay_alu instid0(VALU_DEP_3) | instskip(NEXT) | instid1(VALU_DEP_4)
	v_dual_add_f32 v41, v43, v33 :: v_dual_sub_f32 v36, v36, v48
	v_sub_f32_e32 v48, v49, v37
	s_delay_alu instid0(VALU_DEP_4) | instskip(NEXT) | instid1(VALU_DEP_3)
	v_sub_f32_e32 v53, v67, v53
	v_dual_sub_f32 v55, v64, v57 :: v_dual_sub_f32 v56, v41, v43
	v_sub_f32_e32 v42, v42, v52
	s_delay_alu instid0(VALU_DEP_4) | instskip(SKIP_3) | instid1(VALU_DEP_4)
	v_sub_f32_e32 v54, v49, v48
	v_sub_f32_e32 v35, v35, v48
	v_add_f32_e32 v48, v44, v36
	v_dual_add_f32 v40, v40, v53 :: v_dual_sub_f32 v53, v41, v56
	v_sub_f32_e32 v37, v37, v54
	v_sub_f32_e32 v33, v33, v56
	s_delay_alu instid0(VALU_DEP_4)
	v_sub_f32_e32 v54, v48, v44
	v_sub_f32_e32 v56, v50, v31
	v_add_f32_e32 v38, v39, v38
	v_add_f32_e32 v35, v35, v37
	v_sub_f32_e32 v39, v43, v53
	v_dual_sub_f32 v37, v48, v54 :: v_dual_add_f32 v40, v41, v40
	v_dual_sub_f32 v36, v36, v54 :: v_dual_add_f32 v41, v47, v55
	v_sub_f32_e32 v43, v50, v56
	s_delay_alu instid0(VALU_DEP_3)
	v_sub_f32_e32 v37, v44, v37
	v_add_f32_e32 v35, v48, v35
	v_add_f32_e32 v32, v32, v42
	;; [unrolled: 1-line block ×5, first 2 shown]
	v_dual_sub_f32 v34, v34, v56 :: v_dual_sub_f32 v31, v31, v43
	v_add_f32_e32 v41, v50, v41
	v_dual_add_f32 v36, v36, v37 :: v_dual_add_f32 v37, v49, v35
	s_delay_alu instid0(VALU_DEP_4) | instskip(NEXT) | instid1(VALU_DEP_3)
	v_dual_sub_f32 v43, v42, v45 :: v_dual_sub_f32 v44, v39, v46
	v_dual_add_f32 v31, v34, v31 :: v_dual_add_f32 v34, v51, v41
	s_delay_alu instid0(VALU_DEP_2) | instskip(NEXT) | instid1(VALU_DEP_2)
	v_dual_sub_f32 v45, v37, v49 :: v_dual_sub_f32 v38, v38, v43
	v_dual_sub_f32 v40, v40, v44 :: v_dual_sub_f32 v43, v34, v51
	s_delay_alu instid0(VALU_DEP_2) | instskip(NEXT) | instid1(VALU_DEP_2)
	v_dual_sub_f32 v35, v35, v45 :: v_dual_add_f32 v32, v32, v38
	v_add_f32_e32 v33, v33, v40
	s_delay_alu instid0(VALU_DEP_3) | instskip(NEXT) | instid1(VALU_DEP_3)
	v_sub_f32_e32 v38, v41, v43
	v_dual_add_f32 v35, v36, v35 :: v_dual_add_f32 v36, v42, v32
	s_delay_alu instid0(VALU_DEP_3) | instskip(NEXT) | instid1(VALU_DEP_2)
	v_add_f32_e32 v40, v39, v33
	v_dual_add_f32 v31, v31, v38 :: v_dual_add_f32 v38, v37, v35
	s_delay_alu instid0(VALU_DEP_3) | instskip(NEXT) | instid1(VALU_DEP_3)
	v_dual_sub_f32 v41, v36, v42 :: v_dual_mul_f32 v42, v3, v36
	v_sub_f32_e32 v39, v40, v39
	s_delay_alu instid0(VALU_DEP_3) | instskip(NEXT) | instid1(VALU_DEP_4)
	v_dual_mul_f32 v43, v4, v40 :: v_dual_add_f32 v44, v34, v31
	v_sub_f32_e32 v37, v38, v37
	s_delay_alu instid0(VALU_DEP_4)
	v_dual_mul_f32 v45, v5, v38 :: v_dual_sub_f32 v32, v32, v41
	v_fma_f32 v36, v3, v36, -v42
	v_sub_f32_e32 v33, v33, v39
	v_fma_f32 v39, v4, v40, -v43
	v_sub_f32_e32 v34, v44, v34
	v_dual_mul_f32 v40, v6, v44 :: v_dual_sub_f32 v35, v35, v37
	v_fma_f32 v37, v5, v38, -v45
	s_delay_alu instid0(VALU_DEP_4) | instskip(NEXT) | instid1(VALU_DEP_4)
	v_dual_fmac_f32 v36, v3, v32 :: v_dual_fmac_f32 v39, v4, v33
	v_sub_f32_e32 v31, v31, v34
	s_delay_alu instid0(VALU_DEP_4) | instskip(NEXT) | instid1(VALU_DEP_4)
	v_fma_f32 v32, v6, v44, -v40
	v_fmac_f32_e32 v37, v5, v35
	s_delay_alu instid0(VALU_DEP_4) | instskip(SKIP_2) | instid1(VALU_DEP_4)
	v_dual_add_f32 v33, v42, v36 :: v_dual_add_f32 v34, v43, v39
	v_cmp_class_f32_e64 s16, v43, 0x204
	v_cmp_class_f32_e64 s18, v42, 0x204
	v_dual_fmac_f32 v32, v6, v31 :: v_dual_add_f32 v31, v45, v37
	v_cmp_class_f32_e64 s17, v45, 0x204
	v_sub_f32_e32 v35, v33, v42
	s_delay_alu instid0(VALU_DEP_4)
	v_cndmask_b32_e64 v33, v33, v42, s18
	v_sub_f32_e32 v38, v34, v43
	v_cndmask_b32_e64 v34, v34, v43, s16
	v_add_f32_e32 v41, v40, v32
	v_cmp_class_f32_e64 s16, v40, 0x204
	v_sub_f32_e32 v42, v31, v45
	v_cndmask_b32_e64 v31, v31, v45, s17
	v_cmp_eq_f32_e64 s17, 0x42b17218, v33
	v_cmp_eq_f32_e64 s18, 0x42b17218, v34
	v_dual_sub_f32 v35, v36, v35 :: v_dual_sub_f32 v38, v39, v38
	v_sub_f32_e32 v43, v41, v40
	s_delay_alu instid0(VALU_DEP_4)
	v_cndmask_b32_e64 v36, 0, 0x37000000, s17
	v_cmp_neq_f32_e64 s17, 0x7f800000, |v34|
	v_cndmask_b32_e64 v39, 0, 0x37000000, s18
	v_cndmask_b32_e64 v40, v41, v40, s16
	v_cmp_eq_f32_e64 s18, 0x42b17218, v31
	v_sub_f32_e32 v37, v37, v42
	v_cmp_neq_f32_e64 s16, 0x7f800000, |v31|
	v_cndmask_b32_e64 v38, 0, v38, s17
	v_cmp_eq_f32_e64 s17, 0x42b17218, v40
	v_cndmask_b32_e64 v41, 0, 0x37000000, s18
	v_cmp_neq_f32_e64 s18, 0x7f800000, |v33|
	v_dual_sub_f32 v33, v33, v36 :: v_dual_sub_f32 v34, v34, v39
	v_sub_f32_e32 v32, v32, v43
	v_cndmask_b32_e64 v42, 0, 0x37000000, s17
	s_delay_alu instid0(VALU_DEP_4) | instskip(SKIP_3) | instid1(VALU_DEP_4)
	v_cndmask_b32_e64 v35, 0, v35, s18
	v_cndmask_b32_e64 v37, 0, v37, s16
	v_sub_f32_e32 v31, v31, v41
	v_cmp_neq_f32_e64 s16, 0x7f800000, |v40|
	v_dual_add_f32 v38, v39, v38 :: v_dual_add_f32 v35, v36, v35
	v_dual_mul_f32 v36, 0x3fb8aa3b, v33 :: v_dual_mul_f32 v39, 0x3fb8aa3b, v34
	s_delay_alu instid0(VALU_DEP_3) | instskip(SKIP_2) | instid1(VALU_DEP_4)
	v_cndmask_b32_e64 v32, 0, v32, s16
	v_dual_sub_f32 v40, v40, v42 :: v_dual_add_f32 v37, v41, v37
	v_mul_f32_e32 v41, 0x3fb8aa3b, v31
	v_fma_f32 v43, 0x3fb8aa3b, v33, -v36
	v_rndne_f32_e32 v44, v36
	v_fma_f32 v45, 0x3fb8aa3b, v34, -v39
	v_rndne_f32_e32 v46, v39
	v_add_f32_e32 v32, v42, v32
	v_mul_f32_e32 v42, 0x3fb8aa3b, v40
	v_fma_f32 v47, 0x3fb8aa3b, v31, -v41
	v_rndne_f32_e32 v48, v41
	v_dual_fmac_f32 v43, 0x32a5705f, v33 :: v_dual_sub_f32 v36, v36, v44
	v_fmac_f32_e32 v45, 0x32a5705f, v34
	v_sub_f32_e32 v39, v39, v46
	v_fma_f32 v49, 0x3fb8aa3b, v40, -v42
	v_rndne_f32_e32 v50, v42
	v_fmac_f32_e32 v47, 0x32a5705f, v31
	v_dual_sub_f32 v41, v41, v48 :: v_dual_add_f32 v36, v36, v43
	v_add_f32_e32 v39, v39, v45
	s_delay_alu instid0(VALU_DEP_4) | instskip(NEXT) | instid1(VALU_DEP_3)
	v_dual_fmac_f32 v49, 0x32a5705f, v40 :: v_dual_sub_f32 v42, v42, v50
	v_add_f32_e32 v41, v41, v47
	s_delay_alu instid0(VALU_DEP_4) | instskip(NEXT) | instid1(VALU_DEP_3)
	v_exp_f32_e32 v36, v36
	v_exp_f32_e32 v39, v39
	v_cvt_i32_f32_e32 v44, v44
	v_add_f32_e32 v42, v42, v49
	v_exp_f32_e32 v41, v41
	v_cvt_i32_f32_e32 v46, v46
	v_cvt_i32_f32_e32 v48, v48
	;; [unrolled: 1-line block ×3, first 2 shown]
	v_exp_f32_e32 v42, v42
	v_cmp_ngt_f32_e64 s16, 0xc2ce8ed0, v34
	v_ldexp_f32 v36, v36, v44
	v_ldexp_f32 v39, v39, v46
	v_cmp_ngt_f32_e64 s17, 0xc2ce8ed0, v31
	v_cmp_ngt_f32_e64 s18, 0xc2ce8ed0, v33
	v_ldexp_f32 v41, v41, v48
	v_cmp_nlt_f32_e64 s19, 0x42b17218, v33
	v_cndmask_b32_e64 v39, 0, v39, s16
	v_cmp_nlt_f32_e64 s16, 0x42b17218, v34
	v_cndmask_b32_e64 v36, 0, v36, s18
	v_ldexp_f32 v34, v42, v43
	v_cmp_ngt_f32_e64 s18, 0xc2ce8ed0, v40
	v_cndmask_b32_e64 v41, 0, v41, s17
	v_cmp_nlt_f32_e64 s17, 0x42b17218, v31
	v_cndmask_b32_e64 v31, 0x7f800000, v36, s19
	v_cndmask_b32_e64 v33, 0x7f800000, v39, s16
	;; [unrolled: 1-line block ×3, first 2 shown]
	v_cmp_nlt_f32_e64 s16, 0x42b17218, v40
	v_cndmask_b32_e64 v36, 0x7f800000, v41, s17
	v_fma_f32 v35, v31, v35, v31
	v_fma_f32 v38, v33, v38, v33
	v_cmp_class_f32_e64 s17, v33, 0x204
	v_cndmask_b32_e64 v34, 0x7f800000, v34, s16
	v_fma_f32 v37, v36, v37, v36
	v_cmp_class_f32_e64 s16, v36, 0x204
	v_cmp_class_f32_e64 s18, v31, 0x204
	v_cndmask_b32_e64 v33, v38, v33, s17
	v_fma_f32 v32, v34, v32, v34
	s_delay_alu instid0(VALU_DEP_3) | instskip(SKIP_3) | instid1(VALU_DEP_4)
	v_cndmask_b32_e64 v31, v35, v31, s18
	v_cndmask_b32_e64 v35, v37, v36, s16
	v_cmp_class_f32_e64 s16, v34, 0x204
	v_bfi_b32 v24, 0x7fffffff, v33, v24
	v_bfi_b32 v22, 0x7fffffff, v31, v22
	s_delay_alu instid0(VALU_DEP_4) | instskip(NEXT) | instid1(VALU_DEP_4)
	v_bfi_b32 v29, 0x7fffffff, v35, v29
	v_cndmask_b32_e64 v31, v32, v34, s16
	s_delay_alu instid0(VALU_DEP_4)
	v_cndmask_b32_e64 v33, 0x7fc00000, v24, s8
	v_cmp_gt_f32_e64 s8, 0, v17
	v_cndmask_b32_e64 v32, 0x7fc00000, v22, s6
	v_cmp_gt_f32_e64 s6, 0, v16
	v_bfi_b32 v30, 0x7fffffff, v31, v30
	v_cndmask_b32_e64 v31, 0x7fc00000, v29, s10
	v_cmp_gt_f32_e64 s10, 0, v14
	s_delay_alu instid0(VALU_DEP_4) | instskip(SKIP_2) | instid1(VALU_DEP_4)
	v_cndmask_b32_e64 v24, v24, v33, s6
	v_cmp_eq_f32_e64 s6, 0x7f800000, v12
	v_cndmask_b32_e64 v12, 0x7fc00000, v30, s14
	v_cndmask_b32_e64 v22, v22, v32, s10
	v_cmp_eq_f32_e64 s14, 0x7f800000, v11
	v_cmp_gt_f32_e64 s10, 0, v18
	v_cndmask_b32_e64 v29, v29, v31, s8
	v_cmp_eq_f32_e64 s8, 0x7f800000, v13
	v_cndmask_b32_e64 v13, v24, v20, s6
	v_cndmask_b32_e64 v11, v22, v19, s14
	;; [unrolled: 1-line block ×3, first 2 shown]
	v_cmp_eq_f32_e64 s6, 0x7f800000, v15
	v_cndmask_b32_e64 v15, v29, v21, s8
	v_cndmask_b32_e64 v13, v13, v27, s5
	;; [unrolled: 1-line block ×3, first 2 shown]
	v_cmp_o_f32_e64 s4, v16, v4
	v_cndmask_b32_e64 v4, v12, v23, s6
	v_cndmask_b32_e64 v12, v15, v25, s7
	v_cmp_o_f32_e64 s6, v17, v5
	v_cmp_o_f32_e64 s7, v14, v3
	v_cndmask_b32_e64 v5, 0x7fc00000, v13, s4
	s_or_b32 s5, s11, s15
	v_cmp_o_f32_e64 s4, v18, v6
	v_cndmask_b32_e64 v4, v4, v28, s5
	v_cndmask_b32_e64 v3, 0x7fc00000, v11, s7
	v_cndmask_b32_e64 v11, 0x7fc00000, v12, s6
	v_bfe_u32 v12, v5, 16, 1
	s_and_b32 s2, exec_lo, s2
	v_cndmask_b32_e64 v4, 0x7fc00000, v4, s4
	v_bfe_u32 v6, v3, 16, 1
	v_bfe_u32 v13, v11, 16, 1
	v_add3_u32 v12, v5, v12, 0x7fff
	v_cmp_o_f32_e64 s4, v5, v5
	v_bfe_u32 v14, v4, 16, 1
	v_add3_u32 v6, v3, v6, 0x7fff
	v_add3_u32 v13, v11, v13, 0x7fff
	v_and_b32_e32 v12, 0xffff0000, v12
	v_cmp_o_f32_e64 s5, v3, v3
	v_add3_u32 v14, v4, v14, 0x7fff
	v_lshrrev_b32_e32 v6, 16, v6
	v_and_b32_e32 v5, 0xffff0000, v13
	v_cndmask_b32_e64 v12, 0x7fc00000, v12, s4
	v_cmp_o_f32_e64 s4, v11, v11
	s_or_b32 s43, s2, s43
	v_cndmask_b32_e64 v3, 0x7fc0, v6, s5
	v_lshrrev_b32_e32 v6, 16, v14
	s_delay_alu instid0(VALU_DEP_3) | instskip(SKIP_1) | instid1(VALU_DEP_4)
	v_cndmask_b32_e64 v5, 0x7fc00000, v5, s4
	v_cmp_o_f32_e64 s4, v4, v4
	v_or_b32_e32 v3, v3, v12
	s_delay_alu instid0(VALU_DEP_2) | instskip(NEXT) | instid1(VALU_DEP_2)
	v_cndmask_b32_e64 v4, 0x7fc0, v6, s4
	v_or3_b32 v3, v3, 0, 0
	s_delay_alu instid0(VALU_DEP_2)
	v_or3_b32 v4, 0, v4, v5
	global_store_b64 v[7:8], v[3:4], off
	s_and_not1_b32 exec_lo, exec_lo, s43
	s_cbranch_execnz .LBB154_3
.LBB154_4:
	s_or_b32 exec_lo, exec_lo, s42
	s_mov_b32 s2, 0
.LBB154_5:
	s_delay_alu instid0(SALU_CYCLE_1)
	s_and_not1_b32 vcc_lo, exec_lo, s2
	s_cbranch_vccnz .LBB154_25
; %bb.6:
	v_cmp_lt_i64_e64 s2, s[34:35], 1
	s_delay_alu instid0(VALU_DEP_1)
	s_and_b32 vcc_lo, exec_lo, s2
	s_cbranch_vccnz .LBB154_25
; %bb.7:
	s_load_b32 s0, s[0:1], 0xc5c
	v_dual_mov_b32 v2, 0 :: v_dual_lshlrev_b32 v1, 1, v0
	v_cmp_gt_u64_e64 s1, 0x10000, s[34:35]
	s_mov_b32 s7, 0
	s_mov_b64 s[10:11], 0
	s_delay_alu instid0(VALU_DEP_2) | instskip(NEXT) | instid1(VALU_DEP_1)
	v_add_co_u32 v3, s2, s40, v1
	v_add_co_ci_u32_e64 v4, null, s41, 0, s2
	v_add_co_u32 v5, s2, s38, v1
	s_delay_alu instid0(VALU_DEP_1) | instskip(SKIP_1) | instid1(VALU_DEP_1)
	v_add_co_ci_u32_e64 v6, null, s39, 0, s2
	v_add_co_u32 v7, s2, s36, v1
	v_add_co_ci_u32_e64 v8, null, s37, 0, s2
	s_mov_b32 s14, 0x3e76c4e1
	s_waitcnt lgkmcnt(0)
	s_and_b32 s0, s0, 0xffff
	s_and_b32 s1, s1, exec_lo
	v_mad_u64_u32 v[13:14], null, s0, 6, v[1:2]
	s_cselect_b32 s9, s35, 0
	s_cselect_b32 s8, s34, 0x10000
	s_lshl_b32 s12, s0, 2
	s_mul_i32 s2, s0, 3
	v_add_co_u32 v1, s3, s12, v1
	s_delay_alu instid0(VALU_DEP_2) | instskip(NEXT) | instid1(VALU_DEP_3)
	v_add_co_u32 v9, vcc_lo, s40, v13
	v_add_co_ci_u32_e32 v10, vcc_lo, s41, v14, vcc_lo
	v_add_co_u32 v11, vcc_lo, s38, v13
	v_add_co_ci_u32_e32 v12, vcc_lo, s39, v14, vcc_lo
	v_add_co_u32 v13, vcc_lo, s36, v13
	v_add_co_ci_u32_e64 v2, null, 0, 0, s3
	v_add_co_ci_u32_e32 v14, vcc_lo, s37, v14, vcc_lo
	v_add_co_u32 v15, s2, s2, v0
	v_add_co_u32 v17, vcc_lo, s40, v1
	v_add_co_ci_u32_e64 v16, null, 0, 0, s2
	v_add_co_u32 v21, s2, v0, s0
	v_add_co_ci_u32_e32 v18, vcc_lo, s41, v2, vcc_lo
	v_add_co_u32 v19, vcc_lo, s38, v1
	v_add_co_ci_u32_e32 v20, vcc_lo, s39, v2, vcc_lo
	v_add_co_u32 v22, vcc_lo, s36, v1
	v_lshlrev_b32_e32 v1, 1, v21
	s_lshl_b32 s1, s0, 1
	v_add_co_ci_u32_e32 v23, vcc_lo, s37, v2, vcc_lo
	v_add_co_u32 v25, s1, s1, v0
	s_delay_alu instid0(VALU_DEP_1) | instskip(SKIP_1) | instid1(VALU_DEP_1)
	v_add_co_ci_u32_e64 v26, null, 0, 0, s1
	v_add_co_u32 v27, s1, s40, v1
	v_add_co_ci_u32_e64 v28, null, s41, 0, s1
	v_add_co_u32 v29, s1, s38, v1
	s_delay_alu instid0(VALU_DEP_1)
	v_add_co_ci_u32_e64 v30, null, s39, 0, s1
	v_add_co_u32 v31, s1, s36, v1
	v_add_co_ci_u32_e64 v24, null, 0, 0, s2
	v_add_co_ci_u32_e64 v32, null, s37, 0, s1
	s_lshl_b32 s13, s0, 3
	s_branch .LBB154_9
.LBB154_8:                              ;   in Loop: Header=BB154_9 Depth=1
	s_or_b32 exec_lo, exec_lo, s4
	v_add_co_u32 v3, vcc_lo, v3, s13
	v_add_co_ci_u32_e32 v4, vcc_lo, 0, v4, vcc_lo
	v_add_co_u32 v5, vcc_lo, v5, s13
	v_add_co_ci_u32_e32 v6, vcc_lo, 0, v6, vcc_lo
	;; [unrolled: 2-line block ×9, first 2 shown]
	s_add_u32 s10, s10, s12
	v_add_co_u32 v27, vcc_lo, v27, s13
	s_addc_u32 s11, s11, 0
	v_add_co_ci_u32_e32 v28, vcc_lo, 0, v28, vcc_lo
	v_cmp_ge_i64_e64 s0, s[10:11], s[34:35]
	v_cmp_lt_u64_e64 s1, 0xffff, s[10:11]
	v_add_co_u32 v29, vcc_lo, v29, s13
	v_add_co_ci_u32_e32 v30, vcc_lo, 0, v30, vcc_lo
	v_add_co_u32 v31, vcc_lo, v31, s13
	v_add_co_ci_u32_e32 v32, vcc_lo, 0, v32, vcc_lo
	s_or_b32 s0, s0, s1
	s_delay_alu instid0(SALU_CYCLE_1)
	s_and_b32 vcc_lo, exec_lo, s0
	s_cbranch_vccnz .LBB154_25
.LBB154_9:                              ; =>This Inner Loop Header: Depth=1
	v_add_co_u32 v1, s0, v0, s10
	s_delay_alu instid0(VALU_DEP_1) | instskip(SKIP_2) | instid1(VALU_DEP_2)
	v_add_co_ci_u32_e64 v2, null, 0, s11, s0
	s_waitcnt vmcnt(0)
	v_mov_b32_e32 v36, 0
	v_cmp_gt_u64_e64 s2, s[8:9], v[1:2]
	v_mov_b32_e32 v1, 0
	v_mov_b32_e32 v2, 0
	s_delay_alu instid0(VALU_DEP_3)
	s_and_saveexec_b32 s0, s2
	s_cbranch_execz .LBB154_11
; %bb.10:                               ;   in Loop: Header=BB154_9 Depth=1
	v_add_co_u32 v1, vcc_lo, v3, s30
	v_add_co_ci_u32_e32 v2, vcc_lo, s31, v4, vcc_lo
	global_load_u16 v33, v[1:2], off
	v_add_co_u32 v1, vcc_lo, v5, s30
	v_add_co_ci_u32_e32 v2, vcc_lo, s31, v6, vcc_lo
	global_load_u16 v36, v[1:2], off
	s_waitcnt vmcnt(1)
	v_dual_mov_b32 v2, s7 :: v_dual_and_b32 v1, 0xffff, v33
.LBB154_11:                             ;   in Loop: Header=BB154_9 Depth=1
	s_or_b32 exec_lo, exec_lo, s0
	v_add_co_u32 v33, vcc_lo, v21, s10
	v_add_co_ci_u32_e32 v34, vcc_lo, s11, v24, vcc_lo
	v_mov_b32_e32 v35, 0
	s_delay_alu instid0(VALU_DEP_2) | instskip(SKIP_1) | instid1(VALU_DEP_2)
	v_cmp_gt_u64_e64 s1, s[8:9], v[33:34]
	v_mov_b32_e32 v34, 0
	s_and_saveexec_b32 s0, s1
	s_cbranch_execz .LBB154_13
; %bb.12:                               ;   in Loop: Header=BB154_9 Depth=1
	v_add_co_u32 v37, vcc_lo, v27, s30
	v_add_co_ci_u32_e32 v38, vcc_lo, s31, v28, vcc_lo
	global_load_u16 v33, v[37:38], off
	v_add_co_u32 v37, vcc_lo, v29, s30
	v_add_co_ci_u32_e32 v38, vcc_lo, s31, v30, vcc_lo
	global_load_u16 v35, v[37:38], off
	s_waitcnt vmcnt(1)
	v_lshl_or_b32 v1, v33, 16, v1
.LBB154_13:                             ;   in Loop: Header=BB154_9 Depth=1
	s_or_b32 exec_lo, exec_lo, s0
	v_add_co_u32 v37, vcc_lo, v25, s10
	v_add_co_ci_u32_e32 v38, vcc_lo, s11, v26, vcc_lo
	s_delay_alu instid0(VALU_DEP_1) | instskip(NEXT) | instid1(VALU_DEP_1)
	v_cmp_gt_u64_e64 s0, s[8:9], v[37:38]
	s_and_saveexec_b32 s3, s0
	s_cbranch_execz .LBB154_15
; %bb.14:                               ;   in Loop: Header=BB154_9 Depth=1
	v_add_co_u32 v33, vcc_lo, v17, s30
	v_add_co_ci_u32_e32 v34, vcc_lo, s31, v18, vcc_lo
	global_load_u16 v37, v[33:34], off
	v_add_co_u32 v33, vcc_lo, v19, s30
	v_add_co_ci_u32_e32 v34, vcc_lo, s31, v20, vcc_lo
	global_load_u16 v34, v[33:34], off
	s_waitcnt vmcnt(1)
	v_or_b32_e32 v2, v37, v2
.LBB154_15:                             ;   in Loop: Header=BB154_9 Depth=1
	s_or_b32 exec_lo, exec_lo, s3
	v_add_co_u32 v37, vcc_lo, v15, s10
	v_add_co_ci_u32_e32 v38, vcc_lo, s11, v16, vcc_lo
	v_mov_b32_e32 v33, 0
	s_delay_alu instid0(VALU_DEP_2)
	v_cmp_gt_u64_e32 vcc_lo, s[8:9], v[37:38]
	s_and_saveexec_b32 s4, vcc_lo
	s_cbranch_execnz .LBB154_20
; %bb.16:                               ;   in Loop: Header=BB154_9 Depth=1
	s_or_b32 exec_lo, exec_lo, s4
	s_and_saveexec_b32 s15, s2
	s_cbranch_execnz .LBB154_21
.LBB154_17:                             ;   in Loop: Header=BB154_9 Depth=1
	s_or_b32 exec_lo, exec_lo, s15
	s_and_saveexec_b32 s6, s1
	s_cbranch_execnz .LBB154_22
.LBB154_18:                             ;   in Loop: Header=BB154_9 Depth=1
	s_or_b32 exec_lo, exec_lo, s6
	s_and_saveexec_b32 s5, s0
	s_cbranch_execnz .LBB154_23
.LBB154_19:                             ;   in Loop: Header=BB154_9 Depth=1
	s_or_b32 exec_lo, exec_lo, s5
	s_and_saveexec_b32 s4, vcc_lo
	s_cbranch_execz .LBB154_8
	s_branch .LBB154_24
.LBB154_20:                             ;   in Loop: Header=BB154_9 Depth=1
	v_add_co_u32 v37, s3, v9, s30
	s_delay_alu instid0(VALU_DEP_1) | instskip(SKIP_3) | instid1(VALU_DEP_1)
	v_add_co_ci_u32_e64 v38, s3, s31, v10, s3
	v_mov_b32_e32 v39, 0
	global_load_d16_hi_b16 v39, v[37:38], off
	v_add_co_u32 v37, s3, v11, s30
	v_add_co_ci_u32_e64 v38, s3, s31, v12, s3
	global_load_u16 v33, v[37:38], off
	s_waitcnt vmcnt(1)
	v_or_b32_e32 v2, v39, v2
	s_or_b32 exec_lo, exec_lo, s4
	s_and_saveexec_b32 s15, s2
	s_cbranch_execz .LBB154_17
.LBB154_21:                             ;   in Loop: Header=BB154_9 Depth=1
	s_waitcnt vmcnt(0)
	v_lshlrev_b32_e32 v36, 16, v36
	s_delay_alu instid0(VALU_DEP_1) | instskip(NEXT) | instid1(VALU_DEP_1)
	v_dual_mul_f32 v38, s33, v36 :: v_dual_lshlrev_b32 v37, 16, v1
	v_cmp_eq_f32_e64 s2, 1.0, v37
	s_delay_alu instid0(VALU_DEP_1) | instskip(SKIP_1) | instid1(VALU_DEP_2)
	v_cndmask_b32_e64 v39, v38, 1.0, s2
	v_cndmask_b32_e64 v38, |v38|, 1.0, s2
	v_cmp_eq_f32_e64 s3, 0, v39
	v_cmp_gt_f32_e64 s5, 0, v39
	s_delay_alu instid0(VALU_DEP_2) | instskip(SKIP_1) | instid1(VALU_DEP_2)
	v_cndmask_b32_e64 v41, |v37|, 1.0, s3
	v_cndmask_b32_e64 v40, v37, 1.0, s3
	v_cvt_f64_f32_e32 v[36:37], v41
	s_delay_alu instid0(VALU_DEP_2) | instskip(NEXT) | instid1(VALU_DEP_2)
	v_cmp_eq_f32_e64 s6, 0, v40
	v_frexp_exp_i32_f64_e32 v36, v[36:37]
	v_frexp_mant_f32_e32 v37, v41
	s_delay_alu instid0(VALU_DEP_1) | instskip(NEXT) | instid1(VALU_DEP_1)
	v_cmp_gt_f32_e64 s3, 0x3f2aaaab, v37
	v_cndmask_b32_e64 v42, 1.0, 2.0, s3
	s_delay_alu instid0(VALU_DEP_1) | instskip(NEXT) | instid1(VALU_DEP_1)
	v_mul_f32_e32 v37, v37, v42
	v_add_f32_e32 v44, -1.0, v37
	v_add_f32_e32 v42, 1.0, v37
	s_delay_alu instid0(VALU_DEP_1) | instskip(SKIP_3) | instid1(VALU_DEP_2)
	v_rcp_f32_e32 v43, v42
	s_waitcnt_depctr 0xfff
	v_dual_mul_f32 v45, v44, v43 :: v_dual_add_f32 v46, -1.0, v42
	v_subrev_co_ci_u32_e64 v36, s4, 0, v36, s3
	v_mul_f32_e32 v47, v42, v45
	s_delay_alu instid0(VALU_DEP_3) | instskip(NEXT) | instid1(VALU_DEP_3)
	v_sub_f32_e32 v37, v37, v46
	v_cvt_f32_i32_e32 v36, v36
	s_delay_alu instid0(VALU_DEP_3) | instskip(NEXT) | instid1(VALU_DEP_1)
	v_fma_f32 v42, v45, v42, -v47
	v_fmac_f32_e32 v42, v45, v37
	s_delay_alu instid0(VALU_DEP_1) | instskip(NEXT) | instid1(VALU_DEP_1)
	v_add_f32_e32 v37, v47, v42
	v_dual_sub_f32 v46, v44, v37 :: v_dual_sub_f32 v47, v37, v47
	s_delay_alu instid0(VALU_DEP_1) | instskip(NEXT) | instid1(VALU_DEP_2)
	v_sub_f32_e32 v42, v47, v42
	v_sub_f32_e32 v44, v44, v46
	s_delay_alu instid0(VALU_DEP_1) | instskip(NEXT) | instid1(VALU_DEP_1)
	v_sub_f32_e32 v37, v44, v37
	v_add_f32_e32 v37, v42, v37
	s_delay_alu instid0(VALU_DEP_1) | instskip(NEXT) | instid1(VALU_DEP_1)
	v_add_f32_e32 v37, v46, v37
	v_mul_f32_e32 v37, v43, v37
	s_delay_alu instid0(VALU_DEP_1) | instskip(NEXT) | instid1(VALU_DEP_1)
	v_add_f32_e32 v42, v45, v37
	v_mul_f32_e32 v44, v42, v42
	v_sub_f32_e32 v43, v42, v45
	s_delay_alu instid0(VALU_DEP_1) | instskip(NEXT) | instid1(VALU_DEP_3)
	v_sub_f32_e32 v37, v37, v43
	v_fma_f32 v43, v42, v42, -v44
	s_delay_alu instid0(VALU_DEP_2) | instskip(NEXT) | instid1(VALU_DEP_1)
	v_add_f32_e32 v45, v37, v37
	v_fmac_f32_e32 v43, v42, v45
	s_delay_alu instid0(VALU_DEP_1) | instskip(NEXT) | instid1(VALU_DEP_1)
	v_add_f32_e32 v45, v44, v43
	v_fmaak_f32 v46, s14, v45, 0x3e91f4c4
	v_sub_f32_e32 v44, v45, v44
	s_delay_alu instid0(VALU_DEP_1) | instskip(NEXT) | instid1(VALU_DEP_1)
	v_dual_fmaak_f32 v46, v45, v46, 0x3ecccdef :: v_dual_sub_f32 v43, v43, v44
	v_mul_f32_e32 v47, v45, v46
	s_delay_alu instid0(VALU_DEP_1) | instskip(NEXT) | instid1(VALU_DEP_1)
	v_fma_f32 v44, v45, v46, -v47
	v_dual_fmac_f32 v44, v43, v46 :: v_dual_mul_f32 v49, v42, v45
	s_delay_alu instid0(VALU_DEP_1) | instskip(NEXT) | instid1(VALU_DEP_2)
	v_add_f32_e32 v46, v47, v44
	v_fma_f32 v50, v45, v42, -v49
	s_delay_alu instid0(VALU_DEP_1) | instskip(SKIP_2) | instid1(VALU_DEP_3)
	v_dual_sub_f32 v47, v46, v47 :: v_dual_fmac_f32 v50, v45, v37
	v_add_f32_e32 v48, 0x3f2aaaaa, v46
	v_ldexp_f32 v37, v37, 1
	v_sub_f32_e32 v44, v44, v47
	s_delay_alu instid0(VALU_DEP_4) | instskip(SKIP_1) | instid1(VALU_DEP_3)
	v_fmac_f32_e32 v50, v43, v42
	v_ldexp_f32 v42, v42, 1
	v_add_f32_e32 v44, 0x31739010, v44
	v_add_f32_e32 v47, 0xbf2aaaaa, v48
	s_delay_alu instid0(VALU_DEP_1) | instskip(NEXT) | instid1(VALU_DEP_1)
	v_sub_f32_e32 v46, v46, v47
	v_add_f32_e32 v44, v44, v46
	s_delay_alu instid0(VALU_DEP_1) | instskip(NEXT) | instid1(VALU_DEP_1)
	v_add_f32_e32 v43, v48, v44
	v_dual_add_f32 v45, v49, v50 :: v_dual_sub_f32 v46, v48, v43
	s_delay_alu instid0(VALU_DEP_1) | instskip(SKIP_1) | instid1(VALU_DEP_3)
	v_mul_f32_e32 v47, v45, v43
	v_sub_f32_e32 v48, v45, v49
	v_add_f32_e32 v44, v44, v46
	s_delay_alu instid0(VALU_DEP_3) | instskip(NEXT) | instid1(VALU_DEP_3)
	v_fma_f32 v46, v45, v43, -v47
	v_sub_f32_e32 v48, v50, v48
	s_delay_alu instid0(VALU_DEP_2) | instskip(NEXT) | instid1(VALU_DEP_1)
	v_fmac_f32_e32 v46, v45, v44
	v_fmac_f32_e32 v46, v48, v43
	s_delay_alu instid0(VALU_DEP_1) | instskip(NEXT) | instid1(VALU_DEP_1)
	v_add_f32_e32 v43, v47, v46
	v_sub_f32_e32 v44, v43, v47
	v_add_f32_e32 v45, v42, v43
	v_mul_f32_e32 v47, 0x3f317218, v36
	s_delay_alu instid0(VALU_DEP_3) | instskip(NEXT) | instid1(VALU_DEP_3)
	v_sub_f32_e32 v44, v46, v44
	v_sub_f32_e32 v42, v45, v42
	s_delay_alu instid0(VALU_DEP_3) | instskip(NEXT) | instid1(VALU_DEP_2)
	v_fma_f32 v46, 0x3f317218, v36, -v47
	v_dual_add_f32 v37, v37, v44 :: v_dual_sub_f32 v42, v43, v42
	s_delay_alu instid0(VALU_DEP_2) | instskip(NEXT) | instid1(VALU_DEP_2)
	v_fmac_f32_e32 v46, 0xb102e308, v36
	v_add_f32_e32 v36, v37, v42
	s_delay_alu instid0(VALU_DEP_1) | instskip(NEXT) | instid1(VALU_DEP_1)
	v_dual_add_f32 v37, v47, v46 :: v_dual_add_f32 v42, v45, v36
	v_sub_f32_e32 v47, v37, v47
	s_delay_alu instid0(VALU_DEP_2) | instskip(SKIP_1) | instid1(VALU_DEP_2)
	v_add_f32_e32 v43, v37, v42
	v_sub_f32_e32 v45, v42, v45
	v_sub_f32_e32 v44, v43, v37
	s_delay_alu instid0(VALU_DEP_2) | instskip(NEXT) | instid1(VALU_DEP_2)
	v_sub_f32_e32 v36, v36, v45
	v_sub_f32_e32 v48, v43, v44
	s_delay_alu instid0(VALU_DEP_1) | instskip(SKIP_1) | instid1(VALU_DEP_1)
	v_sub_f32_e32 v37, v37, v48
	v_sub_f32_e32 v42, v42, v44
	v_add_f32_e32 v37, v42, v37
	v_sub_f32_e32 v46, v46, v47
	s_delay_alu instid0(VALU_DEP_1) | instskip(NEXT) | instid1(VALU_DEP_1)
	v_add_f32_e32 v44, v46, v36
	v_add_f32_e32 v37, v44, v37
	s_delay_alu instid0(VALU_DEP_1) | instskip(NEXT) | instid1(VALU_DEP_1)
	v_dual_sub_f32 v42, v44, v46 :: v_dual_add_f32 v45, v43, v37
	v_dual_sub_f32 v44, v44, v42 :: v_dual_sub_f32 v43, v45, v43
	s_delay_alu instid0(VALU_DEP_1) | instskip(NEXT) | instid1(VALU_DEP_2)
	v_dual_sub_f32 v37, v37, v43 :: v_dual_sub_f32 v36, v36, v42
	v_sub_f32_e32 v42, v46, v44
	s_delay_alu instid0(VALU_DEP_1) | instskip(NEXT) | instid1(VALU_DEP_1)
	v_add_f32_e32 v36, v36, v42
	v_add_f32_e32 v36, v36, v37
	s_delay_alu instid0(VALU_DEP_1) | instskip(NEXT) | instid1(VALU_DEP_1)
	v_add_f32_e32 v37, v45, v36
	v_sub_f32_e32 v42, v37, v45
	s_delay_alu instid0(VALU_DEP_1) | instskip(NEXT) | instid1(VALU_DEP_1)
	v_dual_mul_f32 v43, v39, v37 :: v_dual_sub_f32 v36, v36, v42
	v_fma_f32 v37, v39, v37, -v43
	v_cmp_class_f32_e64 s3, v43, 0x204
	s_delay_alu instid0(VALU_DEP_2) | instskip(NEXT) | instid1(VALU_DEP_1)
	v_fmac_f32_e32 v37, v39, v36
	v_add_f32_e32 v36, v43, v37
	s_delay_alu instid0(VALU_DEP_1) | instskip(SKIP_1) | instid1(VALU_DEP_2)
	v_cndmask_b32_e64 v42, v36, v43, s3
	v_sub_f32_e32 v36, v36, v43
	v_cmp_eq_f32_e64 s3, 0x42b17218, v42
	s_delay_alu instid0(VALU_DEP_2) | instskip(SKIP_1) | instid1(VALU_DEP_3)
	v_sub_f32_e32 v36, v37, v36
	v_trunc_f32_e32 v37, v39
	v_cndmask_b32_e64 v44, 0, 0x37000000, s3
	v_cmp_neq_f32_e64 s3, 0x7f800000, |v42|
	s_delay_alu instid0(VALU_DEP_2) | instskip(NEXT) | instid1(VALU_DEP_2)
	v_sub_f32_e32 v45, v42, v44
	v_cndmask_b32_e64 v36, 0, v36, s3
	s_delay_alu instid0(VALU_DEP_2) | instskip(SKIP_2) | instid1(VALU_DEP_4)
	v_mul_f32_e32 v46, 0x3fb8aa3b, v45
	v_cmp_ngt_f32_e64 s3, 0xc2ce8ed0, v45
	v_cmp_nlt_f32_e64 s4, 0x42b17218, v45
	v_add_f32_e32 v36, v44, v36
	s_delay_alu instid0(VALU_DEP_4) | instskip(SKIP_1) | instid1(VALU_DEP_1)
	v_fma_f32 v47, 0x3fb8aa3b, v45, -v46
	v_rndne_f32_e32 v48, v46
	v_dual_fmac_f32 v47, 0x32a5705f, v45 :: v_dual_sub_f32 v46, v46, v48
	v_cvt_i32_f32_e32 v43, v48
	s_delay_alu instid0(VALU_DEP_2) | instskip(NEXT) | instid1(VALU_DEP_1)
	v_add_f32_e32 v46, v46, v47
	v_exp_f32_e32 v46, v46
	s_waitcnt_depctr 0xfff
	v_ldexp_f32 v43, v46, v43
	v_mul_f32_e32 v46, 0.5, v39
	s_delay_alu instid0(VALU_DEP_2) | instskip(NEXT) | instid1(VALU_DEP_2)
	v_cndmask_b32_e64 v42, 0, v43, s3
	v_trunc_f32_e32 v43, v46
	v_cmp_eq_f32_e64 s3, v37, v39
	s_delay_alu instid0(VALU_DEP_3) | instskip(NEXT) | instid1(VALU_DEP_3)
	v_cndmask_b32_e64 v37, 0x7f800000, v42, s4
	v_cmp_neq_f32_e64 s4, v43, v46
	s_delay_alu instid0(VALU_DEP_2) | instskip(NEXT) | instid1(VALU_DEP_2)
	v_fma_f32 v36, v37, v36, v37
	s_and_b32 s2, s3, s4
	v_cmp_gt_f32_e64 s4, 1.0, v41
	v_cndmask_b32_e64 v42, 0, v40, s2
	v_cndmask_b32_e64 v43, 1.0, v40, s2
	v_cmp_class_f32_e64 s2, v37, 0x204
	s_delay_alu instid0(VALU_DEP_1) | instskip(SKIP_1) | instid1(VALU_DEP_2)
	v_cndmask_b32_e64 v36, v36, v37, s2
	v_cmp_neq_f32_e64 s2, v39, v38
	v_bfi_b32 v36, 0x7fffffff, v36, v43
	s_delay_alu instid0(VALU_DEP_2) | instskip(NEXT) | instid1(SALU_CYCLE_1)
	s_xor_b32 s2, s2, s4
	v_cndmask_b32_e64 v37, v38, 0, s2
	s_xor_b32 s2, s5, s6
	s_delay_alu instid0(VALU_DEP_2) | instskip(SKIP_3) | instid1(VALU_DEP_2)
	v_cndmask_b32_e64 v43, 0x7fc00000, v36, s3
	v_cndmask_b32_e64 v44, 0x7f800000, 0, s2
	v_cmp_eq_f32_e64 s2, 1.0, v41
	v_cmp_eq_f32_e64 s3, 0x7f800000, v38
	v_cndmask_b32_e64 v37, v37, v41, s2
	v_cmp_gt_f32_e64 s2, 0, v40
	s_delay_alu instid0(VALU_DEP_1) | instskip(SKIP_2) | instid1(VALU_DEP_3)
	v_cndmask_b32_e64 v36, v36, v43, s2
	v_cmp_eq_f32_e64 s2, 0x7f800000, v41
	v_bfi_b32 v41, 0x7fffffff, v44, v42
	v_cndmask_b32_e64 v36, v36, v37, s3
	s_delay_alu instid0(VALU_DEP_3)
	s_or_b32 s2, s2, s6
	s_delay_alu instid0(VALU_DEP_1) | instid1(SALU_CYCLE_1)
	v_cndmask_b32_e64 v36, v36, v41, s2
	v_cmp_o_f32_e64 s2, v40, v39
	s_delay_alu instid0(VALU_DEP_1) | instskip(NEXT) | instid1(VALU_DEP_1)
	v_cndmask_b32_e64 v38, 0x7fc00000, v36, s2
	v_bfe_u32 v36, v38, 16, 1
	s_delay_alu instid0(VALU_DEP_1) | instskip(NEXT) | instid1(VALU_DEP_1)
	v_add3_u32 v36, v38, v36, 0x7fff
	v_lshrrev_b32_e32 v39, 16, v36
	v_add_co_u32 v36, s2, v7, s30
	s_delay_alu instid0(VALU_DEP_1) | instskip(SKIP_1) | instid1(VALU_DEP_1)
	v_add_co_ci_u32_e64 v37, s2, s31, v8, s2
	v_cmp_o_f32_e64 s2, v38, v38
	v_cndmask_b32_e64 v38, 0x7fc0, v39, s2
	global_store_b16 v[36:37], v38, off
	s_or_b32 exec_lo, exec_lo, s15
	s_and_saveexec_b32 s6, s1
	s_cbranch_execz .LBB154_18
.LBB154_22:                             ;   in Loop: Header=BB154_9 Depth=1
	s_waitcnt vmcnt(0)
	v_lshlrev_b32_e32 v35, 16, v35
	s_delay_alu instid0(VALU_DEP_1) | instskip(NEXT) | instid1(VALU_DEP_1)
	v_dual_mul_f32 v38, s33, v35 :: v_dual_and_b32 v37, 0xffff0000, v1
	v_cmp_eq_f32_e64 s2, 1.0, v37
	s_delay_alu instid0(VALU_DEP_1) | instskip(NEXT) | instid1(VALU_DEP_1)
	v_cndmask_b32_e64 v39, v38, 1.0, s2
	v_cmp_eq_f32_e64 s1, 0, v39
	s_delay_alu instid0(VALU_DEP_1) | instskip(SKIP_1) | instid1(VALU_DEP_2)
	v_cndmask_b32_e64 v40, |v37|, 1.0, s1
	v_cndmask_b32_e64 v37, v37, 1.0, s1
	v_frexp_mant_f32_e32 v35, v40
	v_cmp_gt_f32_e64 s4, 1.0, v40
	s_delay_alu instid0(VALU_DEP_2) | instskip(NEXT) | instid1(VALU_DEP_1)
	v_cmp_gt_f32_e64 s3, 0x3f2aaaab, v35
	v_cndmask_b32_e64 v36, 1.0, 2.0, s3
	s_delay_alu instid0(VALU_DEP_1) | instskip(NEXT) | instid1(VALU_DEP_1)
	v_mul_f32_e32 v35, v35, v36
	v_add_f32_e32 v42, -1.0, v35
	v_add_f32_e32 v36, 1.0, v35
	s_delay_alu instid0(VALU_DEP_1) | instskip(SKIP_2) | instid1(VALU_DEP_1)
	v_rcp_f32_e32 v41, v36
	s_waitcnt_depctr 0xfff
	v_dual_mul_f32 v43, v42, v41 :: v_dual_add_f32 v44, -1.0, v36
	v_sub_f32_e32 v35, v35, v44
	s_delay_alu instid0(VALU_DEP_2) | instskip(NEXT) | instid1(VALU_DEP_1)
	v_mul_f32_e32 v45, v36, v43
	v_fma_f32 v36, v43, v36, -v45
	s_delay_alu instid0(VALU_DEP_1) | instskip(NEXT) | instid1(VALU_DEP_1)
	v_fmac_f32_e32 v36, v43, v35
	v_add_f32_e32 v35, v45, v36
	s_delay_alu instid0(VALU_DEP_1) | instskip(NEXT) | instid1(VALU_DEP_1)
	v_sub_f32_e32 v44, v42, v35
	v_dual_sub_f32 v42, v42, v44 :: v_dual_sub_f32 v45, v35, v45
	s_delay_alu instid0(VALU_DEP_1) | instskip(NEXT) | instid1(VALU_DEP_1)
	v_dual_sub_f32 v35, v42, v35 :: v_dual_sub_f32 v36, v45, v36
	v_add_f32_e32 v35, v36, v35
	s_delay_alu instid0(VALU_DEP_1) | instskip(NEXT) | instid1(VALU_DEP_1)
	v_add_f32_e32 v35, v44, v35
	v_mul_f32_e32 v35, v41, v35
	s_delay_alu instid0(VALU_DEP_1) | instskip(NEXT) | instid1(VALU_DEP_1)
	v_add_f32_e32 v41, v43, v35
	v_sub_f32_e32 v36, v41, v43
	v_mul_f32_e32 v42, v41, v41
	s_delay_alu instid0(VALU_DEP_1) | instskip(NEXT) | instid1(VALU_DEP_3)
	v_fma_f32 v44, v41, v41, -v42
	v_sub_f32_e32 v43, v35, v36
	s_delay_alu instid0(VALU_DEP_1) | instskip(NEXT) | instid1(VALU_DEP_1)
	v_add_f32_e32 v35, v43, v43
	v_fmac_f32_e32 v44, v41, v35
	v_cvt_f64_f32_e32 v[35:36], v40
	s_delay_alu instid0(VALU_DEP_2) | instskip(NEXT) | instid1(VALU_DEP_1)
	v_add_f32_e32 v45, v42, v44
	v_fmaak_f32 v46, s14, v45, 0x3e91f4c4
	v_sub_f32_e32 v42, v45, v42
	v_mul_f32_e32 v49, v41, v45
	s_delay_alu instid0(VALU_DEP_3) | instskip(NEXT) | instid1(VALU_DEP_3)
	v_fmaak_f32 v46, v45, v46, 0x3ecccdef
	v_sub_f32_e32 v42, v44, v42
	s_delay_alu instid0(VALU_DEP_2) | instskip(NEXT) | instid1(VALU_DEP_1)
	v_mul_f32_e32 v47, v45, v46
	v_fma_f32 v44, v45, v46, -v47
	s_delay_alu instid0(VALU_DEP_1) | instskip(NEXT) | instid1(VALU_DEP_1)
	v_fmac_f32_e32 v44, v42, v46
	v_add_f32_e32 v46, v47, v44
	v_frexp_exp_i32_f64_e32 v35, v[35:36]
	s_delay_alu instid0(VALU_DEP_2) | instskip(NEXT) | instid1(VALU_DEP_1)
	v_dual_sub_f32 v47, v46, v47 :: v_dual_add_f32 v48, 0x3f2aaaaa, v46
	v_sub_f32_e32 v36, v44, v47
	s_delay_alu instid0(VALU_DEP_2) | instskip(SKIP_1) | instid1(VALU_DEP_1)
	v_add_f32_e32 v44, 0xbf2aaaaa, v48
	v_fma_f32 v47, v45, v41, -v49
	v_dual_sub_f32 v44, v46, v44 :: v_dual_fmac_f32 v47, v45, v43
	v_ldexp_f32 v43, v43, 1
	s_delay_alu instid0(VALU_DEP_2) | instskip(NEXT) | instid1(VALU_DEP_1)
	v_dual_fmac_f32 v47, v42, v41 :: v_dual_add_f32 v36, 0x31739010, v36
	v_add_f32_e32 v36, v36, v44
	s_delay_alu instid0(VALU_DEP_2) | instskip(NEXT) | instid1(VALU_DEP_2)
	v_add_f32_e32 v44, v49, v47
	v_add_f32_e32 v42, v48, v36
	s_delay_alu instid0(VALU_DEP_1) | instskip(SKIP_1) | instid1(VALU_DEP_2)
	v_sub_f32_e32 v45, v48, v42
	v_subrev_co_ci_u32_e64 v35, s3, 0, v35, s3
	v_add_f32_e32 v36, v36, v45
	s_delay_alu instid0(VALU_DEP_2) | instskip(SKIP_1) | instid1(VALU_DEP_1)
	v_cvt_f32_i32_e32 v35, v35
	v_sub_f32_e32 v48, v44, v49
	v_dual_sub_f32 v47, v47, v48 :: v_dual_mul_f32 v46, v44, v42
	s_delay_alu instid0(VALU_DEP_1) | instskip(NEXT) | instid1(VALU_DEP_1)
	v_fma_f32 v45, v44, v42, -v46
	v_fmac_f32_e32 v45, v44, v36
	v_ldexp_f32 v36, v41, 1
	s_delay_alu instid0(VALU_DEP_2) | instskip(NEXT) | instid1(VALU_DEP_1)
	v_fmac_f32_e32 v45, v47, v42
	v_add_f32_e32 v41, v46, v45
	s_delay_alu instid0(VALU_DEP_1) | instskip(SKIP_2) | instid1(VALU_DEP_3)
	v_sub_f32_e32 v44, v41, v46
	v_mul_f32_e32 v46, 0x3f317218, v35
	v_add_f32_e32 v42, v36, v41
	v_sub_f32_e32 v44, v45, v44
	s_delay_alu instid0(VALU_DEP_3) | instskip(NEXT) | instid1(VALU_DEP_1)
	v_fma_f32 v45, 0x3f317218, v35, -v46
	v_dual_fmac_f32 v45, 0xb102e308, v35 :: v_dual_sub_f32 v36, v42, v36
	s_delay_alu instid0(VALU_DEP_1) | instskip(NEXT) | instid1(VALU_DEP_4)
	v_sub_f32_e32 v36, v41, v36
	v_add_f32_e32 v41, v43, v44
	s_delay_alu instid0(VALU_DEP_1) | instskip(NEXT) | instid1(VALU_DEP_1)
	v_dual_add_f32 v35, v41, v36 :: v_dual_add_f32 v36, v46, v45
	v_add_f32_e32 v41, v42, v35
	s_delay_alu instid0(VALU_DEP_1) | instskip(NEXT) | instid1(VALU_DEP_1)
	v_dual_add_f32 v43, v36, v41 :: v_dual_sub_f32 v42, v41, v42
	v_sub_f32_e32 v44, v43, v36
	s_delay_alu instid0(VALU_DEP_2) | instskip(NEXT) | instid1(VALU_DEP_2)
	v_sub_f32_e32 v35, v35, v42
	v_dual_sub_f32 v47, v43, v44 :: v_dual_sub_f32 v46, v36, v46
	s_delay_alu instid0(VALU_DEP_1) | instskip(NEXT) | instid1(VALU_DEP_2)
	v_dual_sub_f32 v41, v41, v44 :: v_dual_sub_f32 v36, v36, v47
	v_sub_f32_e32 v45, v45, v46
	s_delay_alu instid0(VALU_DEP_2) | instskip(NEXT) | instid1(VALU_DEP_2)
	v_add_f32_e32 v36, v41, v36
	v_add_f32_e32 v42, v45, v35
	s_delay_alu instid0(VALU_DEP_1) | instskip(NEXT) | instid1(VALU_DEP_1)
	v_sub_f32_e32 v41, v42, v45
	v_dual_add_f32 v36, v42, v36 :: v_dual_sub_f32 v35, v35, v41
	s_delay_alu instid0(VALU_DEP_1) | instskip(SKIP_1) | instid1(VALU_DEP_1)
	v_add_f32_e32 v44, v43, v36
	v_sub_f32_e32 v42, v42, v41
	v_dual_sub_f32 v41, v45, v42 :: v_dual_sub_f32 v42, v44, v43
	s_delay_alu instid0(VALU_DEP_1) | instskip(NEXT) | instid1(VALU_DEP_1)
	v_dual_add_f32 v35, v35, v41 :: v_dual_sub_f32 v36, v36, v42
	v_add_f32_e32 v35, v35, v36
	s_delay_alu instid0(VALU_DEP_1) | instskip(NEXT) | instid1(VALU_DEP_1)
	v_add_f32_e32 v36, v44, v35
	v_sub_f32_e32 v41, v36, v44
	v_mul_f32_e32 v42, v39, v36
	s_delay_alu instid0(VALU_DEP_2) | instskip(NEXT) | instid1(VALU_DEP_2)
	v_sub_f32_e32 v35, v35, v41
	v_fma_f32 v36, v39, v36, -v42
	v_cmp_class_f32_e64 s3, v42, 0x204
	s_delay_alu instid0(VALU_DEP_2) | instskip(NEXT) | instid1(VALU_DEP_1)
	v_fmac_f32_e32 v36, v39, v35
	v_add_f32_e32 v35, v42, v36
	s_delay_alu instid0(VALU_DEP_1) | instskip(NEXT) | instid1(VALU_DEP_1)
	v_cndmask_b32_e64 v41, v35, v42, s3
	v_cmp_eq_f32_e64 s3, 0x42b17218, v41
	s_delay_alu instid0(VALU_DEP_1) | instskip(NEXT) | instid1(VALU_DEP_1)
	v_cndmask_b32_e64 v43, 0, 0x37000000, s3
	v_dual_sub_f32 v44, v41, v43 :: v_dual_sub_f32 v35, v35, v42
	s_delay_alu instid0(VALU_DEP_1) | instskip(NEXT) | instid1(VALU_DEP_2)
	v_mul_f32_e32 v45, 0x3fb8aa3b, v44
	v_sub_f32_e32 v35, v36, v35
	v_cndmask_b32_e64 v36, |v38|, 1.0, s2
	v_cmp_neq_f32_e64 s2, 0x7f800000, |v41|
	v_trunc_f32_e32 v41, v39
	v_fma_f32 v46, 0x3fb8aa3b, v44, -v45
	v_rndne_f32_e32 v47, v45
	v_cmp_neq_f32_e64 s1, v39, v36
	v_cndmask_b32_e64 v35, 0, v35, s2
	v_cmp_ngt_f32_e64 s2, 0xc2ce8ed0, v44
	s_delay_alu instid0(VALU_DEP_4) | instskip(SKIP_1) | instid1(VALU_DEP_4)
	v_dual_fmac_f32 v46, 0x32a5705f, v44 :: v_dual_sub_f32 v45, v45, v47
	v_cvt_i32_f32_e32 v42, v47
	v_add_f32_e32 v35, v43, v35
	s_xor_b32 s1, s1, s4
	v_cmp_eq_f32_e64 s4, 1.0, v40
	v_add_f32_e32 v45, v45, v46
	s_delay_alu instid0(VALU_DEP_1) | instskip(SKIP_3) | instid1(VALU_DEP_2)
	v_exp_f32_e32 v45, v45
	s_waitcnt_depctr 0xfff
	v_ldexp_f32 v38, v45, v42
	v_mul_f32_e32 v42, 0.5, v39
	v_cndmask_b32_e64 v38, 0, v38, s2
	v_cmp_nlt_f32_e64 s2, 0x42b17218, v44
	s_delay_alu instid0(VALU_DEP_3) | instskip(NEXT) | instid1(VALU_DEP_2)
	v_trunc_f32_e32 v45, v42
	v_cndmask_b32_e64 v38, 0x7f800000, v38, s2
	v_cmp_eq_f32_e64 s2, v41, v39
	s_delay_alu instid0(VALU_DEP_3) | instskip(NEXT) | instid1(VALU_DEP_3)
	v_cmp_neq_f32_e64 s3, v45, v42
	v_fma_f32 v35, v38, v35, v38
	v_cmp_class_f32_e64 s5, v38, 0x204
	s_delay_alu instid0(VALU_DEP_3) | instskip(NEXT) | instid1(SALU_CYCLE_1)
	s_and_b32 s3, s2, s3
	v_cndmask_b32_e64 v41, 1.0, v37, s3
	v_cndmask_b32_e64 v43, 0, v37, s3
	s_delay_alu instid0(VALU_DEP_3)
	v_cndmask_b32_e64 v35, v35, v38, s5
	v_cmp_gt_f32_e64 s5, 0, v39
	v_cndmask_b32_e64 v38, v36, 0, s1
	v_cmp_eq_f32_e64 s1, 0, v37
	v_cmp_eq_f32_e64 s3, 0x7f800000, v36
	v_bfi_b32 v35, 0x7fffffff, v35, v41
	s_delay_alu instid0(VALU_DEP_4) | instskip(NEXT) | instid1(VALU_DEP_2)
	v_cndmask_b32_e64 v38, v38, v40, s4
	v_cndmask_b32_e64 v41, 0x7fc00000, v35, s2
	s_xor_b32 s2, s5, s1
	s_delay_alu instid0(SALU_CYCLE_1) | instskip(SKIP_1) | instid1(VALU_DEP_1)
	v_cndmask_b32_e64 v42, 0x7f800000, 0, s2
	v_cmp_gt_f32_e64 s2, 0, v37
	v_cndmask_b32_e64 v35, v35, v41, s2
	v_cmp_eq_f32_e64 s2, 0x7f800000, v40
	s_delay_alu instid0(VALU_DEP_4) | instskip(NEXT) | instid1(VALU_DEP_3)
	v_bfi_b32 v40, 0x7fffffff, v42, v43
	v_cndmask_b32_e64 v35, v35, v38, s3
	s_delay_alu instid0(VALU_DEP_3)
	s_or_b32 s1, s2, s1
	s_delay_alu instid0(VALU_DEP_1) | instid1(SALU_CYCLE_1)
	v_cndmask_b32_e64 v35, v35, v40, s1
	v_cmp_o_f32_e64 s1, v37, v39
	s_delay_alu instid0(VALU_DEP_1) | instskip(NEXT) | instid1(VALU_DEP_1)
	v_cndmask_b32_e64 v35, 0x7fc00000, v35, s1
	v_bfe_u32 v36, v35, 16, 1
	v_cmp_o_f32_e64 s1, v35, v35
	s_delay_alu instid0(VALU_DEP_2) | instskip(NEXT) | instid1(VALU_DEP_1)
	v_add3_u32 v36, v35, v36, 0x7fff
	v_lshrrev_b32_e32 v36, 16, v36
	s_delay_alu instid0(VALU_DEP_1) | instskip(SKIP_1) | instid1(VALU_DEP_1)
	v_cndmask_b32_e64 v37, 0x7fc0, v36, s1
	v_add_co_u32 v35, s1, v31, s30
	v_add_co_ci_u32_e64 v36, s1, s31, v32, s1
	global_store_b16 v[35:36], v37, off
	s_or_b32 exec_lo, exec_lo, s6
	s_and_saveexec_b32 s5, s0
	s_cbranch_execz .LBB154_19
.LBB154_23:                             ;   in Loop: Header=BB154_9 Depth=1
	v_alignbit_b32 v1, v2, v1, 16
	s_waitcnt vmcnt(0)
	v_lshlrev_b32_e32 v34, 16, v34
	s_delay_alu instid0(VALU_DEP_1) | instskip(NEXT) | instid1(VALU_DEP_1)
	v_dual_mul_f32 v36, s33, v34 :: v_dual_and_b32 v1, 0xffff0000, v1
	v_cmp_eq_f32_e64 s1, 1.0, v1
	s_delay_alu instid0(VALU_DEP_1) | instskip(SKIP_1) | instid1(VALU_DEP_2)
	v_cndmask_b32_e64 v37, v36, 1.0, s1
	v_cndmask_b32_e64 v36, |v36|, 1.0, s1
	v_cmp_eq_f32_e64 s0, 0, v37
	s_delay_alu instid0(VALU_DEP_1) | instskip(SKIP_1) | instid1(VALU_DEP_4)
	v_cndmask_b32_e64 v38, |v1|, 1.0, s0
	v_cndmask_b32_e64 v1, v1, 1.0, s0
	v_cmp_neq_f32_e64 s0, v37, v36
	s_delay_alu instid0(VALU_DEP_3) | instskip(SKIP_1) | instid1(VALU_DEP_2)
	v_frexp_mant_f32_e32 v34, v38
	v_cmp_gt_f32_e64 s3, 1.0, v38
	v_cmp_gt_f32_e64 s2, 0x3f2aaaab, v34
	s_delay_alu instid0(VALU_DEP_2) | instskip(SKIP_1) | instid1(VALU_DEP_2)
	s_xor_b32 s0, s0, s3
	v_cmp_eq_f32_e64 s3, 1.0, v38
	v_cndmask_b32_e64 v35, 1.0, 2.0, s2
	s_delay_alu instid0(VALU_DEP_1) | instskip(NEXT) | instid1(VALU_DEP_1)
	v_mul_f32_e32 v34, v34, v35
	v_add_f32_e32 v35, 1.0, v34
	v_add_f32_e32 v40, -1.0, v34
	s_delay_alu instid0(VALU_DEP_2) | instskip(SKIP_2) | instid1(VALU_DEP_1)
	v_rcp_f32_e32 v39, v35
	s_waitcnt_depctr 0xfff
	v_mul_f32_e32 v41, v40, v39
	v_dual_add_f32 v42, -1.0, v35 :: v_dual_mul_f32 v43, v35, v41
	s_delay_alu instid0(VALU_DEP_1) | instskip(NEXT) | instid1(VALU_DEP_2)
	v_sub_f32_e32 v34, v34, v42
	v_fma_f32 v35, v41, v35, -v43
	s_delay_alu instid0(VALU_DEP_1) | instskip(NEXT) | instid1(VALU_DEP_1)
	v_fmac_f32_e32 v35, v41, v34
	v_add_f32_e32 v34, v43, v35
	s_delay_alu instid0(VALU_DEP_1) | instskip(NEXT) | instid1(VALU_DEP_1)
	v_dual_sub_f32 v43, v34, v43 :: v_dual_sub_f32 v42, v40, v34
	v_dual_sub_f32 v35, v43, v35 :: v_dual_sub_f32 v40, v40, v42
	s_delay_alu instid0(VALU_DEP_1) | instskip(NEXT) | instid1(VALU_DEP_1)
	v_sub_f32_e32 v34, v40, v34
	v_add_f32_e32 v34, v35, v34
	s_delay_alu instid0(VALU_DEP_1) | instskip(NEXT) | instid1(VALU_DEP_1)
	v_add_f32_e32 v34, v42, v34
	v_mul_f32_e32 v34, v39, v34
	s_delay_alu instid0(VALU_DEP_1) | instskip(NEXT) | instid1(VALU_DEP_1)
	v_add_f32_e32 v39, v41, v34
	v_sub_f32_e32 v35, v39, v41
	v_mul_f32_e32 v40, v39, v39
	s_delay_alu instid0(VALU_DEP_2) | instskip(NEXT) | instid1(VALU_DEP_2)
	v_sub_f32_e32 v41, v34, v35
	v_fma_f32 v42, v39, v39, -v40
	s_delay_alu instid0(VALU_DEP_2) | instskip(NEXT) | instid1(VALU_DEP_1)
	v_add_f32_e32 v34, v41, v41
	v_fmac_f32_e32 v42, v39, v34
	v_cvt_f64_f32_e32 v[34:35], v38
	s_delay_alu instid0(VALU_DEP_2) | instskip(NEXT) | instid1(VALU_DEP_1)
	v_add_f32_e32 v43, v40, v42
	v_fmaak_f32 v44, s14, v43, 0x3e91f4c4
	v_sub_f32_e32 v40, v43, v40
	v_mul_f32_e32 v47, v39, v43
	s_delay_alu instid0(VALU_DEP_3) | instskip(NEXT) | instid1(VALU_DEP_3)
	v_fmaak_f32 v44, v43, v44, 0x3ecccdef
	v_sub_f32_e32 v40, v42, v40
	s_delay_alu instid0(VALU_DEP_2) | instskip(NEXT) | instid1(VALU_DEP_1)
	v_mul_f32_e32 v45, v43, v44
	v_fma_f32 v42, v43, v44, -v45
	s_delay_alu instid0(VALU_DEP_1) | instskip(NEXT) | instid1(VALU_DEP_1)
	v_fmac_f32_e32 v42, v40, v44
	v_add_f32_e32 v44, v45, v42
	v_frexp_exp_i32_f64_e32 v34, v[34:35]
	s_delay_alu instid0(VALU_DEP_2) | instskip(NEXT) | instid1(VALU_DEP_1)
	v_sub_f32_e32 v45, v44, v45
	v_sub_f32_e32 v35, v42, v45
	v_fma_f32 v45, v43, v39, -v47
	s_delay_alu instid0(VALU_DEP_2) | instskip(NEXT) | instid1(VALU_DEP_2)
	v_add_f32_e32 v35, 0x31739010, v35
	v_dual_add_f32 v46, 0x3f2aaaaa, v44 :: v_dual_fmac_f32 v45, v43, v41
	v_ldexp_f32 v41, v41, 1
	s_delay_alu instid0(VALU_DEP_2) | instskip(NEXT) | instid1(VALU_DEP_1)
	v_dual_add_f32 v42, 0xbf2aaaaa, v46 :: v_dual_fmac_f32 v45, v40, v39
	v_sub_f32_e32 v42, v44, v42
	s_delay_alu instid0(VALU_DEP_1) | instskip(NEXT) | instid1(VALU_DEP_3)
	v_add_f32_e32 v35, v35, v42
	v_add_f32_e32 v42, v47, v45
	s_delay_alu instid0(VALU_DEP_2) | instskip(NEXT) | instid1(VALU_DEP_1)
	v_add_f32_e32 v40, v46, v35
	v_sub_f32_e32 v43, v46, v40
	s_delay_alu instid0(VALU_DEP_3) | instskip(SKIP_1) | instid1(VALU_DEP_3)
	v_mul_f32_e32 v44, v42, v40
	v_subrev_co_ci_u32_e64 v34, s2, 0, v34, s2
	v_add_f32_e32 v35, v35, v43
	s_delay_alu instid0(VALU_DEP_3) | instskip(NEXT) | instid1(VALU_DEP_3)
	v_fma_f32 v43, v42, v40, -v44
	v_cvt_f32_i32_e32 v34, v34
	v_sub_f32_e32 v46, v42, v47
	s_delay_alu instid0(VALU_DEP_3) | instskip(SKIP_1) | instid1(VALU_DEP_3)
	v_fmac_f32_e32 v43, v42, v35
	v_ldexp_f32 v35, v39, 1
	v_sub_f32_e32 v45, v45, v46
	s_delay_alu instid0(VALU_DEP_1) | instskip(NEXT) | instid1(VALU_DEP_1)
	v_fmac_f32_e32 v43, v45, v40
	v_add_f32_e32 v39, v44, v43
	s_delay_alu instid0(VALU_DEP_1) | instskip(NEXT) | instid1(VALU_DEP_1)
	v_add_f32_e32 v40, v35, v39
	v_dual_sub_f32 v35, v40, v35 :: v_dual_sub_f32 v42, v39, v44
	s_delay_alu instid0(VALU_DEP_1) | instskip(NEXT) | instid1(VALU_DEP_2)
	v_dual_mul_f32 v44, 0x3f317218, v34 :: v_dual_sub_f32 v35, v39, v35
	v_sub_f32_e32 v42, v43, v42
	s_delay_alu instid0(VALU_DEP_2) | instskip(NEXT) | instid1(VALU_DEP_2)
	v_fma_f32 v43, 0x3f317218, v34, -v44
	v_add_f32_e32 v39, v41, v42
	s_delay_alu instid0(VALU_DEP_1) | instskip(NEXT) | instid1(VALU_DEP_1)
	v_dual_fmac_f32 v43, 0xb102e308, v34 :: v_dual_add_f32 v34, v39, v35
	v_add_f32_e32 v35, v44, v43
	s_delay_alu instid0(VALU_DEP_2) | instskip(NEXT) | instid1(VALU_DEP_1)
	v_add_f32_e32 v39, v40, v34
	v_add_f32_e32 v41, v35, v39
	v_sub_f32_e32 v44, v35, v44
	s_delay_alu instid0(VALU_DEP_1) | instskip(NEXT) | instid1(VALU_DEP_1)
	v_dual_sub_f32 v42, v41, v35 :: v_dual_sub_f32 v43, v43, v44
	v_dual_sub_f32 v45, v41, v42 :: v_dual_sub_f32 v40, v39, v40
	s_delay_alu instid0(VALU_DEP_1) | instskip(NEXT) | instid1(VALU_DEP_2)
	v_dual_sub_f32 v39, v39, v42 :: v_dual_sub_f32 v34, v34, v40
	v_sub_f32_e32 v35, v35, v45
	s_delay_alu instid0(VALU_DEP_2) | instskip(NEXT) | instid1(VALU_DEP_2)
	v_add_f32_e32 v40, v43, v34
	v_add_f32_e32 v35, v39, v35
	s_delay_alu instid0(VALU_DEP_2) | instskip(NEXT) | instid1(VALU_DEP_2)
	v_sub_f32_e32 v39, v40, v43
	v_add_f32_e32 v35, v40, v35
	s_delay_alu instid0(VALU_DEP_2) | instskip(NEXT) | instid1(VALU_DEP_2)
	v_sub_f32_e32 v40, v40, v39
	v_add_f32_e32 v42, v41, v35
	s_delay_alu instid0(VALU_DEP_2) | instskip(NEXT) | instid1(VALU_DEP_2)
	v_dual_sub_f32 v34, v34, v39 :: v_dual_sub_f32 v39, v43, v40
	v_sub_f32_e32 v40, v42, v41
	s_delay_alu instid0(VALU_DEP_1) | instskip(NEXT) | instid1(VALU_DEP_1)
	v_dual_add_f32 v34, v34, v39 :: v_dual_sub_f32 v35, v35, v40
	v_add_f32_e32 v34, v34, v35
	s_delay_alu instid0(VALU_DEP_1) | instskip(NEXT) | instid1(VALU_DEP_1)
	v_add_f32_e32 v35, v42, v34
	v_dual_sub_f32 v39, v35, v42 :: v_dual_mul_f32 v40, v37, v35
	s_delay_alu instid0(VALU_DEP_1) | instskip(NEXT) | instid1(VALU_DEP_2)
	v_sub_f32_e32 v34, v34, v39
	v_fma_f32 v35, v37, v35, -v40
	v_cmp_class_f32_e64 s2, v40, 0x204
	s_delay_alu instid0(VALU_DEP_2) | instskip(NEXT) | instid1(VALU_DEP_1)
	v_fmac_f32_e32 v35, v37, v34
	v_add_f32_e32 v34, v40, v35
	s_delay_alu instid0(VALU_DEP_1) | instskip(NEXT) | instid1(VALU_DEP_1)
	v_cndmask_b32_e64 v39, v34, v40, s2
	v_cmp_eq_f32_e64 s2, 0x42b17218, v39
	s_delay_alu instid0(VALU_DEP_1) | instskip(SKIP_1) | instid1(VALU_DEP_2)
	v_cndmask_b32_e64 v41, 0, 0x37000000, s2
	v_cmp_neq_f32_e64 s2, 0x7f800000, |v39|
	v_sub_f32_e32 v42, v39, v41
	s_delay_alu instid0(VALU_DEP_1) | instskip(SKIP_1) | instid1(VALU_DEP_2)
	v_mul_f32_e32 v43, 0x3fb8aa3b, v42
	v_cmp_nlt_f32_e64 s1, 0x42b17218, v42
	v_fma_f32 v44, 0x3fb8aa3b, v42, -v43
	v_rndne_f32_e32 v45, v43
	s_delay_alu instid0(VALU_DEP_1) | instskip(SKIP_2) | instid1(VALU_DEP_3)
	v_dual_fmac_f32 v44, 0x32a5705f, v42 :: v_dual_sub_f32 v43, v43, v45
	v_sub_f32_e32 v34, v34, v40
	v_cvt_i32_f32_e32 v40, v45
	v_add_f32_e32 v43, v43, v44
	s_delay_alu instid0(VALU_DEP_3) | instskip(SKIP_1) | instid1(VALU_DEP_3)
	v_sub_f32_e32 v34, v35, v34
	v_trunc_f32_e32 v35, v37
	v_exp_f32_e32 v43, v43
	s_delay_alu instid0(VALU_DEP_2) | instskip(SKIP_1) | instid1(VALU_DEP_2)
	v_cndmask_b32_e64 v34, 0, v34, s2
	v_cmp_ngt_f32_e64 s2, 0xc2ce8ed0, v42
	v_add_f32_e32 v34, v41, v34
	s_waitcnt_depctr 0xfff
	v_ldexp_f32 v40, v43, v40
	v_mul_f32_e32 v43, 0.5, v37
	s_delay_alu instid0(VALU_DEP_2) | instskip(NEXT) | instid1(VALU_DEP_2)
	v_cndmask_b32_e64 v39, 0, v40, s2
	v_trunc_f32_e32 v40, v43
	s_delay_alu instid0(VALU_DEP_2) | instskip(SKIP_1) | instid1(VALU_DEP_3)
	v_cndmask_b32_e64 v39, 0x7f800000, v39, s1
	v_cmp_eq_f32_e64 s1, v35, v37
	v_cmp_neq_f32_e64 s2, v40, v43
	s_delay_alu instid0(VALU_DEP_3) | instskip(SKIP_1) | instid1(VALU_DEP_3)
	v_fma_f32 v34, v39, v34, v39
	v_cmp_class_f32_e64 s4, v39, 0x204
	s_and_b32 s2, s1, s2
	s_delay_alu instid0(SALU_CYCLE_1) | instskip(SKIP_1) | instid1(VALU_DEP_3)
	v_cndmask_b32_e64 v35, 1.0, v1, s2
	v_cndmask_b32_e64 v41, 0, v1, s2
	v_cndmask_b32_e64 v34, v34, v39, s4
	v_cmp_gt_f32_e64 s4, 0, v37
	v_cndmask_b32_e64 v39, v36, 0, s0
	v_cmp_eq_f32_e64 s0, 0, v1
	v_cmp_eq_f32_e64 s2, 0x7f800000, v36
	v_bfi_b32 v34, 0x7fffffff, v34, v35
	s_delay_alu instid0(VALU_DEP_4) | instskip(NEXT) | instid1(VALU_DEP_2)
	v_cndmask_b32_e64 v35, v39, v38, s3
	v_cndmask_b32_e64 v39, 0x7fc00000, v34, s1
	s_xor_b32 s1, s4, s0
	s_delay_alu instid0(SALU_CYCLE_1) | instskip(SKIP_1) | instid1(VALU_DEP_1)
	v_cndmask_b32_e64 v40, 0x7f800000, 0, s1
	v_cmp_gt_f32_e64 s1, 0, v1
	v_cndmask_b32_e64 v34, v34, v39, s1
	v_cmp_eq_f32_e64 s1, 0x7f800000, v38
	s_delay_alu instid0(VALU_DEP_4) | instskip(NEXT) | instid1(VALU_DEP_3)
	v_bfi_b32 v38, 0x7fffffff, v40, v41
	v_cndmask_b32_e64 v34, v34, v35, s2
	s_delay_alu instid0(VALU_DEP_3)
	s_or_b32 s0, s1, s0
	s_delay_alu instid0(VALU_DEP_1) | instid1(SALU_CYCLE_1)
	v_cndmask_b32_e64 v34, v34, v38, s0
	v_cmp_o_f32_e64 s0, v1, v37
	s_delay_alu instid0(VALU_DEP_1) | instskip(NEXT) | instid1(VALU_DEP_1)
	v_cndmask_b32_e64 v1, 0x7fc00000, v34, s0
	v_bfe_u32 v34, v1, 16, 1
	v_cmp_o_f32_e64 s0, v1, v1
	s_delay_alu instid0(VALU_DEP_2) | instskip(NEXT) | instid1(VALU_DEP_1)
	v_add3_u32 v34, v1, v34, 0x7fff
	v_lshrrev_b32_e32 v34, 16, v34
	s_delay_alu instid0(VALU_DEP_1) | instskip(SKIP_1) | instid1(VALU_DEP_1)
	v_cndmask_b32_e64 v1, 0x7fc0, v34, s0
	v_add_co_u32 v34, s0, v22, s30
	v_add_co_ci_u32_e64 v35, s0, s31, v23, s0
	global_store_b16 v[34:35], v1, off
	s_or_b32 exec_lo, exec_lo, s5
	s_and_saveexec_b32 s4, vcc_lo
	s_cbranch_execz .LBB154_8
.LBB154_24:                             ;   in Loop: Header=BB154_9 Depth=1
	s_waitcnt vmcnt(0)
	v_lshlrev_b32_e32 v1, 16, v33
	s_delay_alu instid0(VALU_DEP_1) | instskip(NEXT) | instid1(VALU_DEP_1)
	v_dual_mul_f32 v34, s33, v1 :: v_dual_and_b32 v33, 0xffff0000, v2
	v_cmp_eq_f32_e64 s0, 1.0, v33
	s_delay_alu instid0(VALU_DEP_1) | instskip(NEXT) | instid1(VALU_DEP_1)
	v_cndmask_b32_e64 v35, v34, 1.0, s0
	v_cmp_eq_f32_e32 vcc_lo, 0, v35
	v_cndmask_b32_e64 v36, |v33|, 1.0, vcc_lo
	v_cndmask_b32_e64 v33, v33, 1.0, vcc_lo
	s_delay_alu instid0(VALU_DEP_2) | instskip(SKIP_1) | instid1(VALU_DEP_2)
	v_frexp_mant_f32_e32 v1, v36
	v_cmp_gt_f32_e64 s2, 1.0, v36
	v_cmp_gt_f32_e64 s1, 0x3f2aaaab, v1
	s_delay_alu instid0(VALU_DEP_1) | instskip(NEXT) | instid1(VALU_DEP_1)
	v_cndmask_b32_e64 v2, 1.0, 2.0, s1
	v_mul_f32_e32 v1, v1, v2
	s_delay_alu instid0(VALU_DEP_1) | instskip(SKIP_1) | instid1(VALU_DEP_2)
	v_add_f32_e32 v2, 1.0, v1
	v_add_f32_e32 v38, -1.0, v1
	v_add_f32_e32 v40, -1.0, v2
	s_delay_alu instid0(VALU_DEP_1) | instskip(SKIP_3) | instid1(VALU_DEP_1)
	v_sub_f32_e32 v1, v1, v40
	v_rcp_f32_e32 v37, v2
	s_waitcnt_depctr 0xfff
	v_mul_f32_e32 v39, v38, v37
	v_mul_f32_e32 v41, v2, v39
	s_delay_alu instid0(VALU_DEP_1) | instskip(NEXT) | instid1(VALU_DEP_1)
	v_fma_f32 v2, v39, v2, -v41
	v_fmac_f32_e32 v2, v39, v1
	s_delay_alu instid0(VALU_DEP_1) | instskip(NEXT) | instid1(VALU_DEP_1)
	v_add_f32_e32 v1, v41, v2
	v_sub_f32_e32 v40, v38, v1
	s_delay_alu instid0(VALU_DEP_1) | instskip(NEXT) | instid1(VALU_DEP_1)
	v_dual_sub_f32 v41, v1, v41 :: v_dual_sub_f32 v38, v38, v40
	v_dual_sub_f32 v2, v41, v2 :: v_dual_sub_f32 v1, v38, v1
	s_delay_alu instid0(VALU_DEP_1) | instskip(NEXT) | instid1(VALU_DEP_1)
	v_add_f32_e32 v1, v2, v1
	v_add_f32_e32 v1, v40, v1
	s_delay_alu instid0(VALU_DEP_1) | instskip(NEXT) | instid1(VALU_DEP_1)
	v_mul_f32_e32 v1, v37, v1
	v_add_f32_e32 v37, v39, v1
	s_delay_alu instid0(VALU_DEP_1) | instskip(NEXT) | instid1(VALU_DEP_1)
	v_sub_f32_e32 v2, v37, v39
	v_sub_f32_e32 v39, v1, v2
	s_delay_alu instid0(VALU_DEP_1) | instskip(NEXT) | instid1(VALU_DEP_1)
	v_dual_mul_f32 v38, v37, v37 :: v_dual_add_f32 v1, v39, v39
	v_fma_f32 v40, v37, v37, -v38
	s_delay_alu instid0(VALU_DEP_1) | instskip(SKIP_1) | instid1(VALU_DEP_2)
	v_fmac_f32_e32 v40, v37, v1
	v_cvt_f64_f32_e32 v[1:2], v36
	v_add_f32_e32 v41, v38, v40
	s_delay_alu instid0(VALU_DEP_1) | instskip(SKIP_1) | instid1(VALU_DEP_2)
	v_fmaak_f32 v42, s14, v41, 0x3e91f4c4
	v_sub_f32_e32 v38, v41, v38
	v_fmaak_f32 v42, v41, v42, 0x3ecccdef
	s_delay_alu instid0(VALU_DEP_2) | instskip(NEXT) | instid1(VALU_DEP_2)
	v_sub_f32_e32 v38, v40, v38
	v_mul_f32_e32 v43, v41, v42
	s_delay_alu instid0(VALU_DEP_1) | instskip(NEXT) | instid1(VALU_DEP_1)
	v_fma_f32 v40, v41, v42, -v43
	v_fmac_f32_e32 v40, v38, v42
	s_delay_alu instid0(VALU_DEP_1) | instskip(SKIP_1) | instid1(VALU_DEP_2)
	v_add_f32_e32 v42, v43, v40
	v_frexp_exp_i32_f64_e32 v1, v[1:2]
	v_dual_add_f32 v44, 0x3f2aaaaa, v42 :: v_dual_mul_f32 v45, v37, v41
	v_sub_f32_e32 v43, v42, v43
	s_delay_alu instid0(VALU_DEP_1) | instskip(NEXT) | instid1(VALU_DEP_3)
	v_sub_f32_e32 v2, v40, v43
	v_add_f32_e32 v40, 0xbf2aaaaa, v44
	s_delay_alu instid0(VALU_DEP_4) | instskip(NEXT) | instid1(VALU_DEP_1)
	v_fma_f32 v43, v41, v37, -v45
	v_dual_sub_f32 v40, v42, v40 :: v_dual_fmac_f32 v43, v41, v39
	v_ldexp_f32 v39, v39, 1
	s_delay_alu instid0(VALU_DEP_2) | instskip(NEXT) | instid1(VALU_DEP_1)
	v_dual_fmac_f32 v43, v38, v37 :: v_dual_add_f32 v2, 0x31739010, v2
	v_add_f32_e32 v2, v2, v40
	s_delay_alu instid0(VALU_DEP_1) | instskip(NEXT) | instid1(VALU_DEP_1)
	v_add_f32_e32 v38, v44, v2
	v_dual_add_f32 v40, v45, v43 :: v_dual_sub_f32 v41, v44, v38
	s_delay_alu instid0(VALU_DEP_1) | instskip(SKIP_2) | instid1(VALU_DEP_4)
	v_mul_f32_e32 v42, v40, v38
	v_sub_f32_e32 v44, v40, v45
	v_subrev_co_ci_u32_e64 v1, s1, 0, v1, s1
	v_add_f32_e32 v2, v2, v41
	s_delay_alu instid0(VALU_DEP_4) | instskip(NEXT) | instid1(VALU_DEP_4)
	v_fma_f32 v41, v40, v38, -v42
	v_sub_f32_e32 v43, v43, v44
	s_delay_alu instid0(VALU_DEP_4) | instskip(NEXT) | instid1(VALU_DEP_3)
	v_cvt_f32_i32_e32 v1, v1
	v_fmac_f32_e32 v41, v40, v2
	v_ldexp_f32 v2, v37, 1
	s_delay_alu instid0(VALU_DEP_2) | instskip(NEXT) | instid1(VALU_DEP_1)
	v_fmac_f32_e32 v41, v43, v38
	v_add_f32_e32 v37, v42, v41
	s_delay_alu instid0(VALU_DEP_1) | instskip(SKIP_2) | instid1(VALU_DEP_3)
	v_add_f32_e32 v38, v2, v37
	v_sub_f32_e32 v40, v37, v42
	v_mul_f32_e32 v42, 0x3f317218, v1
	v_sub_f32_e32 v2, v38, v2
	s_delay_alu instid0(VALU_DEP_3) | instskip(NEXT) | instid1(VALU_DEP_3)
	v_sub_f32_e32 v40, v41, v40
	v_fma_f32 v41, 0x3f317218, v1, -v42
	s_delay_alu instid0(VALU_DEP_2) | instskip(NEXT) | instid1(VALU_DEP_2)
	v_dual_sub_f32 v2, v37, v2 :: v_dual_add_f32 v37, v39, v40
	v_fmac_f32_e32 v41, 0xb102e308, v1
	s_delay_alu instid0(VALU_DEP_2) | instskip(NEXT) | instid1(VALU_DEP_1)
	v_add_f32_e32 v1, v37, v2
	v_add_f32_e32 v37, v38, v1
	s_delay_alu instid0(VALU_DEP_1) | instskip(NEXT) | instid1(VALU_DEP_1)
	v_sub_f32_e32 v38, v37, v38
	v_dual_sub_f32 v1, v1, v38 :: v_dual_add_f32 v2, v42, v41
	s_delay_alu instid0(VALU_DEP_1) | instskip(NEXT) | instid1(VALU_DEP_1)
	v_sub_f32_e32 v42, v2, v42
	v_sub_f32_e32 v41, v41, v42
	v_add_f32_e32 v39, v2, v37
	s_delay_alu instid0(VALU_DEP_2) | instskip(NEXT) | instid1(VALU_DEP_2)
	v_add_f32_e32 v38, v41, v1
	v_sub_f32_e32 v40, v39, v2
	s_delay_alu instid0(VALU_DEP_1) | instskip(NEXT) | instid1(VALU_DEP_1)
	v_sub_f32_e32 v43, v39, v40
	v_dual_sub_f32 v37, v37, v40 :: v_dual_sub_f32 v2, v2, v43
	s_delay_alu instid0(VALU_DEP_1) | instskip(NEXT) | instid1(VALU_DEP_1)
	v_dual_add_f32 v2, v37, v2 :: v_dual_sub_f32 v37, v38, v41
	v_add_f32_e32 v2, v38, v2
	s_delay_alu instid0(VALU_DEP_2) | instskip(NEXT) | instid1(VALU_DEP_2)
	v_sub_f32_e32 v38, v38, v37
	v_dual_sub_f32 v1, v1, v37 :: v_dual_add_f32 v40, v39, v2
	s_delay_alu instid0(VALU_DEP_1) | instskip(NEXT) | instid1(VALU_DEP_1)
	v_dual_sub_f32 v37, v41, v38 :: v_dual_sub_f32 v38, v40, v39
	v_dual_add_f32 v1, v1, v37 :: v_dual_sub_f32 v2, v2, v38
	s_delay_alu instid0(VALU_DEP_1) | instskip(NEXT) | instid1(VALU_DEP_1)
	v_add_f32_e32 v1, v1, v2
	v_add_f32_e32 v2, v40, v1
	s_delay_alu instid0(VALU_DEP_1) | instskip(NEXT) | instid1(VALU_DEP_1)
	v_dual_sub_f32 v37, v2, v40 :: v_dual_mul_f32 v38, v35, v2
	v_sub_f32_e32 v1, v1, v37
	s_delay_alu instid0(VALU_DEP_2) | instskip(SKIP_1) | instid1(VALU_DEP_2)
	v_fma_f32 v2, v35, v2, -v38
	v_cmp_class_f32_e64 s1, v38, 0x204
	v_fmac_f32_e32 v2, v35, v1
	s_delay_alu instid0(VALU_DEP_1) | instskip(NEXT) | instid1(VALU_DEP_1)
	v_add_f32_e32 v1, v38, v2
	v_cndmask_b32_e64 v37, v1, v38, s1
	s_delay_alu instid0(VALU_DEP_1) | instskip(NEXT) | instid1(VALU_DEP_1)
	v_cmp_eq_f32_e64 s1, 0x42b17218, v37
	v_cndmask_b32_e64 v39, 0, 0x37000000, s1
	s_delay_alu instid0(VALU_DEP_1) | instskip(SKIP_1) | instid1(VALU_DEP_2)
	v_sub_f32_e32 v40, v37, v39
	v_sub_f32_e32 v1, v1, v38
	v_mul_f32_e32 v41, 0x3fb8aa3b, v40
	s_delay_alu instid0(VALU_DEP_2)
	v_sub_f32_e32 v1, v2, v1
	v_cndmask_b32_e64 v2, |v34|, 1.0, s0
	v_cmp_neq_f32_e64 s0, 0x7f800000, |v37|
	v_trunc_f32_e32 v37, v35
	v_fma_f32 v42, 0x3fb8aa3b, v40, -v41
	v_rndne_f32_e32 v43, v41
	v_cmp_neq_f32_e32 vcc_lo, v35, v2
	v_cndmask_b32_e64 v1, 0, v1, s0
	v_cmp_ngt_f32_e64 s0, 0xc2ce8ed0, v40
	s_delay_alu instid0(VALU_DEP_4) | instskip(SKIP_1) | instid1(VALU_DEP_4)
	v_dual_fmac_f32 v42, 0x32a5705f, v40 :: v_dual_sub_f32 v41, v41, v43
	v_cvt_i32_f32_e32 v38, v43
	v_add_f32_e32 v1, v39, v1
	s_xor_b32 s2, vcc_lo, s2
	v_cmp_eq_f32_e32 vcc_lo, 0, v33
	v_add_f32_e32 v41, v41, v42
	s_delay_alu instid0(VALU_DEP_1) | instskip(SKIP_3) | instid1(VALU_DEP_2)
	v_exp_f32_e32 v41, v41
	s_waitcnt_depctr 0xfff
	v_ldexp_f32 v34, v41, v38
	v_mul_f32_e32 v38, 0.5, v35
	v_cndmask_b32_e64 v34, 0, v34, s0
	v_cmp_nlt_f32_e64 s0, 0x42b17218, v40
	s_delay_alu instid0(VALU_DEP_3) | instskip(NEXT) | instid1(VALU_DEP_2)
	v_trunc_f32_e32 v41, v38
	v_cndmask_b32_e64 v34, 0x7f800000, v34, s0
	v_cmp_eq_f32_e64 s0, v37, v35
	s_delay_alu instid0(VALU_DEP_3) | instskip(NEXT) | instid1(VALU_DEP_3)
	v_cmp_neq_f32_e64 s1, v41, v38
	v_fma_f32 v1, v34, v1, v34
	v_cmp_class_f32_e64 s3, v34, 0x204
	s_delay_alu instid0(VALU_DEP_3) | instskip(NEXT) | instid1(SALU_CYCLE_1)
	s_and_b32 s1, s0, s1
	v_cndmask_b32_e64 v37, 1.0, v33, s1
	v_cndmask_b32_e64 v39, 0, v33, s1
	s_delay_alu instid0(VALU_DEP_3)
	v_cndmask_b32_e64 v1, v1, v34, s3
	v_cmp_gt_f32_e64 s3, 0, v35
	v_cndmask_b32_e64 v34, v2, 0, s2
	v_cmp_eq_f32_e64 s2, 1.0, v36
	v_cmp_eq_f32_e64 s1, 0x7f800000, v2
	v_bfi_b32 v1, 0x7fffffff, v1, v37
	s_delay_alu instid0(VALU_DEP_3) | instskip(NEXT) | instid1(VALU_DEP_2)
	v_cndmask_b32_e64 v34, v34, v36, s2
	v_cndmask_b32_e64 v37, 0x7fc00000, v1, s0
	s_xor_b32 s0, s3, vcc_lo
	s_delay_alu instid0(SALU_CYCLE_1) | instskip(SKIP_1) | instid1(VALU_DEP_1)
	v_cndmask_b32_e64 v38, 0x7f800000, 0, s0
	v_cmp_gt_f32_e64 s0, 0, v33
	v_cndmask_b32_e64 v1, v1, v37, s0
	v_cmp_eq_f32_e64 s0, 0x7f800000, v36
	s_delay_alu instid0(VALU_DEP_4) | instskip(NEXT) | instid1(VALU_DEP_3)
	v_bfi_b32 v36, 0x7fffffff, v38, v39
	v_cndmask_b32_e64 v1, v1, v34, s1
	s_delay_alu instid0(VALU_DEP_3) | instskip(NEXT) | instid1(VALU_DEP_1)
	s_or_b32 vcc_lo, s0, vcc_lo
	v_cndmask_b32_e32 v1, v1, v36, vcc_lo
	v_cmp_o_f32_e32 vcc_lo, v33, v35
	s_delay_alu instid0(VALU_DEP_2) | instskip(NEXT) | instid1(VALU_DEP_1)
	v_cndmask_b32_e32 v1, 0x7fc00000, v1, vcc_lo
	v_bfe_u32 v2, v1, 16, 1
	v_cmp_o_f32_e32 vcc_lo, v1, v1
	s_delay_alu instid0(VALU_DEP_2) | instskip(NEXT) | instid1(VALU_DEP_1)
	v_add3_u32 v2, v1, v2, 0x7fff
	v_lshrrev_b32_e32 v2, 16, v2
	s_delay_alu instid0(VALU_DEP_1)
	v_cndmask_b32_e32 v33, 0x7fc0, v2, vcc_lo
	v_add_co_u32 v1, vcc_lo, v13, s30
	v_add_co_ci_u32_e32 v2, vcc_lo, s31, v14, vcc_lo
	global_store_b16 v[1:2], v33, off
	s_branch .LBB154_8
.LBB154_25:
	s_nop 0
	s_sendmsg sendmsg(MSG_DEALLOC_VGPRS)
	s_endpgm
	.section	.rodata,"a",@progbits
	.p2align	6, 0x0
	.amdhsa_kernel _ZN2at6native12_GLOBAL__N_125multi_tensor_apply_kernelINS1_18TensorListMetadataILi3EEENS1_24BinaryOpListAlphaFunctorIN3c108BFloat16ELi3ELi2ELi2EEEJNS1_13power_functorIfEEfEEEvT_T0_DpT1_
		.amdhsa_group_segment_fixed_size 0
		.amdhsa_private_segment_fixed_size 0
		.amdhsa_kernarg_size 3408
		.amdhsa_user_sgpr_count 15
		.amdhsa_user_sgpr_dispatch_ptr 0
		.amdhsa_user_sgpr_queue_ptr 0
		.amdhsa_user_sgpr_kernarg_segment_ptr 1
		.amdhsa_user_sgpr_dispatch_id 0
		.amdhsa_user_sgpr_private_segment_size 0
		.amdhsa_wavefront_size32 1
		.amdhsa_uses_dynamic_stack 0
		.amdhsa_enable_private_segment 0
		.amdhsa_system_sgpr_workgroup_id_x 1
		.amdhsa_system_sgpr_workgroup_id_y 0
		.amdhsa_system_sgpr_workgroup_id_z 0
		.amdhsa_system_sgpr_workgroup_info 0
		.amdhsa_system_vgpr_workitem_id 0
		.amdhsa_next_free_vgpr 75
		.amdhsa_next_free_sgpr 47
		.amdhsa_reserve_vcc 1
		.amdhsa_float_round_mode_32 0
		.amdhsa_float_round_mode_16_64 0
		.amdhsa_float_denorm_mode_32 3
		.amdhsa_float_denorm_mode_16_64 3
		.amdhsa_dx10_clamp 1
		.amdhsa_ieee_mode 1
		.amdhsa_fp16_overflow 0
		.amdhsa_workgroup_processor_mode 1
		.amdhsa_memory_ordered 1
		.amdhsa_forward_progress 0
		.amdhsa_shared_vgpr_count 0
		.amdhsa_exception_fp_ieee_invalid_op 0
		.amdhsa_exception_fp_denorm_src 0
		.amdhsa_exception_fp_ieee_div_zero 0
		.amdhsa_exception_fp_ieee_overflow 0
		.amdhsa_exception_fp_ieee_underflow 0
		.amdhsa_exception_fp_ieee_inexact 0
		.amdhsa_exception_int_div_zero 0
	.end_amdhsa_kernel
	.section	.text._ZN2at6native12_GLOBAL__N_125multi_tensor_apply_kernelINS1_18TensorListMetadataILi3EEENS1_24BinaryOpListAlphaFunctorIN3c108BFloat16ELi3ELi2ELi2EEEJNS1_13power_functorIfEEfEEEvT_T0_DpT1_,"axG",@progbits,_ZN2at6native12_GLOBAL__N_125multi_tensor_apply_kernelINS1_18TensorListMetadataILi3EEENS1_24BinaryOpListAlphaFunctorIN3c108BFloat16ELi3ELi2ELi2EEEJNS1_13power_functorIfEEfEEEvT_T0_DpT1_,comdat
.Lfunc_end154:
	.size	_ZN2at6native12_GLOBAL__N_125multi_tensor_apply_kernelINS1_18TensorListMetadataILi3EEENS1_24BinaryOpListAlphaFunctorIN3c108BFloat16ELi3ELi2ELi2EEEJNS1_13power_functorIfEEfEEEvT_T0_DpT1_, .Lfunc_end154-_ZN2at6native12_GLOBAL__N_125multi_tensor_apply_kernelINS1_18TensorListMetadataILi3EEENS1_24BinaryOpListAlphaFunctorIN3c108BFloat16ELi3ELi2ELi2EEEJNS1_13power_functorIfEEfEEEvT_T0_DpT1_
                                        ; -- End function
	.section	.AMDGPU.csdata,"",@progbits
; Kernel info:
; codeLenInByte = 11648
; NumSgprs: 49
; NumVgprs: 75
; ScratchSize: 0
; MemoryBound: 0
; FloatMode: 240
; IeeeMode: 1
; LDSByteSize: 0 bytes/workgroup (compile time only)
; SGPRBlocks: 6
; VGPRBlocks: 9
; NumSGPRsForWavesPerEU: 49
; NumVGPRsForWavesPerEU: 75
; Occupancy: 16
; WaveLimiterHint : 0
; COMPUTE_PGM_RSRC2:SCRATCH_EN: 0
; COMPUTE_PGM_RSRC2:USER_SGPR: 15
; COMPUTE_PGM_RSRC2:TRAP_HANDLER: 0
; COMPUTE_PGM_RSRC2:TGID_X_EN: 1
; COMPUTE_PGM_RSRC2:TGID_Y_EN: 0
; COMPUTE_PGM_RSRC2:TGID_Z_EN: 0
; COMPUTE_PGM_RSRC2:TIDIG_COMP_CNT: 0
	.section	.text._ZN2at6native12_GLOBAL__N_125multi_tensor_apply_kernelINS1_18TensorListMetadataILi3EEENS1_24BinaryOpListAlphaFunctorIN3c104HalfELi3ELi2ELi2EEEJNS1_13power_functorIfEEfEEEvT_T0_DpT1_,"axG",@progbits,_ZN2at6native12_GLOBAL__N_125multi_tensor_apply_kernelINS1_18TensorListMetadataILi3EEENS1_24BinaryOpListAlphaFunctorIN3c104HalfELi3ELi2ELi2EEEJNS1_13power_functorIfEEfEEEvT_T0_DpT1_,comdat
	.globl	_ZN2at6native12_GLOBAL__N_125multi_tensor_apply_kernelINS1_18TensorListMetadataILi3EEENS1_24BinaryOpListAlphaFunctorIN3c104HalfELi3ELi2ELi2EEEJNS1_13power_functorIfEEfEEEvT_T0_DpT1_ ; -- Begin function _ZN2at6native12_GLOBAL__N_125multi_tensor_apply_kernelINS1_18TensorListMetadataILi3EEENS1_24BinaryOpListAlphaFunctorIN3c104HalfELi3ELi2ELi2EEEJNS1_13power_functorIfEEfEEEvT_T0_DpT1_
	.p2align	8
	.type	_ZN2at6native12_GLOBAL__N_125multi_tensor_apply_kernelINS1_18TensorListMetadataILi3EEENS1_24BinaryOpListAlphaFunctorIN3c104HalfELi3ELi2ELi2EEEJNS1_13power_functorIfEEfEEEvT_T0_DpT1_,@function
_ZN2at6native12_GLOBAL__N_125multi_tensor_apply_kernelINS1_18TensorListMetadataILi3EEENS1_24BinaryOpListAlphaFunctorIN3c104HalfELi3ELi2ELi2EEEJNS1_13power_functorIfEEfEEEvT_T0_DpT1_: ; @_ZN2at6native12_GLOBAL__N_125multi_tensor_apply_kernelINS1_18TensorListMetadataILi3EEENS1_24BinaryOpListAlphaFunctorIN3c104HalfELi3ELi2ELi2EEEJNS1_13power_functorIfEEfEEEvT_T0_DpT1_
; %bb.0:
	v_mov_b32_e32 v1, s15
	s_add_u32 s2, s0, s15
	s_mul_hi_u32 s3, s15, 3
	s_mul_i32 s15, s15, 3
	s_addc_u32 s4, s1, 0
	global_load_u8 v1, v1, s[0:1] offset:1536
	s_load_b32 s33, s[0:1], 0xc4c
	s_add_u32 s2, s2, s15
	s_addc_u32 s3, s4, s3
	s_load_b32 s2, s[2:3], 0x740
	s_waitcnt vmcnt(0)
	v_readfirstlane_b32 s3, v1
	s_delay_alu instid0(VALU_DEP_1)
	s_lshl_b32 s3, s3, 3
	s_clause 0x3
	s_load_b64 s[30:31], s[0:1], s3 offset:0x0
	s_load_b64 s[34:35], s[0:1], s3 offset:0x180
	s_load_b64 s[36:37], s[0:1], s3 offset:0x300
	s_load_b64 s[4:5], s[0:1], s3 offset:0x480
	s_waitcnt lgkmcnt(0)
	s_ashr_i32 s3, s2, 31
	s_delay_alu instid0(SALU_CYCLE_1) | instskip(NEXT) | instid1(SALU_CYCLE_1)
	s_lshl_b64 s[26:27], s[2:3], 17
	s_add_u32 s38, s30, s26
	s_addc_u32 s39, s31, s27
	s_and_b32 s6, s38, 7
	s_add_u32 s40, s34, s26
	s_addc_u32 s41, s35, s27
	s_add_u32 s42, s36, s26
	s_addc_u32 s43, s37, s27
	s_or_b32 s7, s42, s40
	s_delay_alu instid0(SALU_CYCLE_1) | instskip(NEXT) | instid1(SALU_CYCLE_1)
	s_and_b32 s7, s7, 7
	s_cmp_lg_u32 s7, 0
	s_mov_b32 s7, 0
	s_cselect_b32 s10, -1, 0
	s_lshl_b64 s[2:3], s[2:3], 16
	s_mov_b32 s9, s7
	s_sub_u32 s28, s4, s2
	s_subb_u32 s29, s5, s3
	s_and_b32 s8, s4, 3
	s_delay_alu instid0(SALU_CYCLE_1) | instskip(NEXT) | instid1(SALU_CYCLE_1)
	s_or_b64 s[2:3], s[6:7], s[8:9]
	s_cmp_lg_u64 s[2:3], 0
	s_cselect_b32 s2, -1, 0
	s_delay_alu instid0(SALU_CYCLE_1) | instskip(NEXT) | instid1(SALU_CYCLE_1)
	s_or_b32 s2, s10, s2
	s_and_not1_b32 vcc_lo, exec_lo, s2
	s_mov_b32 s2, -1
	s_cbranch_vccz .LBB155_5
; %bb.1:
	v_dual_mov_b32 v2, 0 :: v_dual_lshlrev_b32 v1, 2, v0
	s_mov_b32 s44, exec_lo
	s_delay_alu instid0(VALU_DEP_1)
	v_cmpx_gt_i64_e64 s[28:29], v[1:2]
	s_cbranch_execz .LBB155_4
; %bb.2:
	s_load_b32 s2, s[0:1], 0xc5c
	v_lshlrev_b32_e32 v9, 3, v0
	s_mov_b32 s45, 0
	s_mov_b32 s48, 0x3e76c4e1
	s_waitcnt lgkmcnt(0)
	s_and_b32 s2, s2, 0xffff
	s_delay_alu instid0(SALU_CYCLE_1)
	v_add_lshl_u32 v1, v0, s2, 2
	s_lshl_b32 s46, s2, 2
	s_lshl_b32 s47, s2, 3
.LBB155_3:                              ; =>This Inner Loop Header: Depth=1
	v_add_co_u32 v3, s2, s40, v9
	s_delay_alu instid0(VALU_DEP_1) | instskip(SKIP_1) | instid1(VALU_DEP_1)
	v_add_co_ci_u32_e64 v4, null, s41, 0, s2
	v_add_co_u32 v7, s2, s38, v9
	v_add_co_ci_u32_e64 v8, null, s39, 0, s2
	global_load_b64 v[5:6], v[3:4], off
	global_load_b64 v[3:4], v[7:8], off
	v_cmp_le_i64_e32 vcc_lo, s[28:29], v[1:2]
	v_cmp_lt_u64_e64 s2, 0xffff, v[1:2]
	v_add_co_u32 v7, s3, s42, v9
	s_delay_alu instid0(VALU_DEP_1) | instskip(SKIP_1) | instid1(VALU_DEP_4)
	v_add_co_ci_u32_e64 v8, null, s43, 0, s3
	v_add_co_u32 v1, s3, v1, s46
	s_or_b32 s49, vcc_lo, s2
	v_add_co_ci_u32_e64 v2, s3, 0, v2, s3
	s_waitcnt vmcnt(1)
	v_lshrrev_b32_e32 v10, 16, v5
	v_cvt_f32_f16_e32 v5, v5
	v_lshrrev_b32_e32 v13, 16, v6
	v_cvt_f32_f16_e32 v6, v6
	s_waitcnt vmcnt(0)
	v_cmp_eq_f16_e32 vcc_lo, 1.0, v3
	v_cmp_eq_f16_e64 s2, 1.0, v4
	v_mul_f32_e32 v5, s33, v5
	v_lshrrev_b32_e32 v11, 16, v3
	v_mul_f32_e32 v6, s33, v6
	v_lshrrev_b32_e32 v12, 16, v4
	v_cvt_f32_f16_e32 v15, v3
	v_cvt_f32_f16_e32 v16, v4
	;; [unrolled: 1-line block ×4, first 2 shown]
	v_cndmask_b32_e64 v3, v5, 1.0, vcc_lo
	v_cndmask_b32_e64 v10, |v5|, 1.0, vcc_lo
	v_cndmask_b32_e64 v5, v6, 1.0, s2
	v_cvt_f32_f16_e32 v17, v11
	v_dual_mul_f32 v13, s33, v14 :: v_dual_mul_f32 v14, s33, v4
	v_cmp_eq_f16_e32 vcc_lo, 1.0, v11
	v_cndmask_b32_e64 v11, |v6|, 1.0, s2
	v_cmp_eq_f16_e64 s2, 1.0, v12
	v_cmp_eq_f32_e64 s3, 0, v3
	v_cmp_eq_f32_e64 s5, 0, v5
	v_cndmask_b32_e64 v4, v13, 1.0, vcc_lo
	v_trunc_f32_e32 v20, v3
	v_cndmask_b32_e64 v6, v14, 1.0, s2
	v_cndmask_b32_e64 v19, |v15|, 1.0, s3
	v_dual_mul_f32 v21, 0.5, v3 :: v_dual_mul_f32 v24, 0.5, v5
	v_cndmask_b32_e64 v22, |v16|, 1.0, s5
	v_cvt_f32_f16_e32 v18, v12
	v_trunc_f32_e32 v23, v5
	v_frexp_mant_f32_e32 v25, v19
	v_cmp_eq_f32_e64 s8, 0, v4
	v_cmp_eq_f32_e64 s15, 0, v6
	v_cmp_neq_f32_e64 s4, v3, v10
	v_cmp_gt_f32_e64 s6, 1.0, v19
	v_cndmask_b32_e64 v12, v15, 1.0, s3
	v_cmp_eq_f32_e64 s3, v20, v3
	v_trunc_f32_e32 v20, v21
	v_frexp_mant_f32_e32 v29, v22
	v_cndmask_b32_e64 v13, |v13|, 1.0, vcc_lo
	v_cndmask_b32_e64 v26, |v17|, 1.0, s8
	v_cndmask_b32_e64 v15, v16, 1.0, s5
	v_cmp_eq_f32_e64 s5, v23, v5
	v_trunc_f32_e32 v23, v24
	v_cndmask_b32_e64 v38, |v18|, 1.0, s15
	v_cmp_gt_f32_e64 s18, 0x3f2aaaab, v25
	s_xor_b32 s4, s4, s6
	v_cvt_f64_f32_e32 v[30:31], v19
	v_cvt_f64_f32_e32 v[32:33], v22
	v_cmp_gt_f32_e64 s11, 0, v3
	v_cmp_neq_f32_e64 s7, v5, v11
	v_cmp_gt_f32_e64 s10, 1.0, v22
	v_cmp_neq_f32_e64 s19, v20, v21
	v_cndmask_b32_e64 v21, v10, 0, s4
	v_cmp_eq_f32_e64 s4, 0, v12
	v_cmp_gt_f32_e64 s22, 0x3f2aaaab, v29
	v_cmp_neq_f32_e64 s13, v4, v13
	v_cndmask_b32_e64 v41, 1.0, 2.0, s18
	v_cmp_eq_f32_e64 s20, 1.0, v19
	v_frexp_mant_f32_e32 v42, v26
	v_cmp_gt_f32_e64 s21, 1.0, v26
	v_cmp_neq_f32_e64 s23, v23, v24
	v_frexp_mant_f32_e32 v44, v38
	v_cndmask_b32_e64 v14, |v14|, 1.0, s2
	v_trunc_f32_e32 v27, v4
	v_dual_mul_f32 v28, 0.5, v4 :: v_dual_mul_f32 v41, v25, v41
	v_trunc_f32_e32 v39, v6
	v_cndmask_b32_e64 v43, 1.0, 2.0, s22
	v_mul_f32_e32 v40, 0.5, v6
	s_xor_b32 s7, s7, s10
	s_xor_b32 s11, s11, s4
	v_cmp_gt_f32_e64 s12, 0, v5
	v_mul_f32_e32 v43, v29, v43
	v_cndmask_b32_e64 v16, v17, 1.0, s8
	v_cmp_eq_f32_e64 s8, 0, v15
	v_cndmask_b32_e64 v24, v11, 0, s7
	v_cmp_eq_f32_e64 s24, 1.0, v22
	v_cndmask_b32_e64 v17, v18, 1.0, s15
	v_cndmask_b32_e64 v18, v21, v19, s20
	v_cndmask_b32_e64 v25, 0x7f800000, 0, s11
	v_cmp_gt_f32_e64 s20, 0x3f2aaaab, v42
	s_xor_b32 s11, s13, s21
	s_and_b32 s21, s5, s23
	v_cmp_gt_f32_e64 s23, 0x3f2aaaab, v44
	v_cmp_neq_f32_e64 s16, v6, v14
	v_cmp_eq_f32_e64 s9, v27, v4
	v_trunc_f32_e32 v27, v28
	v_cmp_gt_f32_e64 s15, 1.0, v38
	v_cmp_eq_f32_e64 s10, v39, v6
	v_trunc_f32_e32 v39, v40
	s_xor_b32 s12, s12, s8
	v_cmp_eq_f32_e32 vcc_lo, 0x7f800000, v19
	v_cmp_eq_f32_e64 s2, 0x7f800000, v22
	v_cndmask_b32_e64 v21, 1.0, 2.0, s20
	v_cndmask_b32_e64 v19, v24, v22, s24
	v_cndmask_b32_e64 v22, 1.0, 2.0, s23
	v_dual_add_f32 v47, 1.0, v41 :: v_dual_add_f32 v48, -1.0, v43
	v_cmp_gt_f32_e64 s14, 0, v4
	v_cmp_neq_f32_e64 s25, v27, v28
	v_cndmask_b32_e64 v27, v13, 0, s11
	v_cmp_eq_f32_e64 s13, 1.0, v26
	v_cmp_eq_f32_e64 s11, 0, v16
	v_cndmask_b32_e64 v24, 0x7f800000, 0, s12
	s_xor_b32 s12, s16, s15
	v_cmp_gt_f32_e64 s17, 0, v6
	s_and_b32 s19, s3, s19
	v_cmp_neq_f32_e64 s24, v39, v40
	v_cndmask_b32_e64 v39, v14, 0, s12
	v_cmp_eq_f32_e64 s12, 0, v17
	v_cmp_eq_f32_e64 s15, 1.0, v38
	v_cndmask_b32_e64 v40, 0, v12, s19
	v_cndmask_b32_e64 v45, 0, v15, s21
	v_dual_add_f32 v46, -1.0, v41 :: v_dual_add_f32 v49, 1.0, v43
	v_mul_f32_e32 v42, v42, v21
	v_mul_f32_e32 v44, v44, v22
	v_rcp_f32_e32 v50, v47
	v_cndmask_b32_e64 v21, v27, v26, s13
	v_add_f32_e32 v53, -1.0, v49
	s_xor_b32 s13, s14, s11
	v_cvt_f64_f32_e32 v[34:35], v26
	v_cvt_f64_f32_e32 v[36:37], v38
	s_and_b32 s16, s9, s25
	v_cndmask_b32_e64 v27, 0x7f800000, 0, s13
	s_and_b32 s13, s10, s24
	s_xor_b32 s14, s17, s12
	v_cmp_eq_f32_e64 s6, 0x7f800000, v26
	v_cmp_eq_f32_e64 s7, 0x7f800000, v38
	v_cndmask_b32_e64 v22, v39, v38, s15
	v_cndmask_b32_e64 v38, 0x7f800000, 0, s14
	v_bfi_b32 v26, 0x7fffffff, v25, v40
	v_cndmask_b32_e64 v39, 0, v16, s16
	v_bfi_b32 v25, 0x7fffffff, v24, v45
	v_cndmask_b32_e64 v40, 0, v17, s13
	v_add_f32_e32 v45, -1.0, v47
	v_dual_add_f32 v51, -1.0, v42 :: v_dual_add_f32 v56, 1.0, v44
	v_dual_add_f32 v52, 1.0, v42 :: v_dual_add_f32 v55, -1.0, v44
	v_bfi_b32 v24, 0x7fffffff, v27, v39
	v_bfi_b32 v27, 0x7fffffff, v38, v40
	s_delay_alu instid0(VALU_DEP_3)
	v_dual_sub_f32 v38, v41, v45 :: v_dual_add_f32 v39, -1.0, v52
	v_sub_f32_e32 v41, v43, v53
	v_mul_f32_e32 v53, v46, v50
	v_add_f32_e32 v45, -1.0, v56
	v_rcp_f32_e32 v40, v52
	v_sub_f32_e32 v39, v42, v39
	v_rcp_f32_e32 v43, v56
	v_frexp_exp_i32_f64_e32 v30, v[30:31]
	v_sub_f32_e32 v42, v44, v45
	v_mul_f32_e32 v44, v47, v53
	v_frexp_exp_i32_f64_e32 v31, v[32:33]
	v_rcp_f32_e32 v54, v49
	v_cndmask_b32_e64 v29, 1.0, v17, s13
	v_cndmask_b32_e64 v28, 1.0, v16, s16
	v_fma_f32 v32, v53, v47, -v44
	v_cndmask_b32_e64 v20, 1.0, v12, s19
	v_frexp_exp_i32_f64_e32 v34, v[34:35]
	v_frexp_exp_i32_f64_e32 v35, v[36:37]
	v_cndmask_b32_e64 v23, 1.0, v15, s21
	v_dual_fmac_f32 v32, v53, v38 :: v_dual_mul_f32 v59, v55, v43
	s_or_b32 s2, s2, s8
	s_or_b32 vcc_lo, vcc_lo, s4
	v_cmp_o_f32_e64 s4, v12, v3
	s_delay_alu instid0(VALU_DEP_2) | instskip(SKIP_1) | instid1(VALU_DEP_1)
	v_add_f32_e32 v38, v44, v32
	v_mul_f32_e32 v45, v51, v40
	v_mul_f32_e32 v33, v52, v45
	s_delay_alu instid0(VALU_DEP_1) | instskip(NEXT) | instid1(VALU_DEP_1)
	v_fma_f32 v36, v45, v52, -v33
	v_dual_mul_f32 v57, v48, v54 :: v_dual_fmac_f32 v36, v45, v39
	s_delay_alu instid0(VALU_DEP_1) | instskip(SKIP_1) | instid1(VALU_DEP_2)
	v_mul_f32_e32 v58, v49, v57
	v_subrev_co_ci_u32_e64 v30, s13, 0, v30, s18
	v_fma_f32 v47, v57, v49, -v58
	v_subrev_co_ci_u32_e64 v31, s13, 0, v31, s22
	s_delay_alu instid0(VALU_DEP_3) | instskip(NEXT) | instid1(VALU_DEP_3)
	v_cvt_f32_i32_e32 v30, v30
	v_fmac_f32_e32 v47, v57, v41
	v_sub_f32_e32 v41, v38, v44
	v_subrev_co_ci_u32_e64 v34, s13, 0, v34, s20
	v_cvt_f32_i32_e32 v31, v31
	s_delay_alu instid0(VALU_DEP_3) | instskip(SKIP_1) | instid1(VALU_DEP_4)
	v_dual_add_f32 v39, v58, v47 :: v_dual_sub_f32 v32, v41, v32
	v_subrev_co_ci_u32_e64 v35, s13, 0, v35, s23
	v_cvt_f32_i32_e32 v34, v34
	s_delay_alu instid0(VALU_DEP_3) | instskip(SKIP_1) | instid1(VALU_DEP_4)
	v_dual_sub_f32 v52, v39, v58 :: v_dual_mul_f32 v49, v56, v59
	v_add_f32_e32 v44, v33, v36
	v_cvt_f32_i32_e32 v35, v35
	s_delay_alu instid0(VALU_DEP_3) | instskip(NEXT) | instid1(VALU_DEP_3)
	v_fma_f32 v37, v59, v56, -v49
	v_sub_f32_e32 v33, v44, v33
	s_delay_alu instid0(VALU_DEP_2) | instskip(SKIP_1) | instid1(VALU_DEP_2)
	v_fmac_f32_e32 v37, v59, v42
	v_sub_f32_e32 v42, v46, v38
	v_add_f32_e32 v58, v49, v37
	v_sub_f32_e32 v56, v48, v39
	s_delay_alu instid0(VALU_DEP_3) | instskip(SKIP_1) | instid1(VALU_DEP_3)
	v_dual_sub_f32 v46, v46, v42 :: v_dual_sub_f32 v41, v51, v44
	v_sub_f32_e32 v47, v52, v47
	v_dual_sub_f32 v49, v58, v49 :: v_dual_sub_f32 v48, v48, v56
	v_sub_f32_e32 v52, v55, v58
	s_delay_alu instid0(VALU_DEP_4) | instskip(SKIP_1) | instid1(VALU_DEP_3)
	v_sub_f32_e32 v38, v46, v38
	v_dual_sub_f32 v46, v51, v41 :: v_dual_sub_f32 v33, v33, v36
	v_dual_sub_f32 v36, v48, v39 :: v_dual_sub_f32 v39, v55, v52
	s_delay_alu instid0(VALU_DEP_3) | instskip(NEXT) | instid1(VALU_DEP_3)
	v_dual_add_f32 v32, v32, v38 :: v_dual_sub_f32 v37, v49, v37
	v_sub_f32_e32 v38, v46, v44
	s_delay_alu instid0(VALU_DEP_3) | instskip(NEXT) | instid1(VALU_DEP_3)
	v_add_f32_e32 v36, v47, v36
	v_dual_sub_f32 v39, v39, v58 :: v_dual_add_f32 v32, v42, v32
	s_delay_alu instid0(VALU_DEP_2) | instskip(NEXT) | instid1(VALU_DEP_2)
	v_dual_add_f32 v33, v33, v38 :: v_dual_add_f32 v36, v56, v36
	v_dual_add_f32 v37, v37, v39 :: v_dual_mul_f32 v32, v50, v32
	s_delay_alu instid0(VALU_DEP_2) | instskip(NEXT) | instid1(VALU_DEP_2)
	v_dual_add_f32 v33, v41, v33 :: v_dual_mul_f32 v36, v54, v36
	v_dual_add_f32 v37, v52, v37 :: v_dual_add_f32 v38, v53, v32
	s_delay_alu instid0(VALU_DEP_2) | instskip(NEXT) | instid1(VALU_DEP_3)
	v_dual_mul_f32 v52, 0x3f317218, v34 :: v_dual_mul_f32 v33, v40, v33
	v_dual_add_f32 v39, v57, v36 :: v_dual_mul_f32 v40, 0x3f317218, v30
	s_delay_alu instid0(VALU_DEP_3) | instskip(NEXT) | instid1(VALU_DEP_4)
	v_mul_f32_e32 v37, v43, v37
	v_dual_mul_f32 v41, 0x3f317218, v31 :: v_dual_sub_f32 v42, v38, v53
	s_delay_alu instid0(VALU_DEP_4) | instskip(NEXT) | instid1(VALU_DEP_4)
	v_dual_mul_f32 v43, v38, v38 :: v_dual_add_f32 v46, v45, v33
	v_dual_sub_f32 v47, v39, v57 :: v_dual_mul_f32 v54, 0x3f317218, v35
	v_mul_f32_e32 v48, v39, v39
	s_delay_alu instid0(VALU_DEP_3) | instskip(SKIP_2) | instid1(VALU_DEP_3)
	v_dual_add_f32 v50, v59, v37 :: v_dual_mul_f32 v55, v46, v46
	v_fma_f32 v51, 0x3f317218, v30, -v40
	v_fma_f32 v53, 0x3f317218, v31, -v41
	v_dual_sub_f32 v32, v32, v42 :: v_dual_sub_f32 v57, v50, v59
	v_dual_sub_f32 v45, v46, v45 :: v_dual_sub_f32 v36, v36, v47
	s_delay_alu instid0(VALU_DEP_4)
	v_fmac_f32_e32 v51, 0xb102e308, v30
	v_fma_f32 v42, v38, v38, -v43
	v_fma_f32 v47, v39, v39, -v48
	v_dual_mul_f32 v58, v50, v50 :: v_dual_fmac_f32 v53, 0xb102e308, v31
	v_fma_f32 v30, 0x3f317218, v34, -v52
	v_fma_f32 v31, 0x3f317218, v35, -v54
	v_dual_add_f32 v60, v32, v32 :: v_dual_sub_f32 v33, v33, v45
	v_dual_add_f32 v62, v36, v36 :: v_dual_sub_f32 v37, v37, v57
	v_fma_f32 v45, v46, v46, -v55
	v_add_f32_e32 v64, v40, v51
	v_dual_fmac_f32 v30, 0xb102e308, v34 :: v_dual_fmac_f32 v31, 0xb102e308, v35
	s_delay_alu instid0(VALU_DEP_4) | instskip(SKIP_2) | instid1(VALU_DEP_4)
	v_dual_add_f32 v34, v41, v53 :: v_dual_fmac_f32 v47, v39, v62
	v_dual_fmac_f32 v42, v38, v60 :: v_dual_add_f32 v35, v33, v33
	v_fma_f32 v57, v50, v50, -v58
	v_dual_add_f32 v62, v37, v37 :: v_dual_add_f32 v67, v54, v31
	s_delay_alu instid0(VALU_DEP_4) | instskip(NEXT) | instid1(VALU_DEP_4)
	v_dual_sub_f32 v40, v64, v40 :: v_dual_sub_f32 v41, v34, v41
	v_dual_add_f32 v66, v52, v30 :: v_dual_fmac_f32 v45, v46, v35
	v_dual_add_f32 v35, v48, v47 :: v_dual_add_f32 v68, v43, v42
	s_delay_alu instid0(VALU_DEP_3) | instskip(NEXT) | instid1(VALU_DEP_3)
	v_dual_fmac_f32 v57, v50, v62 :: v_dual_sub_f32 v40, v51, v40
	v_sub_f32_e32 v51, v66, v52
	v_dual_sub_f32 v41, v53, v41 :: v_dual_sub_f32 v52, v67, v54
	s_delay_alu instid0(VALU_DEP_4) | instskip(SKIP_4) | instid1(VALU_DEP_4)
	v_dual_fmaak_f32 v53, s48, v68, 0x3e91f4c4 :: v_dual_add_f32 v62, v55, v45
	v_dual_sub_f32 v43, v68, v43 :: v_dual_mul_f32 v54, v38, v68
	v_dual_fmaak_f32 v69, s48, v35, 0x3e91f4c4 :: v_dual_sub_f32 v48, v35, v48
	v_dual_mul_f32 v70, v39, v35 :: v_dual_add_f32 v71, v58, v57
	v_dual_sub_f32 v30, v30, v51 :: v_dual_sub_f32 v31, v31, v52
	v_dual_fmaak_f32 v51, v68, v53, 0x3ecccdef :: v_dual_sub_f32 v42, v42, v43
	v_fma_f32 v43, v68, v38, -v54
	v_ldexp_f32 v61, v32, 1
	v_dual_fmaak_f32 v52, s48, v62, 0x3e91f4c4 :: v_dual_sub_f32 v53, v62, v55
	v_dual_mul_f32 v55, v46, v62 :: v_dual_fmaak_f32 v72, s48, v71, 0x3e91f4c4
	v_fmaak_f32 v69, v35, v69, 0x3ecccdef
	v_fmac_f32_e32 v43, v68, v32
	v_mul_f32_e32 v32, v68, v51
	v_ldexp_f32 v44, v38, 1
	v_fmaak_f32 v72, v71, v72, 0x3ecccdef
	v_ldexp_f32 v63, v36, 1
	v_fmac_f32_e32 v43, v42, v38
	v_fma_f32 v38, v68, v51, -v32
	v_sub_f32_e32 v47, v47, v48
	v_fma_f32 v48, v35, v39, -v70
	v_dual_sub_f32 v58, v71, v58 :: v_dual_mul_f32 v73, v50, v71
	v_dual_fmaak_f32 v52, v62, v52, 0x3ecccdef :: v_dual_sub_f32 v45, v45, v53
	v_fma_f32 v53, v62, v46, -v55
	s_delay_alu instid0(VALU_DEP_3)
	v_dual_fmac_f32 v48, v35, v36 :: v_dual_sub_f32 v57, v57, v58
	v_mul_f32_e32 v36, v35, v69
	v_ldexp_f32 v60, v33, 1
	v_fma_f32 v58, v71, v50, -v73
	v_fmac_f32_e32 v38, v42, v51
	v_dual_fmac_f32 v53, v62, v33 :: v_dual_fmac_f32 v48, v47, v39
	s_delay_alu instid0(VALU_DEP_3)
	v_dual_mul_f32 v33, v62, v52 :: v_dual_fmac_f32 v58, v71, v37
	v_fma_f32 v35, v35, v69, -v36
	v_ldexp_f32 v49, v39, 1
	v_ldexp_f32 v56, v46, 1
	;; [unrolled: 1-line block ×3, first 2 shown]
	v_dual_mul_f32 v37, v71, v72 :: v_dual_fmac_f32 v58, v57, v50
	v_dual_fmac_f32 v53, v45, v46 :: v_dual_add_f32 v46, v70, v48
	v_add_f32_e32 v39, v54, v43
	v_fma_f32 v42, v62, v52, -v33
	v_fmac_f32_e32 v35, v47, v69
	v_ldexp_f32 v59, v50, 1
	v_fma_f32 v47, v71, v72, -v37
	v_sub_f32_e32 v50, v39, v54
	v_add_f32_e32 v54, v55, v53
	v_dual_fmac_f32 v42, v45, v52 :: v_dual_sub_f32 v45, v46, v70
	v_add_f32_e32 v52, v36, v35
	v_add_f32_e32 v51, v32, v38
	s_delay_alu instid0(VALU_DEP_4)
	v_dual_add_f32 v62, v73, v58 :: v_dual_sub_f32 v55, v54, v55
	v_fmac_f32_e32 v47, v57, v72
	v_add_f32_e32 v57, v33, v42
	v_dual_sub_f32 v45, v48, v45 :: v_dual_add_f32 v48, 0x3f2aaaaa, v52
	v_dual_sub_f32 v43, v43, v50 :: v_dual_add_f32 v50, 0x3f2aaaaa, v51
	v_sub_f32_e32 v32, v51, v32
	v_dual_sub_f32 v36, v52, v36 :: v_dual_add_f32 v69, v37, v47
	v_dual_sub_f32 v68, v62, v73 :: v_dual_sub_f32 v53, v53, v55
	s_delay_alu instid0(VALU_DEP_3) | instskip(SKIP_1) | instid1(VALU_DEP_3)
	v_sub_f32_e32 v32, v38, v32
	v_dual_add_f32 v38, 0xbf2aaaaa, v50 :: v_dual_sub_f32 v33, v57, v33
	v_dual_add_f32 v55, 0x3f2aaaaa, v57 :: v_dual_sub_f32 v58, v58, v68
	v_dual_sub_f32 v35, v35, v36 :: v_dual_add_f32 v68, 0x3f2aaaaa, v69
	v_dual_add_f32 v36, 0xbf2aaaaa, v48 :: v_dual_sub_f32 v37, v69, v37
	s_delay_alu instid0(VALU_DEP_4) | instskip(NEXT) | instid1(VALU_DEP_3)
	v_dual_add_f32 v32, 0x31739010, v32 :: v_dual_sub_f32 v33, v42, v33
	v_dual_sub_f32 v38, v51, v38 :: v_dual_add_f32 v35, 0x31739010, v35
	s_delay_alu instid0(VALU_DEP_3) | instskip(NEXT) | instid1(VALU_DEP_3)
	v_dual_add_f32 v42, 0xbf2aaaaa, v55 :: v_dual_sub_f32 v37, v47, v37
	v_dual_sub_f32 v36, v52, v36 :: v_dual_add_f32 v33, 0x31739010, v33
	s_delay_alu instid0(VALU_DEP_3) | instskip(NEXT) | instid1(VALU_DEP_2)
	v_dual_add_f32 v47, 0xbf2aaaaa, v68 :: v_dual_add_f32 v32, v32, v38
	v_dual_sub_f32 v38, v57, v42 :: v_dual_add_f32 v35, v35, v36
	s_delay_alu instid0(VALU_DEP_2) | instskip(NEXT) | instid1(VALU_DEP_2)
	v_dual_add_f32 v36, 0x31739010, v37 :: v_dual_sub_f32 v37, v69, v47
	v_dual_add_f32 v42, v50, v32 :: v_dual_add_f32 v33, v33, v38
	s_delay_alu instid0(VALU_DEP_3) | instskip(NEXT) | instid1(VALU_DEP_2)
	v_add_f32_e32 v38, v48, v35
	v_dual_add_f32 v36, v36, v37 :: v_dual_mul_f32 v47, v39, v42
	s_delay_alu instid0(VALU_DEP_3) | instskip(NEXT) | instid1(VALU_DEP_2)
	v_dual_sub_f32 v37, v50, v42 :: v_dual_add_f32 v50, v55, v33
	v_dual_mul_f32 v51, v46, v38 :: v_dual_add_f32 v52, v68, v36
	s_delay_alu instid0(VALU_DEP_2) | instskip(SKIP_1) | instid1(VALU_DEP_3)
	v_dual_add_f32 v32, v32, v37 :: v_dual_mul_f32 v57, v54, v50
	v_sub_f32_e32 v55, v55, v50
	v_dual_sub_f32 v48, v48, v38 :: v_dual_mul_f32 v69, v62, v52
	v_fma_f32 v37, v39, v42, -v47
	s_delay_alu instid0(VALU_DEP_2) | instskip(SKIP_1) | instid1(VALU_DEP_3)
	v_add_f32_e32 v35, v35, v48
	v_fma_f32 v48, v46, v38, -v51
	v_dual_fmac_f32 v37, v39, v32 :: v_dual_add_f32 v32, v33, v55
	v_fma_f32 v33, v54, v50, -v57
	s_delay_alu instid0(VALU_DEP_3) | instskip(NEXT) | instid1(VALU_DEP_3)
	v_fmac_f32_e32 v48, v46, v35
	v_dual_sub_f32 v68, v68, v52 :: v_dual_fmac_f32 v37, v43, v42
	s_delay_alu instid0(VALU_DEP_2) | instskip(NEXT) | instid1(VALU_DEP_2)
	v_dual_fmac_f32 v33, v54, v32 :: v_dual_fmac_f32 v48, v45, v38
	v_add_f32_e32 v35, v36, v68
	v_fma_f32 v36, v62, v52, -v69
	s_delay_alu instid0(VALU_DEP_3) | instskip(NEXT) | instid1(VALU_DEP_2)
	v_dual_add_f32 v32, v47, v37 :: v_dual_fmac_f32 v33, v53, v50
	v_dual_fmac_f32 v36, v62, v35 :: v_dual_add_f32 v35, v51, v48
	s_delay_alu instid0(VALU_DEP_2) | instskip(NEXT) | instid1(VALU_DEP_3)
	v_sub_f32_e32 v38, v32, v47
	v_dual_add_f32 v39, v44, v32 :: v_dual_add_f32 v42, v57, v33
	s_delay_alu instid0(VALU_DEP_3) | instskip(SKIP_1) | instid1(VALU_DEP_3)
	v_dual_fmac_f32 v36, v58, v52 :: v_dual_sub_f32 v43, v35, v51
	v_add_f32_e32 v45, v49, v35
	v_dual_sub_f32 v37, v37, v38 :: v_dual_sub_f32 v38, v39, v44
	s_delay_alu instid0(VALU_DEP_4) | instskip(NEXT) | instid1(VALU_DEP_4)
	v_sub_f32_e32 v44, v42, v57
	v_dual_add_f32 v46, v69, v36 :: v_dual_add_f32 v47, v56, v42
	s_delay_alu instid0(VALU_DEP_4) | instskip(NEXT) | instid1(VALU_DEP_4)
	v_dual_sub_f32 v43, v48, v43 :: v_dual_sub_f32 v48, v45, v49
	v_dual_sub_f32 v32, v32, v38 :: v_dual_add_f32 v37, v61, v37
	s_delay_alu instid0(VALU_DEP_3) | instskip(SKIP_1) | instid1(VALU_DEP_4)
	v_dual_sub_f32 v49, v46, v69 :: v_dual_add_f32 v50, v59, v46
	v_sub_f32_e32 v33, v33, v44
	v_sub_f32_e32 v35, v35, v48
	s_delay_alu instid0(VALU_DEP_4) | instskip(NEXT) | instid1(VALU_DEP_4)
	v_dual_add_f32 v43, v63, v43 :: v_dual_add_f32 v32, v37, v32
	v_sub_f32_e32 v36, v36, v49
	s_delay_alu instid0(VALU_DEP_4) | instskip(SKIP_1) | instid1(VALU_DEP_3)
	v_dual_sub_f32 v38, v47, v56 :: v_dual_add_f32 v33, v60, v33
	v_sub_f32_e32 v44, v50, v59
	v_dual_add_f32 v35, v43, v35 :: v_dual_add_f32 v36, v65, v36
	s_delay_alu instid0(VALU_DEP_3) | instskip(NEXT) | instid1(VALU_DEP_1)
	v_dual_sub_f32 v37, v42, v38 :: v_dual_add_f32 v42, v39, v32
	v_dual_sub_f32 v38, v46, v44 :: v_dual_add_f32 v33, v33, v37
	s_delay_alu instid0(VALU_DEP_1) | instskip(NEXT) | instid1(VALU_DEP_3)
	v_dual_add_f32 v37, v45, v35 :: v_dual_add_f32 v36, v36, v38
	v_dual_sub_f32 v38, v42, v39 :: v_dual_add_f32 v39, v64, v42
	s_delay_alu instid0(VALU_DEP_2) | instskip(NEXT) | instid1(VALU_DEP_3)
	v_dual_add_f32 v43, v47, v33 :: v_dual_add_f32 v46, v50, v36
	v_sub_f32_e32 v44, v37, v45
	s_delay_alu instid0(VALU_DEP_3) | instskip(NEXT) | instid1(VALU_DEP_3)
	v_dual_add_f32 v45, v34, v37 :: v_dual_sub_f32 v32, v32, v38
	v_sub_f32_e32 v47, v43, v47
	s_delay_alu instid0(VALU_DEP_4) | instskip(NEXT) | instid1(VALU_DEP_4)
	v_dual_sub_f32 v38, v39, v64 :: v_dual_sub_f32 v49, v46, v50
	v_dual_add_f32 v48, v66, v43 :: v_dual_sub_f32 v35, v35, v44
	s_delay_alu instid0(VALU_DEP_3) | instskip(SKIP_1) | instid1(VALU_DEP_4)
	v_dual_add_f32 v50, v67, v46 :: v_dual_sub_f32 v33, v33, v47
	v_sub_f32_e32 v44, v45, v34
	v_dual_sub_f32 v51, v39, v38 :: v_dual_sub_f32 v36, v36, v49
	s_delay_alu instid0(VALU_DEP_3) | instskip(NEXT) | instid1(VALU_DEP_3)
	v_sub_f32_e32 v49, v50, v67
	v_dual_sub_f32 v38, v42, v38 :: v_dual_sub_f32 v37, v37, v44
	v_add_f32_e32 v42, v40, v32
	v_dual_sub_f32 v47, v48, v66 :: v_dual_sub_f32 v52, v45, v44
	v_add_f32_e32 v44, v41, v35
	v_sub_f32_e32 v51, v64, v51
	s_delay_alu instid0(VALU_DEP_4) | instskip(NEXT) | instid1(VALU_DEP_4)
	v_sub_f32_e32 v53, v42, v40
	v_dual_sub_f32 v43, v43, v47 :: v_dual_sub_f32 v34, v34, v52
	s_delay_alu instid0(VALU_DEP_4) | instskip(SKIP_3) | instid1(VALU_DEP_4)
	v_sub_f32_e32 v52, v44, v41
	v_dual_sub_f32 v54, v48, v47 :: v_dual_add_f32 v47, v30, v33
	v_sub_f32_e32 v55, v50, v49
	v_dual_sub_f32 v46, v46, v49 :: v_dual_add_f32 v49, v31, v36
	v_dual_add_f32 v38, v38, v51 :: v_dual_sub_f32 v35, v35, v52
	v_dual_sub_f32 v51, v42, v53 :: v_dual_add_f32 v34, v37, v34
	v_sub_f32_e32 v37, v44, v52
	v_dual_sub_f32 v32, v32, v53 :: v_dual_sub_f32 v53, v66, v54
	v_sub_f32_e32 v54, v47, v30
	v_sub_f32_e32 v52, v67, v55
	v_dual_sub_f32 v55, v49, v31 :: v_dual_add_f32 v38, v42, v38
	v_dual_sub_f32 v40, v40, v51 :: v_dual_sub_f32 v37, v41, v37
	v_add_f32_e32 v34, v44, v34
	v_dual_sub_f32 v33, v33, v54 :: v_dual_add_f32 v42, v43, v53
	v_add_f32_e32 v41, v46, v52
	v_dual_sub_f32 v43, v47, v54 :: v_dual_sub_f32 v44, v49, v55
	v_dual_add_f32 v35, v35, v37 :: v_dual_sub_f32 v36, v36, v55
	v_dual_add_f32 v37, v45, v34 :: v_dual_add_f32 v32, v32, v40
	s_delay_alu instid0(VALU_DEP_4) | instskip(NEXT) | instid1(VALU_DEP_4)
	v_dual_add_f32 v41, v49, v41 :: v_dual_add_f32 v40, v39, v38
	v_dual_sub_f32 v30, v30, v43 :: v_dual_sub_f32 v31, v31, v44
	s_delay_alu instid0(VALU_DEP_3) | instskip(NEXT) | instid1(VALU_DEP_2)
	v_dual_sub_f32 v43, v37, v45 :: v_dual_add_f32 v42, v47, v42
	v_dual_sub_f32 v39, v40, v39 :: v_dual_add_f32 v30, v33, v30
	s_delay_alu instid0(VALU_DEP_3) | instskip(NEXT) | instid1(VALU_DEP_2)
	v_dual_add_f32 v31, v36, v31 :: v_dual_add_f32 v36, v50, v41
	v_dual_add_f32 v33, v48, v42 :: v_dual_sub_f32 v38, v38, v39
	s_delay_alu instid0(VALU_DEP_2) | instskip(NEXT) | instid1(VALU_DEP_2)
	v_dual_sub_f32 v34, v34, v43 :: v_dual_sub_f32 v43, v36, v50
	v_dual_sub_f32 v39, v33, v48 :: v_dual_add_f32 v32, v32, v38
	s_delay_alu instid0(VALU_DEP_2) | instskip(NEXT) | instid1(VALU_DEP_2)
	v_dual_add_f32 v34, v35, v34 :: v_dual_sub_f32 v35, v41, v43
	v_dual_sub_f32 v38, v42, v39 :: v_dual_add_f32 v39, v40, v32
	s_delay_alu instid0(VALU_DEP_1) | instskip(NEXT) | instid1(VALU_DEP_2)
	v_dual_add_f32 v31, v31, v35 :: v_dual_add_f32 v30, v30, v38
	v_dual_add_f32 v38, v37, v34 :: v_dual_sub_f32 v35, v39, v40
	v_mul_f32_e32 v40, v3, v39
	s_delay_alu instid0(VALU_DEP_3) | instskip(NEXT) | instid1(VALU_DEP_4)
	v_add_f32_e32 v43, v36, v31
	v_add_f32_e32 v41, v33, v30
	s_delay_alu instid0(VALU_DEP_4) | instskip(SKIP_2) | instid1(VALU_DEP_4)
	v_dual_sub_f32 v37, v38, v37 :: v_dual_mul_f32 v42, v5, v38
	v_sub_f32_e32 v32, v32, v35
	v_fma_f32 v35, v3, v39, -v40
	v_sub_f32_e32 v33, v41, v33
	v_dual_mul_f32 v39, v4, v41 :: v_dual_sub_f32 v36, v43, v36
	s_delay_alu instid0(VALU_DEP_3) | instskip(SKIP_2) | instid1(VALU_DEP_4)
	v_dual_sub_f32 v34, v34, v37 :: v_dual_fmac_f32 v35, v3, v32
	v_fma_f32 v37, v5, v38, -v42
	v_mul_f32_e32 v38, v6, v43
	v_dual_sub_f32 v30, v30, v33 :: v_dual_sub_f32 v31, v31, v36
	v_fma_f32 v32, v4, v41, -v39
	s_delay_alu instid0(VALU_DEP_4) | instskip(NEXT) | instid1(VALU_DEP_4)
	v_fmac_f32_e32 v37, v5, v34
	v_fma_f32 v33, v6, v43, -v38
	v_cmp_class_f32_e64 s14, v40, 0x204
	v_cmp_class_f32_e64 s13, v42, 0x204
	s_delay_alu instid0(VALU_DEP_3) | instskip(SKIP_1) | instid1(VALU_DEP_2)
	v_dual_fmac_f32 v32, v4, v30 :: v_dual_fmac_f32 v33, v6, v31
	v_add_f32_e32 v34, v40, v35
	v_dual_add_f32 v36, v39, v32 :: v_dual_add_f32 v41, v38, v33
	s_delay_alu instid0(VALU_DEP_2) | instskip(SKIP_3) | instid1(VALU_DEP_4)
	v_sub_f32_e32 v31, v34, v40
	v_cndmask_b32_e64 v34, v34, v40, s14
	v_add_f32_e32 v30, v42, v37
	v_cmp_class_f32_e64 s14, v39, 0x204
	v_sub_f32_e32 v31, v35, v31
	s_delay_alu instid0(VALU_DEP_4) | instskip(NEXT) | instid1(VALU_DEP_1)
	v_cmp_eq_f32_e64 s15, 0x42b17218, v34
	v_cndmask_b32_e64 v35, 0, 0x37000000, s15
	v_sub_f32_e32 v40, v30, v42
	v_cndmask_b32_e64 v30, v30, v42, s13
	v_cmp_class_f32_e64 s13, v38, 0x204
	s_delay_alu instid0(VALU_DEP_3) | instskip(SKIP_1) | instid1(VALU_DEP_3)
	v_sub_f32_e32 v37, v37, v40
	v_sub_f32_e32 v40, v41, v38
	v_cndmask_b32_e64 v38, v41, v38, s13
	v_cmp_neq_f32_e64 s13, 0x7f800000, |v34|
	v_sub_f32_e32 v34, v34, v35
	v_cmp_eq_f32_e64 s15, 0x42b17218, v30
	s_delay_alu instid0(VALU_DEP_3) | instskip(NEXT) | instid1(VALU_DEP_3)
	v_cndmask_b32_e64 v31, 0, v31, s13
	v_cmp_nlt_f32_e64 s16, 0x42b17218, v34
	s_delay_alu instid0(VALU_DEP_2) | instskip(SKIP_4) | instid1(VALU_DEP_4)
	v_add_f32_e32 v31, v35, v31
	v_dual_mul_f32 v35, 0x3fb8aa3b, v34 :: v_dual_sub_f32 v42, v36, v39
	v_cndmask_b32_e64 v36, v36, v39, s14
	v_cmp_neq_f32_e64 s14, 0x7f800000, |v30|
	v_cndmask_b32_e64 v39, 0, 0x37000000, s15
	v_rndne_f32_e32 v43, v35
	s_delay_alu instid0(VALU_DEP_4) | instskip(NEXT) | instid1(VALU_DEP_4)
	v_cmp_eq_f32_e64 s13, 0x42b17218, v36
	v_cndmask_b32_e64 v37, 0, v37, s14
	v_cmp_eq_f32_e64 s14, 0x42b17218, v38
	s_delay_alu instid0(VALU_DEP_3) | instskip(NEXT) | instid1(VALU_DEP_3)
	v_cndmask_b32_e64 v41, 0, 0x37000000, s13
	v_dual_add_f32 v37, v39, v37 :: v_dual_sub_f32 v32, v32, v42
	v_sub_f32_e32 v33, v33, v40
	s_delay_alu instid0(VALU_DEP_4)
	v_cndmask_b32_e64 v40, 0, 0x37000000, s14
	v_cmp_neq_f32_e64 s14, 0x7f800000, |v36|
	v_cmp_neq_f32_e64 s13, 0x7f800000, |v38|
	v_sub_f32_e32 v36, v36, v41
	v_sub_f32_e32 v30, v30, v39
	v_fma_f32 v42, 0x3fb8aa3b, v34, -v35
	v_cndmask_b32_e64 v32, 0, v32, s14
	v_cndmask_b32_e64 v33, 0, v33, s13
	v_dual_sub_f32 v38, v38, v40 :: v_dual_sub_f32 v35, v35, v43
	v_cvt_i32_f32_e32 v43, v43
	s_delay_alu instid0(VALU_DEP_4)
	v_add_f32_e32 v32, v41, v32
	v_mul_f32_e32 v41, 0x3fb8aa3b, v36
	v_mul_f32_e32 v39, 0x3fb8aa3b, v30
	v_add_f32_e32 v33, v40, v33
	v_cmp_ngt_f32_e64 s13, 0xc2ce8ed0, v30
	v_cmp_ngt_f32_e64 s14, 0xc2ce8ed0, v34
	v_fma_f32 v46, 0x3fb8aa3b, v36, -v41
	v_fma_f32 v44, 0x3fb8aa3b, v30, -v39
	v_rndne_f32_e32 v45, v39
	v_mul_f32_e32 v40, 0x3fb8aa3b, v38
	v_rndne_f32_e32 v47, v41
	v_fmac_f32_e32 v42, 0x32a5705f, v34
	s_delay_alu instid0(VALU_DEP_4) | instskip(NEXT) | instid1(VALU_DEP_4)
	v_dual_fmac_f32 v44, 0x32a5705f, v30 :: v_dual_sub_f32 v39, v39, v45
	v_fma_f32 v48, 0x3fb8aa3b, v38, -v40
	s_delay_alu instid0(VALU_DEP_4) | instskip(SKIP_2) | instid1(VALU_DEP_4)
	v_sub_f32_e32 v41, v41, v47
	v_rndne_f32_e32 v49, v40
	v_dual_add_f32 v35, v35, v42 :: v_dual_fmac_f32 v46, 0x32a5705f, v36
	v_dual_add_f32 v39, v39, v44 :: v_dual_fmac_f32 v48, 0x32a5705f, v38
	s_delay_alu instid0(VALU_DEP_3) | instskip(NEXT) | instid1(VALU_DEP_3)
	v_sub_f32_e32 v40, v40, v49
	v_exp_f32_e32 v35, v35
	s_delay_alu instid0(VALU_DEP_3) | instskip(NEXT) | instid1(VALU_DEP_3)
	v_add_f32_e32 v41, v41, v46
	v_exp_f32_e32 v39, v39
	v_cvt_i32_f32_e32 v45, v45
	v_add_f32_e32 v40, v40, v48
	v_cvt_i32_f32_e32 v42, v47
	v_exp_f32_e32 v41, v41
	v_cvt_i32_f32_e32 v44, v49
	v_cmp_ngt_f32_e64 s15, 0xc2ce8ed0, v38
	v_exp_f32_e32 v40, v40
	v_ldexp_f32 v35, v35, v43
	s_delay_alu instid0(TRANS32_DEP_3) | instskip(NEXT) | instid1(VALU_DEP_2)
	v_ldexp_f32 v39, v39, v45
	v_cndmask_b32_e64 v35, 0, v35, s14
	s_delay_alu instid0(TRANS32_DEP_2) | instskip(SKIP_1) | instid1(VALU_DEP_4)
	v_ldexp_f32 v41, v41, v42
	v_cmp_ngt_f32_e64 s14, 0xc2ce8ed0, v36
	v_cndmask_b32_e64 v39, 0, v39, s13
	v_cmp_nlt_f32_e64 s13, 0x42b17218, v30
	s_delay_alu instid0(TRANS32_DEP_1)
	v_ldexp_f32 v30, v40, v44
	v_cndmask_b32_e64 v34, 0x7f800000, v35, s16
	v_cndmask_b32_e64 v35, 0, v41, s14
	v_cmp_nlt_f32_e64 s14, 0x42b17218, v36
	v_cndmask_b32_e64 v39, 0x7f800000, v39, s13
	v_cndmask_b32_e64 v30, 0, v30, s15
	v_cmp_nlt_f32_e64 s13, 0x42b17218, v38
	v_fma_f32 v31, v34, v31, v34
	v_cndmask_b32_e64 v35, 0x7f800000, v35, s14
	v_fma_f32 v36, v39, v37, v39
	v_cmp_class_f32_e64 s14, v39, 0x204
	v_cndmask_b32_e64 v30, 0x7f800000, v30, s13
	v_cmp_class_f32_e64 s13, v34, 0x204
	v_fma_f32 v32, v35, v32, v35
	s_delay_alu instid0(VALU_DEP_3) | instskip(NEXT) | instid1(VALU_DEP_3)
	v_fma_f32 v33, v30, v33, v30
	v_cndmask_b32_e64 v31, v31, v34, s13
	v_cndmask_b32_e64 v34, v36, v39, s14
	v_cmp_class_f32_e64 s13, v30, 0x204
	v_cmp_class_f32_e64 s14, v35, 0x204
	s_delay_alu instid0(VALU_DEP_4) | instskip(NEXT) | instid1(VALU_DEP_4)
	v_bfi_b32 v20, 0x7fffffff, v31, v20
	v_bfi_b32 v23, 0x7fffffff, v34, v23
	s_delay_alu instid0(VALU_DEP_4) | instskip(NEXT) | instid1(VALU_DEP_4)
	v_cndmask_b32_e64 v30, v33, v30, s13
	v_cndmask_b32_e64 v31, v32, v35, s14
	s_delay_alu instid0(VALU_DEP_4) | instskip(SKIP_1) | instid1(VALU_DEP_4)
	v_cndmask_b32_e64 v32, 0x7fc00000, v20, s3
	v_cmp_gt_f32_e64 s3, 0, v15
	v_bfi_b32 v29, 0x7fffffff, v30, v29
	s_delay_alu instid0(VALU_DEP_4) | instskip(SKIP_2) | instid1(VALU_DEP_3)
	v_bfi_b32 v28, 0x7fffffff, v31, v28
	v_cndmask_b32_e64 v31, 0x7fc00000, v23, s5
	v_cmp_gt_f32_e64 s5, 0, v12
	v_cndmask_b32_e64 v30, 0x7fc00000, v28, s9
	s_delay_alu instid0(VALU_DEP_3) | instskip(NEXT) | instid1(VALU_DEP_3)
	v_cndmask_b32_e64 v23, v23, v31, s3
	v_cndmask_b32_e64 v20, v20, v32, s5
	v_cmp_gt_f32_e64 s5, 0, v16
	v_cmp_eq_f32_e64 s3, 0x7f800000, v11
	v_cndmask_b32_e64 v11, 0x7fc00000, v29, s10
	v_cmp_gt_f32_e64 s9, 0, v17
	v_cmp_eq_f32_e64 s10, 0x7f800000, v10
	s_delay_alu instid0(VALU_DEP_2) | instskip(NEXT) | instid1(VALU_DEP_2)
	v_cndmask_b32_e64 v11, v29, v11, s9
	v_cndmask_b32_e64 v10, v20, v18, s10
	;; [unrolled: 1-line block ×3, first 2 shown]
	v_cmp_eq_f32_e64 s5, 0x7f800000, v13
	v_cndmask_b32_e64 v13, v23, v19, s3
	v_cmp_eq_f32_e64 s3, 0x7f800000, v14
	v_cndmask_b32_e32 v10, v10, v26, vcc_lo
	s_or_b32 vcc_lo, s6, s11
	v_cndmask_b32_e64 v14, v18, v21, s5
	v_cndmask_b32_e64 v13, v13, v25, s2
	v_cmp_o_f32_e64 s2, v15, v5
	v_cndmask_b32_e64 v5, v11, v22, s3
	s_or_b32 s3, s7, s12
	v_cndmask_b32_e64 v3, 0x7fc00000, v10, s4
	v_cndmask_b32_e32 v10, v14, v24, vcc_lo
	v_cmp_o_f32_e32 vcc_lo, v16, v4
	v_cndmask_b32_e64 v5, v5, v27, s3
	v_cndmask_b32_e64 v4, 0x7fc00000, v13, s2
	v_cmp_o_f32_e64 s2, v17, v6
	s_add_u32 s38, s38, s47
	v_cndmask_b32_e32 v6, 0x7fc00000, v10, vcc_lo
	v_cvt_f16_f32_e32 v3, v3
	v_cvt_f16_f32_e32 v4, v4
	v_cndmask_b32_e64 v5, 0x7fc00000, v5, s2
	s_addc_u32 s39, s39, 0
	v_cvt_f16_f32_e32 v6, v6
	s_add_u32 s42, s42, s47
	s_addc_u32 s43, s43, 0
	v_cvt_f16_f32_e32 v5, v5
	s_add_u32 s40, s40, s47
	s_addc_u32 s41, s41, 0
	v_pack_b32_f16 v3, v3, v6
	s_and_b32 s2, exec_lo, s49
	v_pack_b32_f16 v4, v4, v5
	s_or_b32 s45, s2, s45
	global_store_b64 v[7:8], v[3:4], off
	s_and_not1_b32 exec_lo, exec_lo, s45
	s_cbranch_execnz .LBB155_3
.LBB155_4:
	s_or_b32 exec_lo, exec_lo, s44
	s_mov_b32 s2, 0
.LBB155_5:
	s_delay_alu instid0(SALU_CYCLE_1)
	s_and_not1_b32 vcc_lo, exec_lo, s2
	s_cbranch_vccnz .LBB155_25
; %bb.6:
	v_cmp_lt_i64_e64 s2, s[28:29], 1
	s_delay_alu instid0(VALU_DEP_1)
	s_and_b32 vcc_lo, exec_lo, s2
	s_cbranch_vccnz .LBB155_25
; %bb.7:
	s_load_b32 s0, s[0:1], 0xc5c
	v_dual_mov_b32 v14, 0 :: v_dual_lshlrev_b32 v13, 1, v0
	v_cmp_gt_u64_e64 s1, 0x10000, s[28:29]
	s_mov_b64 s[10:11], 0
	s_mov_b32 s13, 0x3e76c4e1
	s_delay_alu instid0(VALU_DEP_2) | instskip(NEXT) | instid1(VALU_DEP_1)
	v_add_co_u32 v1, s2, s30, v13
	v_add_co_ci_u32_e64 v2, null, s31, 0, s2
	v_add_co_u32 v3, s2, s34, v13
	s_delay_alu instid0(VALU_DEP_1) | instskip(SKIP_1) | instid1(VALU_DEP_1)
	v_add_co_ci_u32_e64 v4, null, s35, 0, s2
	v_add_co_u32 v5, s2, s36, v13
	v_add_co_ci_u32_e64 v6, null, s37, 0, s2
	s_waitcnt lgkmcnt(0)
	s_and_b32 s0, s0, 0xffff
	s_and_b32 s1, s1, exec_lo
	v_mad_u64_u32 v[11:12], null, s0, 6, v[13:14]
	s_cselect_b32 s9, s29, 0
	s_cselect_b32 s8, s28, 0x10000
	s_mul_i32 s2, s0, 3
	s_lshl_b32 s7, s0, 2
	s_lshl_b32 s1, s0, 1
	v_add_co_u32 v20, s3, s7, v13
	v_add_co_u32 v13, s2, s2, v0
	v_add_co_u32 v7, vcc_lo, s30, v11
	v_add_co_ci_u32_e64 v14, null, 0, 0, s2
	v_add_co_u32 v19, s2, v0, s0
	v_add_co_ci_u32_e32 v8, vcc_lo, s31, v12, vcc_lo
	v_add_co_u32 v9, vcc_lo, s34, v11
	v_add_co_ci_u32_e32 v10, vcc_lo, s35, v12, vcc_lo
	v_add_co_u32 v11, vcc_lo, s36, v11
	v_add_co_ci_u32_e64 v21, null, 0, 0, s3
	v_lshlrev_b32_e32 v29, 1, v19
	v_add_co_ci_u32_e32 v12, vcc_lo, s37, v12, vcc_lo
	v_add_co_u32 v15, vcc_lo, s30, v20
	v_add_co_u32 v23, s1, s1, v0
	v_add_co_ci_u32_e32 v16, vcc_lo, s31, v21, vcc_lo
	v_add_co_ci_u32_e64 v24, null, 0, 0, s1
	v_add_co_u32 v25, s1, s30, v29
	v_add_co_u32 v17, vcc_lo, s34, v20
	v_add_co_ci_u32_e64 v26, null, s31, 0, s1
	v_add_co_u32 v27, s1, s34, v29
	v_add_co_ci_u32_e32 v18, vcc_lo, s35, v21, vcc_lo
	v_add_co_u32 v20, vcc_lo, s36, v20
	v_add_co_ci_u32_e64 v28, null, s35, 0, s1
	v_add_co_u32 v29, s1, s36, v29
	v_add_co_ci_u32_e32 v21, vcc_lo, s37, v21, vcc_lo
	v_add_co_ci_u32_e64 v22, null, 0, 0, s2
	v_add_co_ci_u32_e64 v30, null, s37, 0, s1
	s_lshl_b32 s12, s0, 3
	s_branch .LBB155_9
.LBB155_8:                              ;   in Loop: Header=BB155_9 Depth=1
	s_or_b32 exec_lo, exec_lo, s4
	v_add_co_u32 v1, vcc_lo, v1, s12
	v_add_co_ci_u32_e32 v2, vcc_lo, 0, v2, vcc_lo
	v_add_co_u32 v3, vcc_lo, v3, s12
	v_add_co_ci_u32_e32 v4, vcc_lo, 0, v4, vcc_lo
	;; [unrolled: 2-line block ×9, first 2 shown]
	s_add_u32 s10, s10, s7
	v_add_co_u32 v25, vcc_lo, v25, s12
	s_addc_u32 s11, s11, 0
	v_add_co_ci_u32_e32 v26, vcc_lo, 0, v26, vcc_lo
	v_cmp_ge_i64_e64 s0, s[10:11], s[28:29]
	v_cmp_lt_u64_e64 s1, 0xffff, s[10:11]
	v_add_co_u32 v27, vcc_lo, v27, s12
	v_add_co_ci_u32_e32 v28, vcc_lo, 0, v28, vcc_lo
	v_add_co_u32 v29, vcc_lo, v29, s12
	v_add_co_ci_u32_e32 v30, vcc_lo, 0, v30, vcc_lo
	s_or_b32 s0, s0, s1
	s_delay_alu instid0(SALU_CYCLE_1)
	s_and_b32 vcc_lo, exec_lo, s0
	s_cbranch_vccnz .LBB155_25
.LBB155_9:                              ; =>This Inner Loop Header: Depth=1
	s_waitcnt vmcnt(1)
	v_add_co_u32 v31, s0, v0, s10
	s_waitcnt vmcnt(0)
	v_add_co_ci_u32_e64 v32, null, 0, s11, s0
	v_dual_mov_b32 v37, 0 :: v_dual_mov_b32 v38, 0
	s_delay_alu instid0(VALU_DEP_2) | instskip(NEXT) | instid1(VALU_DEP_1)
	v_cmp_gt_u64_e64 s2, s[8:9], v[31:32]
	s_and_saveexec_b32 s0, s2
	s_cbranch_execz .LBB155_11
; %bb.10:                               ;   in Loop: Header=BB155_9 Depth=1
	v_add_co_u32 v31, vcc_lo, v1, s26
	v_add_co_ci_u32_e32 v32, vcc_lo, s27, v2, vcc_lo
	v_add_co_u32 v33, vcc_lo, v3, s26
	v_add_co_ci_u32_e32 v34, vcc_lo, s27, v4, vcc_lo
	global_load_u16 v37, v[31:32], off
	global_load_u16 v38, v[33:34], off
.LBB155_11:                             ;   in Loop: Header=BB155_9 Depth=1
	s_or_b32 exec_lo, exec_lo, s0
	v_add_co_u32 v31, vcc_lo, v19, s10
	v_add_co_ci_u32_e32 v32, vcc_lo, s11, v22, vcc_lo
	v_dual_mov_b32 v33, 0 :: v_dual_mov_b32 v36, 0
	v_mov_b32_e32 v35, 0
	s_delay_alu instid0(VALU_DEP_3) | instskip(NEXT) | instid1(VALU_DEP_1)
	v_cmp_gt_u64_e64 s1, s[8:9], v[31:32]
	s_and_saveexec_b32 s0, s1
	s_cbranch_execz .LBB155_13
; %bb.12:                               ;   in Loop: Header=BB155_9 Depth=1
	v_add_co_u32 v31, vcc_lo, v25, s26
	v_add_co_ci_u32_e32 v32, vcc_lo, s27, v26, vcc_lo
	v_add_co_u32 v39, vcc_lo, v27, s26
	v_add_co_ci_u32_e32 v40, vcc_lo, s27, v28, vcc_lo
	global_load_u16 v35, v[31:32], off
	global_load_u16 v36, v[39:40], off
.LBB155_13:                             ;   in Loop: Header=BB155_9 Depth=1
	s_or_b32 exec_lo, exec_lo, s0
	v_add_co_u32 v31, vcc_lo, v23, s10
	v_add_co_ci_u32_e32 v32, vcc_lo, s11, v24, vcc_lo
	v_mov_b32_e32 v34, 0
	s_delay_alu instid0(VALU_DEP_2) | instskip(NEXT) | instid1(VALU_DEP_1)
	v_cmp_gt_u64_e64 s0, s[8:9], v[31:32]
	s_and_saveexec_b32 s3, s0
	s_cbranch_execz .LBB155_15
; %bb.14:                               ;   in Loop: Header=BB155_9 Depth=1
	v_add_co_u32 v31, vcc_lo, v15, s26
	v_add_co_ci_u32_e32 v32, vcc_lo, s27, v16, vcc_lo
	v_add_co_u32 v39, vcc_lo, v17, s26
	v_add_co_ci_u32_e32 v40, vcc_lo, s27, v18, vcc_lo
	global_load_u16 v33, v[31:32], off
	global_load_u16 v34, v[39:40], off
.LBB155_15:                             ;   in Loop: Header=BB155_9 Depth=1
	s_or_b32 exec_lo, exec_lo, s3
	v_add_co_u32 v31, vcc_lo, v13, s10
	v_add_co_ci_u32_e32 v32, vcc_lo, s11, v14, vcc_lo
	s_delay_alu instid0(VALU_DEP_1)
	v_cmp_gt_u64_e32 vcc_lo, s[8:9], v[31:32]
	v_dual_mov_b32 v31, 0 :: v_dual_mov_b32 v32, 0
	s_and_saveexec_b32 s4, vcc_lo
	s_cbranch_execnz .LBB155_20
; %bb.16:                               ;   in Loop: Header=BB155_9 Depth=1
	s_or_b32 exec_lo, exec_lo, s4
	s_and_saveexec_b32 s14, s2
	s_cbranch_execnz .LBB155_21
.LBB155_17:                             ;   in Loop: Header=BB155_9 Depth=1
	s_or_b32 exec_lo, exec_lo, s14
	s_and_saveexec_b32 s6, s1
	s_cbranch_execnz .LBB155_22
.LBB155_18:                             ;   in Loop: Header=BB155_9 Depth=1
	s_or_b32 exec_lo, exec_lo, s6
	s_and_saveexec_b32 s5, s0
	s_cbranch_execnz .LBB155_23
.LBB155_19:                             ;   in Loop: Header=BB155_9 Depth=1
	s_or_b32 exec_lo, exec_lo, s5
	s_and_saveexec_b32 s4, vcc_lo
	s_cbranch_execz .LBB155_8
	s_branch .LBB155_24
.LBB155_20:                             ;   in Loop: Header=BB155_9 Depth=1
	v_add_co_u32 v31, s3, v7, s26
	s_delay_alu instid0(VALU_DEP_1) | instskip(SKIP_1) | instid1(VALU_DEP_1)
	v_add_co_ci_u32_e64 v32, s3, s27, v8, s3
	v_add_co_u32 v39, s3, v9, s26
	v_add_co_ci_u32_e64 v40, s3, s27, v10, s3
	global_load_u16 v31, v[31:32], off
	global_load_u16 v32, v[39:40], off
	s_or_b32 exec_lo, exec_lo, s4
	s_and_saveexec_b32 s14, s2
	s_cbranch_execz .LBB155_17
.LBB155_21:                             ;   in Loop: Header=BB155_9 Depth=1
	s_waitcnt vmcnt(0)
	v_cvt_f32_f16_e32 v38, v38
	v_cmp_eq_f16_e64 s2, 1.0, v37
	v_cvt_f32_f16_e32 v37, v37
	s_delay_alu instid0(VALU_DEP_3) | instskip(NEXT) | instid1(VALU_DEP_1)
	v_mul_f32_e32 v39, s33, v38
	v_cndmask_b32_e64 v40, v39, 1.0, s2
	s_delay_alu instid0(VALU_DEP_1) | instskip(SKIP_1) | instid1(VALU_DEP_2)
	v_cmp_eq_f32_e64 s3, 0, v40
	v_cmp_gt_f32_e64 s5, 0, v40
	v_cndmask_b32_e64 v42, |v37|, 1.0, s3
	v_cndmask_b32_e64 v41, v37, 1.0, s3
	s_delay_alu instid0(VALU_DEP_2) | instskip(NEXT) | instid1(VALU_DEP_2)
	v_cvt_f64_f32_e32 v[37:38], v42
	v_cmp_eq_f32_e64 s6, 0, v41
	s_delay_alu instid0(VALU_DEP_2) | instskip(SKIP_1) | instid1(VALU_DEP_1)
	v_frexp_exp_i32_f64_e32 v37, v[37:38]
	v_frexp_mant_f32_e32 v38, v42
	v_cmp_gt_f32_e64 s3, 0x3f2aaaab, v38
	s_delay_alu instid0(VALU_DEP_1) | instskip(NEXT) | instid1(VALU_DEP_1)
	v_cndmask_b32_e64 v43, 1.0, 2.0, s3
	v_mul_f32_e32 v38, v38, v43
	v_cndmask_b32_e64 v39, |v39|, 1.0, s2
	s_delay_alu instid0(VALU_DEP_2) | instskip(SKIP_1) | instid1(VALU_DEP_1)
	v_add_f32_e32 v45, -1.0, v38
	v_add_f32_e32 v43, 1.0, v38
	v_rcp_f32_e32 v44, v43
	s_waitcnt_depctr 0xfff
	v_dual_mul_f32 v46, v45, v44 :: v_dual_add_f32 v47, -1.0, v43
	v_subrev_co_ci_u32_e64 v37, s4, 0, v37, s3
	s_delay_alu instid0(VALU_DEP_2) | instskip(NEXT) | instid1(VALU_DEP_3)
	v_mul_f32_e32 v48, v43, v46
	v_sub_f32_e32 v38, v38, v47
	s_delay_alu instid0(VALU_DEP_3) | instskip(NEXT) | instid1(VALU_DEP_3)
	v_cvt_f32_i32_e32 v37, v37
	v_fma_f32 v43, v46, v43, -v48
	s_delay_alu instid0(VALU_DEP_1) | instskip(NEXT) | instid1(VALU_DEP_1)
	v_fmac_f32_e32 v43, v46, v38
	v_add_f32_e32 v38, v48, v43
	s_delay_alu instid0(VALU_DEP_1) | instskip(NEXT) | instid1(VALU_DEP_1)
	v_dual_sub_f32 v47, v45, v38 :: v_dual_sub_f32 v48, v38, v48
	v_sub_f32_e32 v43, v48, v43
	s_delay_alu instid0(VALU_DEP_2) | instskip(NEXT) | instid1(VALU_DEP_1)
	v_sub_f32_e32 v45, v45, v47
	v_sub_f32_e32 v38, v45, v38
	s_delay_alu instid0(VALU_DEP_1) | instskip(NEXT) | instid1(VALU_DEP_1)
	v_add_f32_e32 v38, v43, v38
	v_add_f32_e32 v38, v47, v38
	s_delay_alu instid0(VALU_DEP_1) | instskip(NEXT) | instid1(VALU_DEP_1)
	v_mul_f32_e32 v38, v44, v38
	v_add_f32_e32 v43, v46, v38
	s_delay_alu instid0(VALU_DEP_1) | instskip(SKIP_1) | instid1(VALU_DEP_1)
	v_mul_f32_e32 v45, v43, v43
	v_sub_f32_e32 v44, v43, v46
	v_sub_f32_e32 v38, v38, v44
	s_delay_alu instid0(VALU_DEP_3) | instskip(NEXT) | instid1(VALU_DEP_2)
	v_fma_f32 v44, v43, v43, -v45
	v_add_f32_e32 v46, v38, v38
	s_delay_alu instid0(VALU_DEP_1) | instskip(NEXT) | instid1(VALU_DEP_1)
	v_fmac_f32_e32 v44, v43, v46
	v_add_f32_e32 v46, v45, v44
	s_delay_alu instid0(VALU_DEP_1) | instskip(SKIP_1) | instid1(VALU_DEP_1)
	v_fmaak_f32 v47, s13, v46, 0x3e91f4c4
	v_sub_f32_e32 v45, v46, v45
	v_dual_fmaak_f32 v47, v46, v47, 0x3ecccdef :: v_dual_sub_f32 v44, v44, v45
	s_delay_alu instid0(VALU_DEP_1) | instskip(NEXT) | instid1(VALU_DEP_1)
	v_mul_f32_e32 v48, v46, v47
	v_fma_f32 v45, v46, v47, -v48
	s_delay_alu instid0(VALU_DEP_1) | instskip(NEXT) | instid1(VALU_DEP_1)
	v_dual_fmac_f32 v45, v44, v47 :: v_dual_mul_f32 v50, v43, v46
	v_add_f32_e32 v47, v48, v45
	s_delay_alu instid0(VALU_DEP_2) | instskip(NEXT) | instid1(VALU_DEP_1)
	v_fma_f32 v51, v46, v43, -v50
	v_dual_sub_f32 v48, v47, v48 :: v_dual_fmac_f32 v51, v46, v38
	v_add_f32_e32 v49, 0x3f2aaaaa, v47
	v_ldexp_f32 v38, v38, 1
	s_delay_alu instid0(VALU_DEP_3) | instskip(NEXT) | instid1(VALU_DEP_4)
	v_sub_f32_e32 v45, v45, v48
	v_fmac_f32_e32 v51, v44, v43
	v_ldexp_f32 v43, v43, 1
	s_delay_alu instid0(VALU_DEP_3) | instskip(SKIP_1) | instid1(VALU_DEP_1)
	v_add_f32_e32 v45, 0x31739010, v45
	v_add_f32_e32 v48, 0xbf2aaaaa, v49
	v_sub_f32_e32 v47, v47, v48
	s_delay_alu instid0(VALU_DEP_1) | instskip(NEXT) | instid1(VALU_DEP_1)
	v_add_f32_e32 v45, v45, v47
	v_add_f32_e32 v44, v49, v45
	s_delay_alu instid0(VALU_DEP_1) | instskip(NEXT) | instid1(VALU_DEP_1)
	v_dual_add_f32 v46, v50, v51 :: v_dual_sub_f32 v47, v49, v44
	v_mul_f32_e32 v48, v46, v44
	v_sub_f32_e32 v49, v46, v50
	s_delay_alu instid0(VALU_DEP_3) | instskip(NEXT) | instid1(VALU_DEP_3)
	v_add_f32_e32 v45, v45, v47
	v_fma_f32 v47, v46, v44, -v48
	s_delay_alu instid0(VALU_DEP_3) | instskip(NEXT) | instid1(VALU_DEP_2)
	v_sub_f32_e32 v49, v51, v49
	v_fmac_f32_e32 v47, v46, v45
	s_delay_alu instid0(VALU_DEP_1) | instskip(NEXT) | instid1(VALU_DEP_1)
	v_fmac_f32_e32 v47, v49, v44
	v_add_f32_e32 v44, v48, v47
	s_delay_alu instid0(VALU_DEP_1) | instskip(SKIP_2) | instid1(VALU_DEP_3)
	v_sub_f32_e32 v45, v44, v48
	v_add_f32_e32 v46, v43, v44
	v_mul_f32_e32 v48, 0x3f317218, v37
	v_sub_f32_e32 v45, v47, v45
	s_delay_alu instid0(VALU_DEP_3) | instskip(NEXT) | instid1(VALU_DEP_3)
	v_sub_f32_e32 v43, v46, v43
	v_fma_f32 v47, 0x3f317218, v37, -v48
	s_delay_alu instid0(VALU_DEP_2) | instskip(NEXT) | instid1(VALU_DEP_2)
	v_dual_add_f32 v38, v38, v45 :: v_dual_sub_f32 v43, v44, v43
	v_fmac_f32_e32 v47, 0xb102e308, v37
	s_delay_alu instid0(VALU_DEP_2) | instskip(NEXT) | instid1(VALU_DEP_1)
	v_add_f32_e32 v37, v38, v43
	v_dual_add_f32 v38, v48, v47 :: v_dual_add_f32 v43, v46, v37
	s_delay_alu instid0(VALU_DEP_1) | instskip(NEXT) | instid1(VALU_DEP_2)
	v_sub_f32_e32 v48, v38, v48
	v_add_f32_e32 v44, v38, v43
	v_sub_f32_e32 v46, v43, v46
	s_delay_alu instid0(VALU_DEP_2) | instskip(NEXT) | instid1(VALU_DEP_2)
	v_sub_f32_e32 v45, v44, v38
	v_sub_f32_e32 v37, v37, v46
	s_delay_alu instid0(VALU_DEP_2) | instskip(NEXT) | instid1(VALU_DEP_1)
	v_sub_f32_e32 v49, v44, v45
	v_sub_f32_e32 v38, v38, v49
	;; [unrolled: 1-line block ×3, first 2 shown]
	s_delay_alu instid0(VALU_DEP_1) | instskip(SKIP_1) | instid1(VALU_DEP_1)
	v_add_f32_e32 v38, v43, v38
	v_sub_f32_e32 v47, v47, v48
	v_add_f32_e32 v45, v47, v37
	s_delay_alu instid0(VALU_DEP_1) | instskip(NEXT) | instid1(VALU_DEP_1)
	v_add_f32_e32 v38, v45, v38
	v_dual_sub_f32 v43, v45, v47 :: v_dual_add_f32 v46, v44, v38
	s_delay_alu instid0(VALU_DEP_1) | instskip(NEXT) | instid1(VALU_DEP_1)
	v_dual_sub_f32 v45, v45, v43 :: v_dual_sub_f32 v44, v46, v44
	v_dual_sub_f32 v38, v38, v44 :: v_dual_sub_f32 v37, v37, v43
	s_delay_alu instid0(VALU_DEP_2) | instskip(NEXT) | instid1(VALU_DEP_1)
	v_sub_f32_e32 v43, v47, v45
	v_add_f32_e32 v37, v37, v43
	s_delay_alu instid0(VALU_DEP_1) | instskip(NEXT) | instid1(VALU_DEP_1)
	v_add_f32_e32 v37, v37, v38
	v_add_f32_e32 v38, v46, v37
	s_delay_alu instid0(VALU_DEP_1) | instskip(NEXT) | instid1(VALU_DEP_1)
	v_sub_f32_e32 v43, v38, v46
	v_dual_mul_f32 v44, v40, v38 :: v_dual_sub_f32 v37, v37, v43
	s_delay_alu instid0(VALU_DEP_1) | instskip(SKIP_1) | instid1(VALU_DEP_2)
	v_fma_f32 v38, v40, v38, -v44
	v_cmp_class_f32_e64 s3, v44, 0x204
	v_fmac_f32_e32 v38, v40, v37
	s_delay_alu instid0(VALU_DEP_1) | instskip(NEXT) | instid1(VALU_DEP_1)
	v_add_f32_e32 v37, v44, v38
	v_cndmask_b32_e64 v43, v37, v44, s3
	v_sub_f32_e32 v37, v37, v44
	s_delay_alu instid0(VALU_DEP_2) | instskip(NEXT) | instid1(VALU_DEP_2)
	v_cmp_eq_f32_e64 s3, 0x42b17218, v43
	v_sub_f32_e32 v37, v38, v37
	v_trunc_f32_e32 v38, v40
	s_delay_alu instid0(VALU_DEP_3) | instskip(SKIP_1) | instid1(VALU_DEP_2)
	v_cndmask_b32_e64 v45, 0, 0x37000000, s3
	v_cmp_neq_f32_e64 s3, 0x7f800000, |v43|
	v_sub_f32_e32 v46, v43, v45
	s_delay_alu instid0(VALU_DEP_2) | instskip(NEXT) | instid1(VALU_DEP_2)
	v_cndmask_b32_e64 v37, 0, v37, s3
	v_mul_f32_e32 v47, 0x3fb8aa3b, v46
	v_cmp_ngt_f32_e64 s3, 0xc2ce8ed0, v46
	v_cmp_nlt_f32_e64 s4, 0x42b17218, v46
	s_delay_alu instid0(VALU_DEP_4) | instskip(NEXT) | instid1(VALU_DEP_4)
	v_add_f32_e32 v37, v45, v37
	v_fma_f32 v48, 0x3fb8aa3b, v46, -v47
	v_rndne_f32_e32 v49, v47
	s_delay_alu instid0(VALU_DEP_1) | instskip(SKIP_1) | instid1(VALU_DEP_2)
	v_dual_fmac_f32 v48, 0x32a5705f, v46 :: v_dual_sub_f32 v47, v47, v49
	v_cvt_i32_f32_e32 v44, v49
	v_add_f32_e32 v47, v47, v48
	s_delay_alu instid0(VALU_DEP_1) | instskip(SKIP_3) | instid1(VALU_DEP_2)
	v_exp_f32_e32 v47, v47
	s_waitcnt_depctr 0xfff
	v_ldexp_f32 v44, v47, v44
	v_mul_f32_e32 v47, 0.5, v40
	v_cndmask_b32_e64 v43, 0, v44, s3
	s_delay_alu instid0(VALU_DEP_2) | instskip(SKIP_1) | instid1(VALU_DEP_3)
	v_trunc_f32_e32 v44, v47
	v_cmp_eq_f32_e64 s3, v38, v40
	v_cndmask_b32_e64 v38, 0x7f800000, v43, s4
	s_delay_alu instid0(VALU_DEP_3) | instskip(NEXT) | instid1(VALU_DEP_2)
	v_cmp_neq_f32_e64 s4, v44, v47
	v_fma_f32 v37, v38, v37, v38
	s_delay_alu instid0(VALU_DEP_2) | instskip(SKIP_4) | instid1(VALU_DEP_1)
	s_and_b32 s2, s3, s4
	v_cmp_gt_f32_e64 s4, 1.0, v42
	v_cndmask_b32_e64 v43, 0, v41, s2
	v_cndmask_b32_e64 v44, 1.0, v41, s2
	v_cmp_class_f32_e64 s2, v38, 0x204
	v_cndmask_b32_e64 v37, v37, v38, s2
	v_cmp_neq_f32_e64 s2, v40, v39
	s_delay_alu instid0(VALU_DEP_2) | instskip(NEXT) | instid1(VALU_DEP_2)
	v_bfi_b32 v37, 0x7fffffff, v37, v44
	s_xor_b32 s2, s2, s4
	s_delay_alu instid0(SALU_CYCLE_1) | instskip(SKIP_1) | instid1(VALU_DEP_2)
	v_cndmask_b32_e64 v38, v39, 0, s2
	s_xor_b32 s2, s5, s6
	v_cndmask_b32_e64 v44, 0x7fc00000, v37, s3
	v_cndmask_b32_e64 v45, 0x7f800000, 0, s2
	v_cmp_eq_f32_e64 s2, 1.0, v42
	v_cmp_eq_f32_e64 s3, 0x7f800000, v39
	s_delay_alu instid0(VALU_DEP_2) | instskip(SKIP_1) | instid1(VALU_DEP_1)
	v_cndmask_b32_e64 v38, v38, v42, s2
	v_cmp_gt_f32_e64 s2, 0, v41
	v_cndmask_b32_e64 v37, v37, v44, s2
	v_cmp_eq_f32_e64 s2, 0x7f800000, v42
	v_bfi_b32 v42, 0x7fffffff, v45, v43
	s_delay_alu instid0(VALU_DEP_3) | instskip(NEXT) | instid1(VALU_DEP_3)
	v_cndmask_b32_e64 v37, v37, v38, s3
	s_or_b32 s2, s2, s6
	s_delay_alu instid0(VALU_DEP_1) | instid1(SALU_CYCLE_1)
	v_cndmask_b32_e64 v37, v37, v42, s2
	v_cmp_o_f32_e64 s2, v41, v40
	s_delay_alu instid0(VALU_DEP_1) | instskip(NEXT) | instid1(VALU_DEP_1)
	v_cndmask_b32_e64 v37, 0x7fc00000, v37, s2
	v_cvt_f16_f32_e32 v39, v37
	v_add_co_u32 v37, s2, v5, s26
	s_delay_alu instid0(VALU_DEP_1)
	v_add_co_ci_u32_e64 v38, s2, s27, v6, s2
	global_store_b16 v[37:38], v39, off
	s_or_b32 exec_lo, exec_lo, s14
	s_and_saveexec_b32 s6, s1
	s_cbranch_execz .LBB155_18
.LBB155_22:                             ;   in Loop: Header=BB155_9 Depth=1
	s_waitcnt vmcnt(0)
	v_cvt_f32_f16_e32 v36, v36
	v_cmp_eq_f16_e64 s2, 1.0, v35
	v_cvt_f32_f16_e32 v39, v35
	s_delay_alu instid0(VALU_DEP_3) | instskip(NEXT) | instid1(VALU_DEP_1)
	v_mul_f32_e32 v37, s33, v36
	v_cndmask_b32_e64 v38, v37, 1.0, s2
	s_delay_alu instid0(VALU_DEP_1) | instskip(NEXT) | instid1(VALU_DEP_1)
	v_cmp_eq_f32_e64 s1, 0, v38
	v_cndmask_b32_e64 v40, |v39|, 1.0, s1
	v_cndmask_b32_e64 v39, v39, 1.0, s1
	s_delay_alu instid0(VALU_DEP_2) | instskip(SKIP_1) | instid1(VALU_DEP_2)
	v_frexp_mant_f32_e32 v35, v40
	v_cmp_gt_f32_e64 s4, 1.0, v40
	v_cmp_gt_f32_e64 s3, 0x3f2aaaab, v35
	s_delay_alu instid0(VALU_DEP_1) | instskip(NEXT) | instid1(VALU_DEP_1)
	v_cndmask_b32_e64 v36, 1.0, 2.0, s3
	v_mul_f32_e32 v35, v35, v36
	s_delay_alu instid0(VALU_DEP_1) | instskip(NEXT) | instid1(VALU_DEP_1)
	v_add_f32_e32 v36, 1.0, v35
	v_rcp_f32_e32 v41, v36
	v_add_f32_e32 v44, -1.0, v36
	s_delay_alu instid0(VALU_DEP_1) | instskip(SKIP_2) | instid1(VALU_DEP_1)
	v_dual_add_f32 v42, -1.0, v35 :: v_dual_sub_f32 v35, v35, v44
	s_waitcnt_depctr 0xfff
	v_mul_f32_e32 v43, v42, v41
	v_mul_f32_e32 v45, v36, v43
	s_delay_alu instid0(VALU_DEP_1) | instskip(NEXT) | instid1(VALU_DEP_1)
	v_fma_f32 v36, v43, v36, -v45
	v_fmac_f32_e32 v36, v43, v35
	s_delay_alu instid0(VALU_DEP_1) | instskip(NEXT) | instid1(VALU_DEP_1)
	v_add_f32_e32 v35, v45, v36
	v_dual_sub_f32 v44, v42, v35 :: v_dual_sub_f32 v45, v35, v45
	s_delay_alu instid0(VALU_DEP_1) | instskip(NEXT) | instid1(VALU_DEP_2)
	v_sub_f32_e32 v36, v45, v36
	v_sub_f32_e32 v42, v42, v44
	s_delay_alu instid0(VALU_DEP_1) | instskip(NEXT) | instid1(VALU_DEP_1)
	v_sub_f32_e32 v35, v42, v35
	v_add_f32_e32 v35, v36, v35
	s_delay_alu instid0(VALU_DEP_1) | instskip(NEXT) | instid1(VALU_DEP_1)
	v_add_f32_e32 v35, v44, v35
	v_mul_f32_e32 v35, v41, v35
	s_delay_alu instid0(VALU_DEP_1) | instskip(NEXT) | instid1(VALU_DEP_1)
	v_add_f32_e32 v41, v43, v35
	v_sub_f32_e32 v36, v41, v43
	v_mul_f32_e32 v42, v41, v41
	s_delay_alu instid0(VALU_DEP_1) | instskip(NEXT) | instid1(VALU_DEP_3)
	v_fma_f32 v44, v41, v41, -v42
	v_sub_f32_e32 v43, v35, v36
	s_delay_alu instid0(VALU_DEP_1) | instskip(NEXT) | instid1(VALU_DEP_1)
	v_add_f32_e32 v35, v43, v43
	v_fmac_f32_e32 v44, v41, v35
	v_cvt_f64_f32_e32 v[35:36], v40
	s_delay_alu instid0(VALU_DEP_2) | instskip(NEXT) | instid1(VALU_DEP_1)
	v_add_f32_e32 v45, v42, v44
	v_fmaak_f32 v46, s13, v45, 0x3e91f4c4
	v_sub_f32_e32 v42, v45, v42
	v_mul_f32_e32 v49, v41, v45
	s_delay_alu instid0(VALU_DEP_3) | instskip(NEXT) | instid1(VALU_DEP_3)
	v_fmaak_f32 v46, v45, v46, 0x3ecccdef
	v_sub_f32_e32 v42, v44, v42
	s_delay_alu instid0(VALU_DEP_2) | instskip(NEXT) | instid1(VALU_DEP_1)
	v_mul_f32_e32 v47, v45, v46
	v_fma_f32 v44, v45, v46, -v47
	s_delay_alu instid0(VALU_DEP_1) | instskip(NEXT) | instid1(VALU_DEP_1)
	v_fmac_f32_e32 v44, v42, v46
	v_add_f32_e32 v46, v47, v44
	v_frexp_exp_i32_f64_e32 v35, v[35:36]
	s_delay_alu instid0(VALU_DEP_2) | instskip(NEXT) | instid1(VALU_DEP_1)
	v_dual_sub_f32 v47, v46, v47 :: v_dual_add_f32 v48, 0x3f2aaaaa, v46
	v_sub_f32_e32 v36, v44, v47
	s_delay_alu instid0(VALU_DEP_2) | instskip(SKIP_1) | instid1(VALU_DEP_1)
	v_add_f32_e32 v44, 0xbf2aaaaa, v48
	v_fma_f32 v47, v45, v41, -v49
	v_dual_sub_f32 v44, v46, v44 :: v_dual_fmac_f32 v47, v45, v43
	v_ldexp_f32 v43, v43, 1
	s_delay_alu instid0(VALU_DEP_2) | instskip(NEXT) | instid1(VALU_DEP_1)
	v_dual_fmac_f32 v47, v42, v41 :: v_dual_add_f32 v36, 0x31739010, v36
	v_add_f32_e32 v36, v36, v44
	s_delay_alu instid0(VALU_DEP_2) | instskip(NEXT) | instid1(VALU_DEP_2)
	v_add_f32_e32 v44, v49, v47
	v_add_f32_e32 v42, v48, v36
	s_delay_alu instid0(VALU_DEP_1) | instskip(SKIP_1) | instid1(VALU_DEP_2)
	v_sub_f32_e32 v45, v48, v42
	v_subrev_co_ci_u32_e64 v35, s3, 0, v35, s3
	v_add_f32_e32 v36, v36, v45
	s_delay_alu instid0(VALU_DEP_2) | instskip(SKIP_1) | instid1(VALU_DEP_1)
	v_cvt_f32_i32_e32 v35, v35
	v_sub_f32_e32 v48, v44, v49
	v_dual_sub_f32 v47, v47, v48 :: v_dual_mul_f32 v46, v44, v42
	s_delay_alu instid0(VALU_DEP_1) | instskip(NEXT) | instid1(VALU_DEP_1)
	v_fma_f32 v45, v44, v42, -v46
	v_fmac_f32_e32 v45, v44, v36
	v_ldexp_f32 v36, v41, 1
	s_delay_alu instid0(VALU_DEP_2) | instskip(NEXT) | instid1(VALU_DEP_1)
	v_fmac_f32_e32 v45, v47, v42
	v_add_f32_e32 v41, v46, v45
	s_delay_alu instid0(VALU_DEP_1) | instskip(SKIP_2) | instid1(VALU_DEP_3)
	v_sub_f32_e32 v44, v41, v46
	v_mul_f32_e32 v46, 0x3f317218, v35
	v_add_f32_e32 v42, v36, v41
	v_sub_f32_e32 v44, v45, v44
	s_delay_alu instid0(VALU_DEP_3) | instskip(NEXT) | instid1(VALU_DEP_1)
	v_fma_f32 v45, 0x3f317218, v35, -v46
	v_dual_fmac_f32 v45, 0xb102e308, v35 :: v_dual_sub_f32 v36, v42, v36
	s_delay_alu instid0(VALU_DEP_1) | instskip(NEXT) | instid1(VALU_DEP_4)
	v_sub_f32_e32 v36, v41, v36
	v_add_f32_e32 v41, v43, v44
	s_delay_alu instid0(VALU_DEP_1) | instskip(NEXT) | instid1(VALU_DEP_1)
	v_dual_add_f32 v35, v41, v36 :: v_dual_add_f32 v36, v46, v45
	v_add_f32_e32 v41, v42, v35
	s_delay_alu instid0(VALU_DEP_1) | instskip(NEXT) | instid1(VALU_DEP_1)
	v_dual_add_f32 v43, v36, v41 :: v_dual_sub_f32 v42, v41, v42
	v_sub_f32_e32 v44, v43, v36
	s_delay_alu instid0(VALU_DEP_2) | instskip(NEXT) | instid1(VALU_DEP_2)
	v_sub_f32_e32 v35, v35, v42
	v_dual_sub_f32 v47, v43, v44 :: v_dual_sub_f32 v46, v36, v46
	s_delay_alu instid0(VALU_DEP_1) | instskip(NEXT) | instid1(VALU_DEP_2)
	v_dual_sub_f32 v41, v41, v44 :: v_dual_sub_f32 v36, v36, v47
	v_sub_f32_e32 v45, v45, v46
	s_delay_alu instid0(VALU_DEP_2) | instskip(NEXT) | instid1(VALU_DEP_2)
	v_add_f32_e32 v36, v41, v36
	v_add_f32_e32 v42, v45, v35
	s_delay_alu instid0(VALU_DEP_1) | instskip(NEXT) | instid1(VALU_DEP_1)
	v_sub_f32_e32 v41, v42, v45
	v_dual_add_f32 v36, v42, v36 :: v_dual_sub_f32 v35, v35, v41
	s_delay_alu instid0(VALU_DEP_1) | instskip(SKIP_1) | instid1(VALU_DEP_1)
	v_add_f32_e32 v44, v43, v36
	v_sub_f32_e32 v42, v42, v41
	v_dual_sub_f32 v41, v45, v42 :: v_dual_sub_f32 v42, v44, v43
	s_delay_alu instid0(VALU_DEP_1) | instskip(NEXT) | instid1(VALU_DEP_1)
	v_dual_add_f32 v35, v35, v41 :: v_dual_sub_f32 v36, v36, v42
	v_add_f32_e32 v35, v35, v36
	s_delay_alu instid0(VALU_DEP_1) | instskip(NEXT) | instid1(VALU_DEP_1)
	v_add_f32_e32 v36, v44, v35
	v_sub_f32_e32 v41, v36, v44
	s_delay_alu instid0(VALU_DEP_1) | instskip(NEXT) | instid1(VALU_DEP_1)
	v_dual_mul_f32 v42, v38, v36 :: v_dual_sub_f32 v35, v35, v41
	v_fma_f32 v36, v38, v36, -v42
	v_cmp_class_f32_e64 s3, v42, 0x204
	s_delay_alu instid0(VALU_DEP_2) | instskip(NEXT) | instid1(VALU_DEP_1)
	v_fmac_f32_e32 v36, v38, v35
	v_add_f32_e32 v35, v42, v36
	s_delay_alu instid0(VALU_DEP_1) | instskip(NEXT) | instid1(VALU_DEP_1)
	v_cndmask_b32_e64 v41, v35, v42, s3
	v_cmp_eq_f32_e64 s3, 0x42b17218, v41
	s_delay_alu instid0(VALU_DEP_1) | instskip(NEXT) | instid1(VALU_DEP_1)
	v_cndmask_b32_e64 v43, 0, 0x37000000, s3
	v_dual_sub_f32 v44, v41, v43 :: v_dual_sub_f32 v35, v35, v42
	s_delay_alu instid0(VALU_DEP_1) | instskip(NEXT) | instid1(VALU_DEP_2)
	v_mul_f32_e32 v45, 0x3fb8aa3b, v44
	v_sub_f32_e32 v35, v36, v35
	v_cndmask_b32_e64 v36, |v37|, 1.0, s2
	v_cmp_neq_f32_e64 s2, 0x7f800000, |v41|
	v_trunc_f32_e32 v41, v38
	v_fma_f32 v46, 0x3fb8aa3b, v44, -v45
	v_rndne_f32_e32 v47, v45
	v_cmp_neq_f32_e64 s1, v38, v36
	v_cndmask_b32_e64 v35, 0, v35, s2
	v_cmp_ngt_f32_e64 s2, 0xc2ce8ed0, v44
	s_delay_alu instid0(VALU_DEP_4) | instskip(SKIP_1) | instid1(VALU_DEP_4)
	v_dual_fmac_f32 v46, 0x32a5705f, v44 :: v_dual_sub_f32 v45, v45, v47
	v_cvt_i32_f32_e32 v42, v47
	v_add_f32_e32 v35, v43, v35
	s_xor_b32 s1, s1, s4
	v_cmp_eq_f32_e64 s4, 1.0, v40
	v_add_f32_e32 v45, v45, v46
	s_delay_alu instid0(VALU_DEP_1) | instskip(SKIP_3) | instid1(VALU_DEP_2)
	v_exp_f32_e32 v45, v45
	s_waitcnt_depctr 0xfff
	v_ldexp_f32 v37, v45, v42
	v_mul_f32_e32 v42, 0.5, v38
	v_cndmask_b32_e64 v37, 0, v37, s2
	v_cmp_nlt_f32_e64 s2, 0x42b17218, v44
	s_delay_alu instid0(VALU_DEP_3) | instskip(NEXT) | instid1(VALU_DEP_2)
	v_trunc_f32_e32 v45, v42
	v_cndmask_b32_e64 v37, 0x7f800000, v37, s2
	v_cmp_eq_f32_e64 s2, v41, v38
	s_delay_alu instid0(VALU_DEP_3) | instskip(NEXT) | instid1(VALU_DEP_3)
	v_cmp_neq_f32_e64 s3, v45, v42
	v_fma_f32 v35, v37, v35, v37
	v_cmp_class_f32_e64 s5, v37, 0x204
	s_delay_alu instid0(VALU_DEP_3) | instskip(NEXT) | instid1(SALU_CYCLE_1)
	s_and_b32 s3, s2, s3
	v_cndmask_b32_e64 v41, 1.0, v39, s3
	v_cndmask_b32_e64 v43, 0, v39, s3
	s_delay_alu instid0(VALU_DEP_3)
	v_cndmask_b32_e64 v35, v35, v37, s5
	v_cmp_gt_f32_e64 s5, 0, v38
	v_cndmask_b32_e64 v37, v36, 0, s1
	v_cmp_eq_f32_e64 s1, 0, v39
	v_cmp_eq_f32_e64 s3, 0x7f800000, v36
	v_bfi_b32 v35, 0x7fffffff, v35, v41
	s_delay_alu instid0(VALU_DEP_4) | instskip(NEXT) | instid1(VALU_DEP_2)
	v_cndmask_b32_e64 v37, v37, v40, s4
	v_cndmask_b32_e64 v41, 0x7fc00000, v35, s2
	s_xor_b32 s2, s5, s1
	s_delay_alu instid0(SALU_CYCLE_1) | instskip(SKIP_1) | instid1(VALU_DEP_1)
	v_cndmask_b32_e64 v42, 0x7f800000, 0, s2
	v_cmp_gt_f32_e64 s2, 0, v39
	v_cndmask_b32_e64 v35, v35, v41, s2
	v_cmp_eq_f32_e64 s2, 0x7f800000, v40
	s_delay_alu instid0(VALU_DEP_4) | instskip(NEXT) | instid1(VALU_DEP_3)
	v_bfi_b32 v40, 0x7fffffff, v42, v43
	v_cndmask_b32_e64 v35, v35, v37, s3
	s_delay_alu instid0(VALU_DEP_3)
	s_or_b32 s1, s2, s1
	s_delay_alu instid0(VALU_DEP_1) | instid1(SALU_CYCLE_1)
	v_cndmask_b32_e64 v35, v35, v40, s1
	v_cmp_o_f32_e64 s1, v39, v38
	s_delay_alu instid0(VALU_DEP_1) | instskip(NEXT) | instid1(VALU_DEP_1)
	v_cndmask_b32_e64 v35, 0x7fc00000, v35, s1
	v_cvt_f16_f32_e32 v37, v35
	v_add_co_u32 v35, s1, v29, s26
	s_delay_alu instid0(VALU_DEP_1)
	v_add_co_ci_u32_e64 v36, s1, s27, v30, s1
	global_store_b16 v[35:36], v37, off
	s_or_b32 exec_lo, exec_lo, s6
	s_and_saveexec_b32 s5, s0
	s_cbranch_execz .LBB155_19
.LBB155_23:                             ;   in Loop: Header=BB155_9 Depth=1
	s_waitcnt vmcnt(0)
	v_cvt_f32_f16_e32 v34, v34
	v_cmp_eq_f16_e64 s1, 1.0, v33
	v_cvt_f32_f16_e32 v37, v33
	s_delay_alu instid0(VALU_DEP_3) | instskip(NEXT) | instid1(VALU_DEP_1)
	v_mul_f32_e32 v35, s33, v34
	v_cndmask_b32_e64 v36, v35, 1.0, s1
	s_delay_alu instid0(VALU_DEP_1) | instskip(NEXT) | instid1(VALU_DEP_1)
	v_cmp_eq_f32_e64 s0, 0, v36
	v_cndmask_b32_e64 v38, |v37|, 1.0, s0
	v_cndmask_b32_e64 v37, v37, 1.0, s0
	s_delay_alu instid0(VALU_DEP_2) | instskip(SKIP_1) | instid1(VALU_DEP_2)
	v_frexp_mant_f32_e32 v33, v38
	v_cmp_gt_f32_e64 s3, 1.0, v38
	v_cmp_gt_f32_e64 s2, 0x3f2aaaab, v33
	s_delay_alu instid0(VALU_DEP_1) | instskip(NEXT) | instid1(VALU_DEP_1)
	v_cndmask_b32_e64 v34, 1.0, 2.0, s2
	v_mul_f32_e32 v33, v33, v34
	s_delay_alu instid0(VALU_DEP_1) | instskip(NEXT) | instid1(VALU_DEP_1)
	v_add_f32_e32 v34, 1.0, v33
	v_rcp_f32_e32 v39, v34
	v_add_f32_e32 v42, -1.0, v34
	s_delay_alu instid0(VALU_DEP_1) | instskip(SKIP_2) | instid1(VALU_DEP_1)
	v_dual_add_f32 v40, -1.0, v33 :: v_dual_sub_f32 v33, v33, v42
	s_waitcnt_depctr 0xfff
	v_mul_f32_e32 v41, v40, v39
	v_mul_f32_e32 v43, v34, v41
	s_delay_alu instid0(VALU_DEP_1) | instskip(NEXT) | instid1(VALU_DEP_1)
	v_fma_f32 v34, v41, v34, -v43
	v_fmac_f32_e32 v34, v41, v33
	s_delay_alu instid0(VALU_DEP_1) | instskip(NEXT) | instid1(VALU_DEP_1)
	v_add_f32_e32 v33, v43, v34
	v_dual_sub_f32 v42, v40, v33 :: v_dual_sub_f32 v43, v33, v43
	s_delay_alu instid0(VALU_DEP_1) | instskip(NEXT) | instid1(VALU_DEP_2)
	v_sub_f32_e32 v34, v43, v34
	v_sub_f32_e32 v40, v40, v42
	s_delay_alu instid0(VALU_DEP_1) | instskip(NEXT) | instid1(VALU_DEP_1)
	v_sub_f32_e32 v33, v40, v33
	v_add_f32_e32 v33, v34, v33
	s_delay_alu instid0(VALU_DEP_1) | instskip(NEXT) | instid1(VALU_DEP_1)
	v_add_f32_e32 v33, v42, v33
	v_mul_f32_e32 v33, v39, v33
	s_delay_alu instid0(VALU_DEP_1) | instskip(NEXT) | instid1(VALU_DEP_1)
	v_add_f32_e32 v39, v41, v33
	v_sub_f32_e32 v34, v39, v41
	v_mul_f32_e32 v40, v39, v39
	s_delay_alu instid0(VALU_DEP_1) | instskip(NEXT) | instid1(VALU_DEP_3)
	v_fma_f32 v42, v39, v39, -v40
	v_sub_f32_e32 v41, v33, v34
	s_delay_alu instid0(VALU_DEP_1) | instskip(NEXT) | instid1(VALU_DEP_1)
	v_add_f32_e32 v33, v41, v41
	v_fmac_f32_e32 v42, v39, v33
	v_cvt_f64_f32_e32 v[33:34], v38
	s_delay_alu instid0(VALU_DEP_2) | instskip(NEXT) | instid1(VALU_DEP_1)
	v_add_f32_e32 v43, v40, v42
	v_fmaak_f32 v44, s13, v43, 0x3e91f4c4
	v_sub_f32_e32 v40, v43, v40
	v_mul_f32_e32 v47, v39, v43
	s_delay_alu instid0(VALU_DEP_3) | instskip(NEXT) | instid1(VALU_DEP_3)
	v_fmaak_f32 v44, v43, v44, 0x3ecccdef
	v_sub_f32_e32 v40, v42, v40
	s_delay_alu instid0(VALU_DEP_2) | instskip(NEXT) | instid1(VALU_DEP_1)
	v_mul_f32_e32 v45, v43, v44
	v_fma_f32 v42, v43, v44, -v45
	s_delay_alu instid0(VALU_DEP_1) | instskip(NEXT) | instid1(VALU_DEP_1)
	v_fmac_f32_e32 v42, v40, v44
	v_add_f32_e32 v44, v45, v42
	v_frexp_exp_i32_f64_e32 v33, v[33:34]
	s_delay_alu instid0(VALU_DEP_2) | instskip(NEXT) | instid1(VALU_DEP_1)
	v_dual_sub_f32 v45, v44, v45 :: v_dual_add_f32 v46, 0x3f2aaaaa, v44
	v_sub_f32_e32 v34, v42, v45
	s_delay_alu instid0(VALU_DEP_2) | instskip(SKIP_1) | instid1(VALU_DEP_1)
	v_add_f32_e32 v42, 0xbf2aaaaa, v46
	v_fma_f32 v45, v43, v39, -v47
	v_dual_sub_f32 v42, v44, v42 :: v_dual_fmac_f32 v45, v43, v41
	v_ldexp_f32 v41, v41, 1
	s_delay_alu instid0(VALU_DEP_2) | instskip(NEXT) | instid1(VALU_DEP_1)
	v_dual_fmac_f32 v45, v40, v39 :: v_dual_add_f32 v34, 0x31739010, v34
	v_add_f32_e32 v34, v34, v42
	s_delay_alu instid0(VALU_DEP_2) | instskip(NEXT) | instid1(VALU_DEP_2)
	v_add_f32_e32 v42, v47, v45
	v_add_f32_e32 v40, v46, v34
	s_delay_alu instid0(VALU_DEP_1) | instskip(SKIP_1) | instid1(VALU_DEP_2)
	v_sub_f32_e32 v43, v46, v40
	v_subrev_co_ci_u32_e64 v33, s2, 0, v33, s2
	v_add_f32_e32 v34, v34, v43
	s_delay_alu instid0(VALU_DEP_2) | instskip(SKIP_1) | instid1(VALU_DEP_1)
	v_cvt_f32_i32_e32 v33, v33
	v_sub_f32_e32 v46, v42, v47
	v_dual_sub_f32 v45, v45, v46 :: v_dual_mul_f32 v44, v42, v40
	s_delay_alu instid0(VALU_DEP_1) | instskip(NEXT) | instid1(VALU_DEP_1)
	v_fma_f32 v43, v42, v40, -v44
	v_fmac_f32_e32 v43, v42, v34
	v_ldexp_f32 v34, v39, 1
	s_delay_alu instid0(VALU_DEP_2) | instskip(NEXT) | instid1(VALU_DEP_1)
	v_fmac_f32_e32 v43, v45, v40
	v_add_f32_e32 v39, v44, v43
	s_delay_alu instid0(VALU_DEP_1) | instskip(SKIP_2) | instid1(VALU_DEP_3)
	v_sub_f32_e32 v42, v39, v44
	v_mul_f32_e32 v44, 0x3f317218, v33
	v_add_f32_e32 v40, v34, v39
	v_sub_f32_e32 v42, v43, v42
	s_delay_alu instid0(VALU_DEP_3) | instskip(NEXT) | instid1(VALU_DEP_1)
	v_fma_f32 v43, 0x3f317218, v33, -v44
	v_dual_fmac_f32 v43, 0xb102e308, v33 :: v_dual_sub_f32 v34, v40, v34
	s_delay_alu instid0(VALU_DEP_1) | instskip(NEXT) | instid1(VALU_DEP_4)
	v_sub_f32_e32 v34, v39, v34
	v_add_f32_e32 v39, v41, v42
	s_delay_alu instid0(VALU_DEP_1) | instskip(NEXT) | instid1(VALU_DEP_1)
	v_dual_add_f32 v33, v39, v34 :: v_dual_add_f32 v34, v44, v43
	v_add_f32_e32 v39, v40, v33
	s_delay_alu instid0(VALU_DEP_1) | instskip(NEXT) | instid1(VALU_DEP_1)
	v_dual_add_f32 v41, v34, v39 :: v_dual_sub_f32 v40, v39, v40
	v_sub_f32_e32 v42, v41, v34
	s_delay_alu instid0(VALU_DEP_2) | instskip(NEXT) | instid1(VALU_DEP_2)
	v_sub_f32_e32 v33, v33, v40
	v_dual_sub_f32 v45, v41, v42 :: v_dual_sub_f32 v44, v34, v44
	s_delay_alu instid0(VALU_DEP_1) | instskip(NEXT) | instid1(VALU_DEP_2)
	v_dual_sub_f32 v39, v39, v42 :: v_dual_sub_f32 v34, v34, v45
	v_sub_f32_e32 v43, v43, v44
	s_delay_alu instid0(VALU_DEP_2) | instskip(NEXT) | instid1(VALU_DEP_2)
	v_add_f32_e32 v34, v39, v34
	v_add_f32_e32 v40, v43, v33
	s_delay_alu instid0(VALU_DEP_1) | instskip(NEXT) | instid1(VALU_DEP_1)
	v_sub_f32_e32 v39, v40, v43
	v_dual_add_f32 v34, v40, v34 :: v_dual_sub_f32 v33, v33, v39
	s_delay_alu instid0(VALU_DEP_1) | instskip(SKIP_1) | instid1(VALU_DEP_1)
	v_add_f32_e32 v42, v41, v34
	v_sub_f32_e32 v40, v40, v39
	v_dual_sub_f32 v39, v43, v40 :: v_dual_sub_f32 v40, v42, v41
	s_delay_alu instid0(VALU_DEP_1) | instskip(NEXT) | instid1(VALU_DEP_1)
	v_dual_add_f32 v33, v33, v39 :: v_dual_sub_f32 v34, v34, v40
	v_add_f32_e32 v33, v33, v34
	s_delay_alu instid0(VALU_DEP_1) | instskip(NEXT) | instid1(VALU_DEP_1)
	v_add_f32_e32 v34, v42, v33
	v_sub_f32_e32 v39, v34, v42
	s_delay_alu instid0(VALU_DEP_1) | instskip(NEXT) | instid1(VALU_DEP_1)
	v_dual_mul_f32 v40, v36, v34 :: v_dual_sub_f32 v33, v33, v39
	v_fma_f32 v34, v36, v34, -v40
	v_cmp_class_f32_e64 s2, v40, 0x204
	s_delay_alu instid0(VALU_DEP_2) | instskip(NEXT) | instid1(VALU_DEP_1)
	v_fmac_f32_e32 v34, v36, v33
	v_add_f32_e32 v33, v40, v34
	s_delay_alu instid0(VALU_DEP_1) | instskip(NEXT) | instid1(VALU_DEP_1)
	v_cndmask_b32_e64 v39, v33, v40, s2
	v_cmp_eq_f32_e64 s2, 0x42b17218, v39
	s_delay_alu instid0(VALU_DEP_1) | instskip(NEXT) | instid1(VALU_DEP_1)
	v_cndmask_b32_e64 v41, 0, 0x37000000, s2
	v_dual_sub_f32 v42, v39, v41 :: v_dual_sub_f32 v33, v33, v40
	s_delay_alu instid0(VALU_DEP_1) | instskip(NEXT) | instid1(VALU_DEP_2)
	v_mul_f32_e32 v43, 0x3fb8aa3b, v42
	v_sub_f32_e32 v33, v34, v33
	v_cndmask_b32_e64 v34, |v35|, 1.0, s1
	v_cmp_neq_f32_e64 s1, 0x7f800000, |v39|
	v_trunc_f32_e32 v39, v36
	v_fma_f32 v44, 0x3fb8aa3b, v42, -v43
	v_rndne_f32_e32 v45, v43
	v_cmp_neq_f32_e64 s0, v36, v34
	v_cndmask_b32_e64 v33, 0, v33, s1
	v_cmp_ngt_f32_e64 s1, 0xc2ce8ed0, v42
	s_delay_alu instid0(VALU_DEP_4) | instskip(SKIP_1) | instid1(VALU_DEP_4)
	v_dual_fmac_f32 v44, 0x32a5705f, v42 :: v_dual_sub_f32 v43, v43, v45
	v_cvt_i32_f32_e32 v40, v45
	v_add_f32_e32 v33, v41, v33
	s_xor_b32 s0, s0, s3
	v_cmp_eq_f32_e64 s3, 1.0, v38
	v_add_f32_e32 v43, v43, v44
	s_delay_alu instid0(VALU_DEP_1) | instskip(SKIP_3) | instid1(VALU_DEP_2)
	v_exp_f32_e32 v43, v43
	s_waitcnt_depctr 0xfff
	v_ldexp_f32 v35, v43, v40
	v_mul_f32_e32 v40, 0.5, v36
	v_cndmask_b32_e64 v35, 0, v35, s1
	v_cmp_nlt_f32_e64 s1, 0x42b17218, v42
	s_delay_alu instid0(VALU_DEP_3) | instskip(NEXT) | instid1(VALU_DEP_2)
	v_trunc_f32_e32 v43, v40
	v_cndmask_b32_e64 v35, 0x7f800000, v35, s1
	v_cmp_eq_f32_e64 s1, v39, v36
	s_delay_alu instid0(VALU_DEP_3) | instskip(NEXT) | instid1(VALU_DEP_3)
	v_cmp_neq_f32_e64 s2, v43, v40
	v_fma_f32 v33, v35, v33, v35
	v_cmp_class_f32_e64 s4, v35, 0x204
	s_delay_alu instid0(VALU_DEP_3) | instskip(NEXT) | instid1(SALU_CYCLE_1)
	s_and_b32 s2, s1, s2
	v_cndmask_b32_e64 v39, 1.0, v37, s2
	v_cndmask_b32_e64 v41, 0, v37, s2
	s_delay_alu instid0(VALU_DEP_3)
	v_cndmask_b32_e64 v33, v33, v35, s4
	v_cmp_gt_f32_e64 s4, 0, v36
	v_cndmask_b32_e64 v35, v34, 0, s0
	v_cmp_eq_f32_e64 s0, 0, v37
	v_cmp_eq_f32_e64 s2, 0x7f800000, v34
	v_bfi_b32 v33, 0x7fffffff, v33, v39
	s_delay_alu instid0(VALU_DEP_4) | instskip(NEXT) | instid1(VALU_DEP_2)
	v_cndmask_b32_e64 v35, v35, v38, s3
	v_cndmask_b32_e64 v39, 0x7fc00000, v33, s1
	s_xor_b32 s1, s4, s0
	s_delay_alu instid0(SALU_CYCLE_1) | instskip(SKIP_1) | instid1(VALU_DEP_1)
	v_cndmask_b32_e64 v40, 0x7f800000, 0, s1
	v_cmp_gt_f32_e64 s1, 0, v37
	v_cndmask_b32_e64 v33, v33, v39, s1
	v_cmp_eq_f32_e64 s1, 0x7f800000, v38
	s_delay_alu instid0(VALU_DEP_4) | instskip(NEXT) | instid1(VALU_DEP_3)
	v_bfi_b32 v38, 0x7fffffff, v40, v41
	v_cndmask_b32_e64 v33, v33, v35, s2
	s_delay_alu instid0(VALU_DEP_3)
	s_or_b32 s0, s1, s0
	s_delay_alu instid0(VALU_DEP_1) | instid1(SALU_CYCLE_1)
	v_cndmask_b32_e64 v33, v33, v38, s0
	v_cmp_o_f32_e64 s0, v37, v36
	s_delay_alu instid0(VALU_DEP_1) | instskip(NEXT) | instid1(VALU_DEP_1)
	v_cndmask_b32_e64 v33, 0x7fc00000, v33, s0
	v_cvt_f16_f32_e32 v35, v33
	v_add_co_u32 v33, s0, v20, s26
	s_delay_alu instid0(VALU_DEP_1)
	v_add_co_ci_u32_e64 v34, s0, s27, v21, s0
	global_store_b16 v[33:34], v35, off
	s_or_b32 exec_lo, exec_lo, s5
	s_and_saveexec_b32 s4, vcc_lo
	s_cbranch_execz .LBB155_8
.LBB155_24:                             ;   in Loop: Header=BB155_9 Depth=1
	s_waitcnt vmcnt(0)
	v_cvt_f32_f16_e32 v32, v32
	v_cmp_eq_f16_e64 s0, 1.0, v31
	v_cvt_f32_f16_e32 v35, v31
	s_delay_alu instid0(VALU_DEP_3) | instskip(NEXT) | instid1(VALU_DEP_1)
	v_mul_f32_e32 v33, s33, v32
	v_cndmask_b32_e64 v34, v33, 1.0, s0
	s_delay_alu instid0(VALU_DEP_1) | instskip(NEXT) | instid1(VALU_DEP_4)
	v_cmp_eq_f32_e32 vcc_lo, 0, v34
	v_cndmask_b32_e64 v36, |v35|, 1.0, vcc_lo
	v_cndmask_b32_e64 v35, v35, 1.0, vcc_lo
	s_delay_alu instid0(VALU_DEP_2) | instskip(SKIP_1) | instid1(VALU_DEP_2)
	v_frexp_mant_f32_e32 v31, v36
	v_cmp_gt_f32_e64 s2, 1.0, v36
	v_cmp_gt_f32_e64 s1, 0x3f2aaaab, v31
	s_delay_alu instid0(VALU_DEP_1) | instskip(NEXT) | instid1(VALU_DEP_1)
	v_cndmask_b32_e64 v32, 1.0, 2.0, s1
	v_mul_f32_e32 v31, v31, v32
	s_delay_alu instid0(VALU_DEP_1) | instskip(NEXT) | instid1(VALU_DEP_1)
	v_add_f32_e32 v32, 1.0, v31
	v_rcp_f32_e32 v37, v32
	v_add_f32_e32 v40, -1.0, v32
	s_delay_alu instid0(VALU_DEP_1) | instskip(SKIP_2) | instid1(VALU_DEP_1)
	v_dual_add_f32 v38, -1.0, v31 :: v_dual_sub_f32 v31, v31, v40
	s_waitcnt_depctr 0xfff
	v_mul_f32_e32 v39, v38, v37
	v_mul_f32_e32 v41, v32, v39
	s_delay_alu instid0(VALU_DEP_1) | instskip(NEXT) | instid1(VALU_DEP_1)
	v_fma_f32 v32, v39, v32, -v41
	v_fmac_f32_e32 v32, v39, v31
	s_delay_alu instid0(VALU_DEP_1) | instskip(NEXT) | instid1(VALU_DEP_1)
	v_add_f32_e32 v31, v41, v32
	v_dual_sub_f32 v40, v38, v31 :: v_dual_sub_f32 v41, v31, v41
	s_delay_alu instid0(VALU_DEP_1) | instskip(NEXT) | instid1(VALU_DEP_2)
	v_sub_f32_e32 v32, v41, v32
	v_sub_f32_e32 v38, v38, v40
	s_delay_alu instid0(VALU_DEP_1) | instskip(NEXT) | instid1(VALU_DEP_1)
	v_sub_f32_e32 v31, v38, v31
	v_add_f32_e32 v31, v32, v31
	s_delay_alu instid0(VALU_DEP_1) | instskip(NEXT) | instid1(VALU_DEP_1)
	v_add_f32_e32 v31, v40, v31
	v_mul_f32_e32 v31, v37, v31
	s_delay_alu instid0(VALU_DEP_1) | instskip(NEXT) | instid1(VALU_DEP_1)
	v_add_f32_e32 v37, v39, v31
	v_sub_f32_e32 v32, v37, v39
	v_mul_f32_e32 v38, v37, v37
	s_delay_alu instid0(VALU_DEP_1) | instskip(NEXT) | instid1(VALU_DEP_3)
	v_fma_f32 v40, v37, v37, -v38
	v_sub_f32_e32 v39, v31, v32
	s_delay_alu instid0(VALU_DEP_1) | instskip(NEXT) | instid1(VALU_DEP_1)
	v_add_f32_e32 v31, v39, v39
	v_fmac_f32_e32 v40, v37, v31
	v_cvt_f64_f32_e32 v[31:32], v36
	s_delay_alu instid0(VALU_DEP_2) | instskip(NEXT) | instid1(VALU_DEP_1)
	v_add_f32_e32 v41, v38, v40
	v_fmaak_f32 v42, s13, v41, 0x3e91f4c4
	v_sub_f32_e32 v38, v41, v38
	v_mul_f32_e32 v45, v37, v41
	s_delay_alu instid0(VALU_DEP_3) | instskip(NEXT) | instid1(VALU_DEP_3)
	v_fmaak_f32 v42, v41, v42, 0x3ecccdef
	v_sub_f32_e32 v38, v40, v38
	s_delay_alu instid0(VALU_DEP_2) | instskip(NEXT) | instid1(VALU_DEP_1)
	v_mul_f32_e32 v43, v41, v42
	v_fma_f32 v40, v41, v42, -v43
	s_delay_alu instid0(VALU_DEP_1) | instskip(NEXT) | instid1(VALU_DEP_1)
	v_fmac_f32_e32 v40, v38, v42
	v_add_f32_e32 v42, v43, v40
	v_frexp_exp_i32_f64_e32 v31, v[31:32]
	s_delay_alu instid0(VALU_DEP_2) | instskip(NEXT) | instid1(VALU_DEP_1)
	v_dual_sub_f32 v43, v42, v43 :: v_dual_add_f32 v44, 0x3f2aaaaa, v42
	v_sub_f32_e32 v32, v40, v43
	s_delay_alu instid0(VALU_DEP_2) | instskip(SKIP_1) | instid1(VALU_DEP_1)
	v_add_f32_e32 v40, 0xbf2aaaaa, v44
	v_fma_f32 v43, v41, v37, -v45
	v_dual_sub_f32 v40, v42, v40 :: v_dual_fmac_f32 v43, v41, v39
	v_ldexp_f32 v39, v39, 1
	s_delay_alu instid0(VALU_DEP_2) | instskip(NEXT) | instid1(VALU_DEP_1)
	v_dual_fmac_f32 v43, v38, v37 :: v_dual_add_f32 v32, 0x31739010, v32
	v_add_f32_e32 v32, v32, v40
	s_delay_alu instid0(VALU_DEP_2) | instskip(NEXT) | instid1(VALU_DEP_2)
	v_add_f32_e32 v40, v45, v43
	v_add_f32_e32 v38, v44, v32
	s_delay_alu instid0(VALU_DEP_1) | instskip(SKIP_1) | instid1(VALU_DEP_2)
	v_sub_f32_e32 v41, v44, v38
	v_subrev_co_ci_u32_e64 v31, s1, 0, v31, s1
	v_add_f32_e32 v32, v32, v41
	s_delay_alu instid0(VALU_DEP_2) | instskip(SKIP_1) | instid1(VALU_DEP_1)
	v_cvt_f32_i32_e32 v31, v31
	v_sub_f32_e32 v44, v40, v45
	v_dual_sub_f32 v43, v43, v44 :: v_dual_mul_f32 v42, v40, v38
	s_delay_alu instid0(VALU_DEP_1) | instskip(NEXT) | instid1(VALU_DEP_1)
	v_fma_f32 v41, v40, v38, -v42
	v_fmac_f32_e32 v41, v40, v32
	v_ldexp_f32 v32, v37, 1
	s_delay_alu instid0(VALU_DEP_2) | instskip(NEXT) | instid1(VALU_DEP_1)
	v_fmac_f32_e32 v41, v43, v38
	v_add_f32_e32 v37, v42, v41
	s_delay_alu instid0(VALU_DEP_1) | instskip(SKIP_2) | instid1(VALU_DEP_3)
	v_sub_f32_e32 v40, v37, v42
	v_mul_f32_e32 v42, 0x3f317218, v31
	v_add_f32_e32 v38, v32, v37
	v_sub_f32_e32 v40, v41, v40
	s_delay_alu instid0(VALU_DEP_3) | instskip(NEXT) | instid1(VALU_DEP_1)
	v_fma_f32 v41, 0x3f317218, v31, -v42
	v_dual_fmac_f32 v41, 0xb102e308, v31 :: v_dual_sub_f32 v32, v38, v32
	s_delay_alu instid0(VALU_DEP_1) | instskip(NEXT) | instid1(VALU_DEP_4)
	v_sub_f32_e32 v32, v37, v32
	v_add_f32_e32 v37, v39, v40
	s_delay_alu instid0(VALU_DEP_1) | instskip(NEXT) | instid1(VALU_DEP_1)
	v_dual_add_f32 v31, v37, v32 :: v_dual_add_f32 v32, v42, v41
	v_add_f32_e32 v37, v38, v31
	s_delay_alu instid0(VALU_DEP_1) | instskip(NEXT) | instid1(VALU_DEP_1)
	v_dual_add_f32 v39, v32, v37 :: v_dual_sub_f32 v38, v37, v38
	v_sub_f32_e32 v40, v39, v32
	s_delay_alu instid0(VALU_DEP_2) | instskip(NEXT) | instid1(VALU_DEP_2)
	v_sub_f32_e32 v31, v31, v38
	v_dual_sub_f32 v43, v39, v40 :: v_dual_sub_f32 v42, v32, v42
	s_delay_alu instid0(VALU_DEP_1) | instskip(NEXT) | instid1(VALU_DEP_2)
	v_dual_sub_f32 v37, v37, v40 :: v_dual_sub_f32 v32, v32, v43
	v_sub_f32_e32 v41, v41, v42
	s_delay_alu instid0(VALU_DEP_2) | instskip(NEXT) | instid1(VALU_DEP_2)
	v_add_f32_e32 v32, v37, v32
	v_add_f32_e32 v38, v41, v31
	s_delay_alu instid0(VALU_DEP_1) | instskip(NEXT) | instid1(VALU_DEP_1)
	v_sub_f32_e32 v37, v38, v41
	v_dual_add_f32 v32, v38, v32 :: v_dual_sub_f32 v31, v31, v37
	s_delay_alu instid0(VALU_DEP_1) | instskip(SKIP_1) | instid1(VALU_DEP_1)
	v_add_f32_e32 v40, v39, v32
	v_sub_f32_e32 v38, v38, v37
	v_dual_sub_f32 v37, v41, v38 :: v_dual_sub_f32 v38, v40, v39
	s_delay_alu instid0(VALU_DEP_1) | instskip(NEXT) | instid1(VALU_DEP_1)
	v_dual_add_f32 v31, v31, v37 :: v_dual_sub_f32 v32, v32, v38
	v_add_f32_e32 v31, v31, v32
	s_delay_alu instid0(VALU_DEP_1) | instskip(NEXT) | instid1(VALU_DEP_1)
	v_add_f32_e32 v32, v40, v31
	v_sub_f32_e32 v37, v32, v40
	s_delay_alu instid0(VALU_DEP_1) | instskip(NEXT) | instid1(VALU_DEP_1)
	v_dual_mul_f32 v38, v34, v32 :: v_dual_sub_f32 v31, v31, v37
	v_fma_f32 v32, v34, v32, -v38
	v_cmp_class_f32_e64 s1, v38, 0x204
	s_delay_alu instid0(VALU_DEP_2) | instskip(NEXT) | instid1(VALU_DEP_1)
	v_fmac_f32_e32 v32, v34, v31
	v_add_f32_e32 v31, v38, v32
	s_delay_alu instid0(VALU_DEP_1) | instskip(NEXT) | instid1(VALU_DEP_1)
	v_cndmask_b32_e64 v37, v31, v38, s1
	v_cmp_eq_f32_e64 s1, 0x42b17218, v37
	s_delay_alu instid0(VALU_DEP_1) | instskip(NEXT) | instid1(VALU_DEP_1)
	v_cndmask_b32_e64 v39, 0, 0x37000000, s1
	v_dual_sub_f32 v40, v37, v39 :: v_dual_sub_f32 v31, v31, v38
	s_delay_alu instid0(VALU_DEP_1) | instskip(NEXT) | instid1(VALU_DEP_2)
	v_mul_f32_e32 v41, 0x3fb8aa3b, v40
	v_sub_f32_e32 v31, v32, v31
	v_cndmask_b32_e64 v32, |v33|, 1.0, s0
	v_cmp_neq_f32_e64 s0, 0x7f800000, |v37|
	v_trunc_f32_e32 v37, v34
	v_fma_f32 v42, 0x3fb8aa3b, v40, -v41
	v_rndne_f32_e32 v43, v41
	v_cmp_neq_f32_e32 vcc_lo, v34, v32
	v_cndmask_b32_e64 v31, 0, v31, s0
	v_cmp_ngt_f32_e64 s0, 0xc2ce8ed0, v40
	s_delay_alu instid0(VALU_DEP_4) | instskip(SKIP_1) | instid1(VALU_DEP_4)
	v_dual_fmac_f32 v42, 0x32a5705f, v40 :: v_dual_sub_f32 v41, v41, v43
	v_cvt_i32_f32_e32 v38, v43
	v_add_f32_e32 v31, v39, v31
	s_xor_b32 s2, vcc_lo, s2
	v_cmp_eq_f32_e32 vcc_lo, 0, v35
	v_add_f32_e32 v41, v41, v42
	s_delay_alu instid0(VALU_DEP_1) | instskip(SKIP_3) | instid1(VALU_DEP_2)
	v_exp_f32_e32 v41, v41
	s_waitcnt_depctr 0xfff
	v_ldexp_f32 v33, v41, v38
	v_mul_f32_e32 v38, 0.5, v34
	v_cndmask_b32_e64 v33, 0, v33, s0
	v_cmp_nlt_f32_e64 s0, 0x42b17218, v40
	s_delay_alu instid0(VALU_DEP_3) | instskip(NEXT) | instid1(VALU_DEP_2)
	v_trunc_f32_e32 v41, v38
	v_cndmask_b32_e64 v33, 0x7f800000, v33, s0
	v_cmp_eq_f32_e64 s0, v37, v34
	s_delay_alu instid0(VALU_DEP_3) | instskip(NEXT) | instid1(VALU_DEP_3)
	v_cmp_neq_f32_e64 s1, v41, v38
	v_fma_f32 v31, v33, v31, v33
	v_cmp_class_f32_e64 s3, v33, 0x204
	s_delay_alu instid0(VALU_DEP_3) | instskip(NEXT) | instid1(SALU_CYCLE_1)
	s_and_b32 s1, s0, s1
	v_cndmask_b32_e64 v37, 1.0, v35, s1
	v_cndmask_b32_e64 v39, 0, v35, s1
	s_delay_alu instid0(VALU_DEP_3)
	v_cndmask_b32_e64 v31, v31, v33, s3
	v_cmp_gt_f32_e64 s3, 0, v34
	v_cndmask_b32_e64 v33, v32, 0, s2
	v_cmp_eq_f32_e64 s2, 1.0, v36
	v_cmp_eq_f32_e64 s1, 0x7f800000, v32
	v_bfi_b32 v31, 0x7fffffff, v31, v37
	s_delay_alu instid0(VALU_DEP_3) | instskip(NEXT) | instid1(VALU_DEP_2)
	v_cndmask_b32_e64 v33, v33, v36, s2
	v_cndmask_b32_e64 v37, 0x7fc00000, v31, s0
	s_xor_b32 s0, s3, vcc_lo
	s_delay_alu instid0(SALU_CYCLE_1) | instskip(SKIP_1) | instid1(VALU_DEP_1)
	v_cndmask_b32_e64 v38, 0x7f800000, 0, s0
	v_cmp_gt_f32_e64 s0, 0, v35
	v_cndmask_b32_e64 v31, v31, v37, s0
	v_cmp_eq_f32_e64 s0, 0x7f800000, v36
	s_delay_alu instid0(VALU_DEP_4) | instskip(NEXT) | instid1(VALU_DEP_3)
	v_bfi_b32 v36, 0x7fffffff, v38, v39
	v_cndmask_b32_e64 v31, v31, v33, s1
	s_delay_alu instid0(VALU_DEP_3) | instskip(NEXT) | instid1(VALU_DEP_1)
	s_or_b32 vcc_lo, s0, vcc_lo
	v_cndmask_b32_e32 v31, v31, v36, vcc_lo
	v_cmp_o_f32_e32 vcc_lo, v35, v34
	s_delay_alu instid0(VALU_DEP_2) | instskip(NEXT) | instid1(VALU_DEP_1)
	v_cndmask_b32_e32 v31, 0x7fc00000, v31, vcc_lo
	v_cvt_f16_f32_e32 v33, v31
	v_add_co_u32 v31, vcc_lo, v11, s26
	v_add_co_ci_u32_e32 v32, vcc_lo, s27, v12, vcc_lo
	global_store_b16 v[31:32], v33, off
	s_branch .LBB155_8
.LBB155_25:
	s_nop 0
	s_sendmsg sendmsg(MSG_DEALLOC_VGPRS)
	s_endpgm
	.section	.rodata,"a",@progbits
	.p2align	6, 0x0
	.amdhsa_kernel _ZN2at6native12_GLOBAL__N_125multi_tensor_apply_kernelINS1_18TensorListMetadataILi3EEENS1_24BinaryOpListAlphaFunctorIN3c104HalfELi3ELi2ELi2EEEJNS1_13power_functorIfEEfEEEvT_T0_DpT1_
		.amdhsa_group_segment_fixed_size 0
		.amdhsa_private_segment_fixed_size 0
		.amdhsa_kernarg_size 3408
		.amdhsa_user_sgpr_count 15
		.amdhsa_user_sgpr_dispatch_ptr 0
		.amdhsa_user_sgpr_queue_ptr 0
		.amdhsa_user_sgpr_kernarg_segment_ptr 1
		.amdhsa_user_sgpr_dispatch_id 0
		.amdhsa_user_sgpr_private_segment_size 0
		.amdhsa_wavefront_size32 1
		.amdhsa_uses_dynamic_stack 0
		.amdhsa_enable_private_segment 0
		.amdhsa_system_sgpr_workgroup_id_x 1
		.amdhsa_system_sgpr_workgroup_id_y 0
		.amdhsa_system_sgpr_workgroup_id_z 0
		.amdhsa_system_sgpr_workgroup_info 0
		.amdhsa_system_vgpr_workitem_id 0
		.amdhsa_next_free_vgpr 74
		.amdhsa_next_free_sgpr 50
		.amdhsa_reserve_vcc 1
		.amdhsa_float_round_mode_32 0
		.amdhsa_float_round_mode_16_64 0
		.amdhsa_float_denorm_mode_32 3
		.amdhsa_float_denorm_mode_16_64 3
		.amdhsa_dx10_clamp 1
		.amdhsa_ieee_mode 1
		.amdhsa_fp16_overflow 0
		.amdhsa_workgroup_processor_mode 1
		.amdhsa_memory_ordered 1
		.amdhsa_forward_progress 0
		.amdhsa_shared_vgpr_count 0
		.amdhsa_exception_fp_ieee_invalid_op 0
		.amdhsa_exception_fp_denorm_src 0
		.amdhsa_exception_fp_ieee_div_zero 0
		.amdhsa_exception_fp_ieee_overflow 0
		.amdhsa_exception_fp_ieee_underflow 0
		.amdhsa_exception_fp_ieee_inexact 0
		.amdhsa_exception_int_div_zero 0
	.end_amdhsa_kernel
	.section	.text._ZN2at6native12_GLOBAL__N_125multi_tensor_apply_kernelINS1_18TensorListMetadataILi3EEENS1_24BinaryOpListAlphaFunctorIN3c104HalfELi3ELi2ELi2EEEJNS1_13power_functorIfEEfEEEvT_T0_DpT1_,"axG",@progbits,_ZN2at6native12_GLOBAL__N_125multi_tensor_apply_kernelINS1_18TensorListMetadataILi3EEENS1_24BinaryOpListAlphaFunctorIN3c104HalfELi3ELi2ELi2EEEJNS1_13power_functorIfEEfEEEvT_T0_DpT1_,comdat
.Lfunc_end155:
	.size	_ZN2at6native12_GLOBAL__N_125multi_tensor_apply_kernelINS1_18TensorListMetadataILi3EEENS1_24BinaryOpListAlphaFunctorIN3c104HalfELi3ELi2ELi2EEEJNS1_13power_functorIfEEfEEEvT_T0_DpT1_, .Lfunc_end155-_ZN2at6native12_GLOBAL__N_125multi_tensor_apply_kernelINS1_18TensorListMetadataILi3EEENS1_24BinaryOpListAlphaFunctorIN3c104HalfELi3ELi2ELi2EEEJNS1_13power_functorIfEEfEEEvT_T0_DpT1_
                                        ; -- End function
	.section	.AMDGPU.csdata,"",@progbits
; Kernel info:
; codeLenInByte = 11044
; NumSgprs: 52
; NumVgprs: 74
; ScratchSize: 0
; MemoryBound: 0
; FloatMode: 240
; IeeeMode: 1
; LDSByteSize: 0 bytes/workgroup (compile time only)
; SGPRBlocks: 6
; VGPRBlocks: 9
; NumSGPRsForWavesPerEU: 52
; NumVGPRsForWavesPerEU: 74
; Occupancy: 16
; WaveLimiterHint : 0
; COMPUTE_PGM_RSRC2:SCRATCH_EN: 0
; COMPUTE_PGM_RSRC2:USER_SGPR: 15
; COMPUTE_PGM_RSRC2:TRAP_HANDLER: 0
; COMPUTE_PGM_RSRC2:TGID_X_EN: 1
; COMPUTE_PGM_RSRC2:TGID_Y_EN: 0
; COMPUTE_PGM_RSRC2:TGID_Z_EN: 0
; COMPUTE_PGM_RSRC2:TIDIG_COMP_CNT: 0
	.section	.text._ZN2at6native12_GLOBAL__N_125multi_tensor_apply_kernelINS1_18TensorListMetadataILi2EEENS1_14UnaryOpFunctorIhLi2ELi1ELi1EEEJNS0_4CopyIhhEEEEEvT_T0_DpT1_,"axG",@progbits,_ZN2at6native12_GLOBAL__N_125multi_tensor_apply_kernelINS1_18TensorListMetadataILi2EEENS1_14UnaryOpFunctorIhLi2ELi1ELi1EEEJNS0_4CopyIhhEEEEEvT_T0_DpT1_,comdat
	.globl	_ZN2at6native12_GLOBAL__N_125multi_tensor_apply_kernelINS1_18TensorListMetadataILi2EEENS1_14UnaryOpFunctorIhLi2ELi1ELi1EEEJNS0_4CopyIhhEEEEEvT_T0_DpT1_ ; -- Begin function _ZN2at6native12_GLOBAL__N_125multi_tensor_apply_kernelINS1_18TensorListMetadataILi2EEENS1_14UnaryOpFunctorIhLi2ELi1ELi1EEEJNS0_4CopyIhhEEEEEvT_T0_DpT1_
	.p2align	8
	.type	_ZN2at6native12_GLOBAL__N_125multi_tensor_apply_kernelINS1_18TensorListMetadataILi2EEENS1_14UnaryOpFunctorIhLi2ELi1ELi1EEEJNS0_4CopyIhhEEEEEvT_T0_DpT1_,@function
_ZN2at6native12_GLOBAL__N_125multi_tensor_apply_kernelINS1_18TensorListMetadataILi2EEENS1_14UnaryOpFunctorIhLi2ELi1ELi1EEEJNS0_4CopyIhhEEEEEvT_T0_DpT1_: ; @_ZN2at6native12_GLOBAL__N_125multi_tensor_apply_kernelINS1_18TensorListMetadataILi2EEENS1_14UnaryOpFunctorIhLi2ELi1ELi1EEEJNS0_4CopyIhhEEEEEvT_T0_DpT1_
; %bb.0:
	v_mov_b32_e32 v1, s15
	s_add_u32 s2, s0, s15
	s_mul_hi_u32 s3, s15, 3
	s_mul_i32 s15, s15, 3
	s_addc_u32 s4, s1, 0
	global_load_u8 v1, v1, s[0:1] offset:1536
	s_add_u32 s2, s2, s15
	s_addc_u32 s3, s4, s3
	s_load_b32 s2, s[2:3], 0x740
	s_waitcnt vmcnt(0)
	v_readfirstlane_b32 s5, v1
	s_delay_alu instid0(VALU_DEP_1)
	s_lshl_b32 s3, s5, 3
	s_clause 0x2
	s_load_b64 s[8:9], s[0:1], s3 offset:0x0
	s_load_b64 s[10:11], s[0:1], s3 offset:0x200
	s_load_b64 s[4:5], s[0:1], s3 offset:0x400
	s_waitcnt lgkmcnt(0)
	s_ashr_i32 s3, s2, 31
	s_delay_alu instid0(SALU_CYCLE_1) | instskip(NEXT) | instid1(SALU_CYCLE_1)
	s_lshl_b64 s[12:13], s[2:3], 16
	s_add_u32 s6, s8, s12
	s_addc_u32 s7, s9, s13
	s_add_u32 s3, s10, s12
	s_addc_u32 s14, s11, s13
	s_or_b64 s[16:17], s[4:5], s[6:7]
	s_delay_alu instid0(SALU_CYCLE_1) | instskip(NEXT) | instid1(SALU_CYCLE_1)
	s_or_b32 s2, s3, s16
	s_and_b32 s2, s2, 3
	s_sub_u32 s4, s4, s12
	s_subb_u32 s5, s5, s13
	s_cmp_eq_u32 s2, 0
	s_mov_b32 s2, -1
	s_cbranch_scc0 .LBB156_5
; %bb.1:
	v_dual_mov_b32 v2, 0 :: v_dual_lshlrev_b32 v1, 2, v0
	s_mov_b32 s15, exec_lo
	s_delay_alu instid0(VALU_DEP_1)
	v_cmpx_gt_i64_e64 s[4:5], v[1:2]
	s_cbranch_execz .LBB156_4
; %bb.2:
	s_load_b32 s2, s[0:1], 0xc5c
	s_mov_b32 s17, 0
	s_waitcnt lgkmcnt(0)
	s_and_b32 s2, s2, 0xffff
	s_delay_alu instid0(SALU_CYCLE_1)
	s_lshl_b32 s16, s2, 2
	.p2align	6
.LBB156_3:                              ; =>This Inner Loop Header: Depth=1
	v_add_co_u32 v3, vcc_lo, s6, v1
	v_add_co_ci_u32_e32 v4, vcc_lo, s7, v2, vcc_lo
	global_load_b32 v5, v[3:4], off
	v_add_co_u32 v3, vcc_lo, s3, v1
	v_add_co_ci_u32_e32 v4, vcc_lo, s14, v2, vcc_lo
	v_add_co_u32 v1, vcc_lo, s16, v1
	v_add_co_ci_u32_e32 v2, vcc_lo, 0, v2, vcc_lo
	s_delay_alu instid0(VALU_DEP_1) | instskip(SKIP_1) | instid1(VALU_DEP_1)
	v_cmp_le_i64_e32 vcc_lo, s[4:5], v[1:2]
	v_cmp_lt_u64_e64 s2, 0xffff, v[1:2]
	s_or_b32 s2, vcc_lo, s2
	s_delay_alu instid0(SALU_CYCLE_1) | instskip(NEXT) | instid1(SALU_CYCLE_1)
	s_and_b32 s2, exec_lo, s2
	s_or_b32 s17, s2, s17
	s_waitcnt vmcnt(0)
	global_store_b32 v[3:4], v5, off
	s_and_not1_b32 exec_lo, exec_lo, s17
	s_cbranch_execnz .LBB156_3
.LBB156_4:
	s_or_b32 exec_lo, exec_lo, s15
	s_mov_b32 s2, 0
.LBB156_5:
	s_delay_alu instid0(SALU_CYCLE_1)
	s_and_not1_b32 vcc_lo, exec_lo, s2
	s_cbranch_vccnz .LBB156_25
; %bb.6:
	v_cmp_lt_i64_e64 s2, s[4:5], 1
	s_delay_alu instid0(VALU_DEP_1)
	s_and_b32 vcc_lo, exec_lo, s2
	s_cbranch_vccnz .LBB156_25
; %bb.7:
	s_load_b32 s0, s[0:1], 0xc5c
	v_add_co_u32 v15, s1, s12, v0
	s_delay_alu instid0(VALU_DEP_1) | instskip(SKIP_1) | instid1(VALU_DEP_3)
	v_add_co_ci_u32_e64 v16, null, s13, 0, s1
	v_cmp_gt_u64_e64 s1, 0x10000, s[4:5]
	v_add_co_u32 v1, vcc_lo, s8, v15
	s_delay_alu instid0(VALU_DEP_3)
	v_add_co_ci_u32_e32 v2, vcc_lo, s9, v16, vcc_lo
	v_add_co_u32 v3, vcc_lo, s10, v15
	v_add_co_ci_u32_e32 v4, vcc_lo, s11, v16, vcc_lo
	s_waitcnt lgkmcnt(0)
	s_and_b32 s0, s0, 0xffff
	s_and_b32 s1, s1, exec_lo
	s_mul_i32 s2, s0, 3
	s_cselect_b32 s7, s5, 0
	s_cselect_b32 s6, s4, 0x10000
	s_lshl_b32 s1, s0, 1
	s_lshl_b32 s14, s0, 2
	s_add_u32 s3, s12, s2
	s_addc_u32 s15, s13, 0
	v_add_co_u32 v7, s3, s3, v0
	s_delay_alu instid0(VALU_DEP_1) | instskip(SKIP_1) | instid1(VALU_DEP_2)
	v_add_co_ci_u32_e64 v8, null, s15, 0, s3
	s_add_u32 s3, s12, s1
	v_add_co_u32 v5, vcc_lo, s8, v7
	s_addc_u32 s12, s13, 0
	v_add_co_u32 v13, s3, s3, v0
	v_add_co_ci_u32_e32 v6, vcc_lo, s9, v8, vcc_lo
	v_add_co_u32 v7, vcc_lo, s10, v7
	v_add_co_ci_u32_e64 v14, null, s12, 0, s3
	v_add_co_ci_u32_e32 v8, vcc_lo, s11, v8, vcc_lo
	v_add_co_u32 v11, vcc_lo, s8, v13
	s_delay_alu instid0(VALU_DEP_3)
	v_add_co_ci_u32_e32 v12, vcc_lo, s9, v14, vcc_lo
	v_add_co_u32 v13, vcc_lo, s10, v13
	v_add_co_ci_u32_e32 v14, vcc_lo, s11, v14, vcc_lo
	v_add_co_u32 v19, vcc_lo, v15, s0
	v_add_co_ci_u32_e32 v20, vcc_lo, 0, v16, vcc_lo
	v_add_co_u32 v9, s2, s2, v0
	s_delay_alu instid0(VALU_DEP_3) | instskip(NEXT) | instid1(VALU_DEP_3)
	v_add_co_u32 v17, vcc_lo, s8, v19
	v_add_co_ci_u32_e32 v18, vcc_lo, s9, v20, vcc_lo
	v_add_co_u32 v15, s1, s1, v0
	v_add_co_u32 v19, vcc_lo, s10, v19
	v_add_co_u32 v21, s0, v0, s0
	v_add_co_ci_u32_e64 v10, null, 0, 0, s2
	v_add_co_ci_u32_e64 v16, null, 0, 0, s1
	v_add_co_ci_u32_e32 v20, vcc_lo, s11, v20, vcc_lo
	v_add_co_ci_u32_e64 v22, null, 0, 0, s0
	s_mov_b64 s[8:9], 0
	s_branch .LBB156_9
.LBB156_8:                              ;   in Loop: Header=BB156_9 Depth=1
	s_or_b32 exec_lo, exec_lo, s0
	s_add_u32 s8, s8, s14
	s_addc_u32 s9, s9, 0
	s_delay_alu instid0(SALU_CYCLE_1) | instskip(SKIP_1) | instid1(VALU_DEP_1)
	v_cmp_ge_i64_e64 s0, s[8:9], s[4:5]
	v_cmp_lt_u64_e64 s1, 0xffff, s[8:9]
	s_or_b32 s0, s0, s1
	s_delay_alu instid0(SALU_CYCLE_1)
	s_and_b32 vcc_lo, exec_lo, s0
	s_cbranch_vccnz .LBB156_25
.LBB156_9:                              ; =>This Inner Loop Header: Depth=1
	s_waitcnt vmcnt(0)
	v_add_co_u32 v23, s0, v0, s8
	s_delay_alu instid0(VALU_DEP_1) | instskip(NEXT) | instid1(VALU_DEP_1)
	v_add_co_ci_u32_e64 v24, null, 0, s9, s0
	v_cmp_gt_u64_e32 vcc_lo, s[6:7], v[23:24]
	v_mov_b32_e32 v23, 0
	s_and_saveexec_b32 s1, vcc_lo
	s_cbranch_execz .LBB156_11
; %bb.10:                               ;   in Loop: Header=BB156_9 Depth=1
	v_add_co_u32 v23, s0, v1, s8
	s_delay_alu instid0(VALU_DEP_1)
	v_add_co_ci_u32_e64 v24, s0, s9, v2, s0
	global_load_u8 v23, v[23:24], off
.LBB156_11:                             ;   in Loop: Header=BB156_9 Depth=1
	s_or_b32 exec_lo, exec_lo, s1
	v_add_co_u32 v24, s0, v21, s8
	s_delay_alu instid0(VALU_DEP_1) | instskip(NEXT) | instid1(VALU_DEP_1)
	v_add_co_ci_u32_e64 v25, s0, s9, v22, s0
	v_cmp_gt_u64_e64 s0, s[6:7], v[24:25]
	v_mov_b32_e32 v25, 0
	s_delay_alu instid0(VALU_DEP_2)
	s_and_saveexec_b32 s2, s0
	s_cbranch_execz .LBB156_13
; %bb.12:                               ;   in Loop: Header=BB156_9 Depth=1
	v_add_co_u32 v24, s1, v17, s8
	s_delay_alu instid0(VALU_DEP_1)
	v_add_co_ci_u32_e64 v25, s1, s9, v18, s1
	global_load_u8 v25, v[24:25], off
.LBB156_13:                             ;   in Loop: Header=BB156_9 Depth=1
	s_or_b32 exec_lo, exec_lo, s2
	v_add_co_u32 v26, s1, v15, s8
	s_delay_alu instid0(VALU_DEP_1) | instskip(SKIP_1) | instid1(VALU_DEP_2)
	v_add_co_ci_u32_e64 v27, s1, s9, v16, s1
	v_mov_b32_e32 v24, 0
	v_cmp_gt_u64_e64 s1, s[6:7], v[26:27]
	v_mov_b32_e32 v26, 0
	s_delay_alu instid0(VALU_DEP_2)
	s_and_saveexec_b32 s3, s1
	s_cbranch_execz .LBB156_15
; %bb.14:                               ;   in Loop: Header=BB156_9 Depth=1
	v_add_co_u32 v26, s2, v11, s8
	s_delay_alu instid0(VALU_DEP_1)
	v_add_co_ci_u32_e64 v27, s2, s9, v12, s2
	global_load_u8 v26, v[26:27], off
.LBB156_15:                             ;   in Loop: Header=BB156_9 Depth=1
	s_or_b32 exec_lo, exec_lo, s3
	v_add_co_u32 v27, s2, v9, s8
	s_delay_alu instid0(VALU_DEP_1) | instskip(NEXT) | instid1(VALU_DEP_1)
	v_add_co_ci_u32_e64 v28, s2, s9, v10, s2
	v_cmp_gt_u64_e64 s2, s[6:7], v[27:28]
	s_delay_alu instid0(VALU_DEP_1)
	s_and_saveexec_b32 s10, s2
	s_cbranch_execnz .LBB156_20
; %bb.16:                               ;   in Loop: Header=BB156_9 Depth=1
	s_or_b32 exec_lo, exec_lo, s10
	s_and_saveexec_b32 s3, vcc_lo
	s_cbranch_execnz .LBB156_21
.LBB156_17:                             ;   in Loop: Header=BB156_9 Depth=1
	s_or_b32 exec_lo, exec_lo, s3
	s_and_saveexec_b32 s3, s0
	s_cbranch_execnz .LBB156_22
.LBB156_18:                             ;   in Loop: Header=BB156_9 Depth=1
	s_or_b32 exec_lo, exec_lo, s3
	s_and_saveexec_b32 s0, s1
	s_cbranch_execnz .LBB156_23
.LBB156_19:                             ;   in Loop: Header=BB156_9 Depth=1
	s_or_b32 exec_lo, exec_lo, s0
	s_and_saveexec_b32 s0, s2
	s_cbranch_execz .LBB156_8
	s_branch .LBB156_24
.LBB156_20:                             ;   in Loop: Header=BB156_9 Depth=1
	v_add_co_u32 v27, s3, v5, s8
	s_delay_alu instid0(VALU_DEP_1)
	v_add_co_ci_u32_e64 v28, s3, s9, v6, s3
	global_load_u8 v24, v[27:28], off
	s_or_b32 exec_lo, exec_lo, s10
	s_and_saveexec_b32 s3, vcc_lo
	s_cbranch_execz .LBB156_17
.LBB156_21:                             ;   in Loop: Header=BB156_9 Depth=1
	v_add_co_u32 v27, vcc_lo, v3, s8
	v_add_co_ci_u32_e32 v28, vcc_lo, s9, v4, vcc_lo
	s_waitcnt vmcnt(0)
	global_store_b8 v[27:28], v23, off
	s_or_b32 exec_lo, exec_lo, s3
	s_and_saveexec_b32 s3, s0
	s_cbranch_execz .LBB156_18
.LBB156_22:                             ;   in Loop: Header=BB156_9 Depth=1
	v_add_co_u32 v27, vcc_lo, v19, s8
	v_add_co_ci_u32_e32 v28, vcc_lo, s9, v20, vcc_lo
	s_waitcnt vmcnt(0)
	global_store_b8 v[27:28], v25, off
	s_or_b32 exec_lo, exec_lo, s3
	s_and_saveexec_b32 s0, s1
	s_cbranch_execz .LBB156_19
.LBB156_23:                             ;   in Loop: Header=BB156_9 Depth=1
	v_add_co_u32 v27, vcc_lo, v13, s8
	v_add_co_ci_u32_e32 v28, vcc_lo, s9, v14, vcc_lo
	s_waitcnt vmcnt(0)
	global_store_b8 v[27:28], v26, off
	s_or_b32 exec_lo, exec_lo, s0
	s_and_saveexec_b32 s0, s2
	s_cbranch_execz .LBB156_8
.LBB156_24:                             ;   in Loop: Header=BB156_9 Depth=1
	s_waitcnt vmcnt(0)
	v_add_co_u32 v25, vcc_lo, v7, s8
	v_add_co_ci_u32_e32 v26, vcc_lo, s9, v8, vcc_lo
	global_store_b8 v[25:26], v24, off
	s_branch .LBB156_8
.LBB156_25:
	s_nop 0
	s_sendmsg sendmsg(MSG_DEALLOC_VGPRS)
	s_endpgm
	.section	.rodata,"a",@progbits
	.p2align	6, 0x0
	.amdhsa_kernel _ZN2at6native12_GLOBAL__N_125multi_tensor_apply_kernelINS1_18TensorListMetadataILi2EEENS1_14UnaryOpFunctorIhLi2ELi1ELi1EEEJNS0_4CopyIhhEEEEEvT_T0_DpT1_
		.amdhsa_group_segment_fixed_size 0
		.amdhsa_private_segment_fixed_size 0
		.amdhsa_kernarg_size 3408
		.amdhsa_user_sgpr_count 15
		.amdhsa_user_sgpr_dispatch_ptr 0
		.amdhsa_user_sgpr_queue_ptr 0
		.amdhsa_user_sgpr_kernarg_segment_ptr 1
		.amdhsa_user_sgpr_dispatch_id 0
		.amdhsa_user_sgpr_private_segment_size 0
		.amdhsa_wavefront_size32 1
		.amdhsa_uses_dynamic_stack 0
		.amdhsa_enable_private_segment 0
		.amdhsa_system_sgpr_workgroup_id_x 1
		.amdhsa_system_sgpr_workgroup_id_y 0
		.amdhsa_system_sgpr_workgroup_id_z 0
		.amdhsa_system_sgpr_workgroup_info 0
		.amdhsa_system_vgpr_workitem_id 0
		.amdhsa_next_free_vgpr 29
		.amdhsa_next_free_sgpr 18
		.amdhsa_reserve_vcc 1
		.amdhsa_float_round_mode_32 0
		.amdhsa_float_round_mode_16_64 0
		.amdhsa_float_denorm_mode_32 3
		.amdhsa_float_denorm_mode_16_64 3
		.amdhsa_dx10_clamp 1
		.amdhsa_ieee_mode 1
		.amdhsa_fp16_overflow 0
		.amdhsa_workgroup_processor_mode 1
		.amdhsa_memory_ordered 1
		.amdhsa_forward_progress 0
		.amdhsa_shared_vgpr_count 0
		.amdhsa_exception_fp_ieee_invalid_op 0
		.amdhsa_exception_fp_denorm_src 0
		.amdhsa_exception_fp_ieee_div_zero 0
		.amdhsa_exception_fp_ieee_overflow 0
		.amdhsa_exception_fp_ieee_underflow 0
		.amdhsa_exception_fp_ieee_inexact 0
		.amdhsa_exception_int_div_zero 0
	.end_amdhsa_kernel
	.section	.text._ZN2at6native12_GLOBAL__N_125multi_tensor_apply_kernelINS1_18TensorListMetadataILi2EEENS1_14UnaryOpFunctorIhLi2ELi1ELi1EEEJNS0_4CopyIhhEEEEEvT_T0_DpT1_,"axG",@progbits,_ZN2at6native12_GLOBAL__N_125multi_tensor_apply_kernelINS1_18TensorListMetadataILi2EEENS1_14UnaryOpFunctorIhLi2ELi1ELi1EEEJNS0_4CopyIhhEEEEEvT_T0_DpT1_,comdat
.Lfunc_end156:
	.size	_ZN2at6native12_GLOBAL__N_125multi_tensor_apply_kernelINS1_18TensorListMetadataILi2EEENS1_14UnaryOpFunctorIhLi2ELi1ELi1EEEJNS0_4CopyIhhEEEEEvT_T0_DpT1_, .Lfunc_end156-_ZN2at6native12_GLOBAL__N_125multi_tensor_apply_kernelINS1_18TensorListMetadataILi2EEENS1_14UnaryOpFunctorIhLi2ELi1ELi1EEEJNS0_4CopyIhhEEEEEvT_T0_DpT1_
                                        ; -- End function
	.section	.AMDGPU.csdata,"",@progbits
; Kernel info:
; codeLenInByte = 1224
; NumSgprs: 20
; NumVgprs: 29
; ScratchSize: 0
; MemoryBound: 0
; FloatMode: 240
; IeeeMode: 1
; LDSByteSize: 0 bytes/workgroup (compile time only)
; SGPRBlocks: 2
; VGPRBlocks: 3
; NumSGPRsForWavesPerEU: 20
; NumVGPRsForWavesPerEU: 29
; Occupancy: 16
; WaveLimiterHint : 0
; COMPUTE_PGM_RSRC2:SCRATCH_EN: 0
; COMPUTE_PGM_RSRC2:USER_SGPR: 15
; COMPUTE_PGM_RSRC2:TRAP_HANDLER: 0
; COMPUTE_PGM_RSRC2:TGID_X_EN: 1
; COMPUTE_PGM_RSRC2:TGID_Y_EN: 0
; COMPUTE_PGM_RSRC2:TGID_Z_EN: 0
; COMPUTE_PGM_RSRC2:TIDIG_COMP_CNT: 0
	.section	.text._ZN2at6native12_GLOBAL__N_125multi_tensor_apply_kernelINS1_18TensorListMetadataILi2EEENS1_11CopyFunctorIhaLi2ELi1ELi1EEEJNS0_4CopyIhaEEEEEvT_T0_DpT1_,"axG",@progbits,_ZN2at6native12_GLOBAL__N_125multi_tensor_apply_kernelINS1_18TensorListMetadataILi2EEENS1_11CopyFunctorIhaLi2ELi1ELi1EEEJNS0_4CopyIhaEEEEEvT_T0_DpT1_,comdat
	.globl	_ZN2at6native12_GLOBAL__N_125multi_tensor_apply_kernelINS1_18TensorListMetadataILi2EEENS1_11CopyFunctorIhaLi2ELi1ELi1EEEJNS0_4CopyIhaEEEEEvT_T0_DpT1_ ; -- Begin function _ZN2at6native12_GLOBAL__N_125multi_tensor_apply_kernelINS1_18TensorListMetadataILi2EEENS1_11CopyFunctorIhaLi2ELi1ELi1EEEJNS0_4CopyIhaEEEEEvT_T0_DpT1_
	.p2align	8
	.type	_ZN2at6native12_GLOBAL__N_125multi_tensor_apply_kernelINS1_18TensorListMetadataILi2EEENS1_11CopyFunctorIhaLi2ELi1ELi1EEEJNS0_4CopyIhaEEEEEvT_T0_DpT1_,@function
_ZN2at6native12_GLOBAL__N_125multi_tensor_apply_kernelINS1_18TensorListMetadataILi2EEENS1_11CopyFunctorIhaLi2ELi1ELi1EEEJNS0_4CopyIhaEEEEEvT_T0_DpT1_: ; @_ZN2at6native12_GLOBAL__N_125multi_tensor_apply_kernelINS1_18TensorListMetadataILi2EEENS1_11CopyFunctorIhaLi2ELi1ELi1EEEJNS0_4CopyIhaEEEEEvT_T0_DpT1_
; %bb.0:
	v_mov_b32_e32 v1, s15
	s_add_u32 s2, s0, s15
	s_mul_i32 s4, s15, 3
	s_addc_u32 s3, s1, 0
	s_mul_hi_u32 s5, s15, 3
	global_load_u8 v1, v1, s[0:1] offset:1536
	s_add_u32 s2, s2, s4
	s_addc_u32 s3, s3, s5
	s_load_b32 s2, s[2:3], 0x740
	s_waitcnt vmcnt(0)
	v_readfirstlane_b32 s4, v1
	s_delay_alu instid0(VALU_DEP_1)
	s_lshl_b32 s3, s4, 3
	s_clause 0x2
	s_load_b64 s[6:7], s[0:1], s3 offset:0x0
	s_load_b64 s[8:9], s[0:1], s3 offset:0x200
	;; [unrolled: 1-line block ×3, first 2 shown]
	s_waitcnt lgkmcnt(0)
	s_ashr_i32 s3, s2, 31
	s_delay_alu instid0(SALU_CYCLE_1) | instskip(NEXT) | instid1(SALU_CYCLE_1)
	s_lshl_b64 s[10:11], s[2:3], 16
	s_add_u32 s3, s6, s10
	s_addc_u32 s14, s7, s11
	s_add_u32 s12, s8, s10
	s_addc_u32 s13, s9, s11
	s_delay_alu instid0(SALU_CYCLE_1) | instskip(NEXT) | instid1(SALU_CYCLE_1)
	s_or_b64 s[16:17], s[4:5], s[12:13]
	s_or_b32 s2, s3, s16
	s_delay_alu instid0(SALU_CYCLE_1)
	s_and_b32 s2, s2, 3
	s_sub_u32 s4, s4, s10
	s_subb_u32 s5, s5, s11
	s_cmp_eq_u32 s2, 0
	s_mov_b32 s2, -1
	s_cbranch_scc0 .LBB157_5
; %bb.1:
	v_dual_mov_b32 v2, 0 :: v_dual_lshlrev_b32 v1, 2, v0
	s_mov_b32 s15, exec_lo
	s_delay_alu instid0(VALU_DEP_1)
	v_cmpx_gt_i64_e64 s[4:5], v[1:2]
	s_cbranch_execz .LBB157_4
; %bb.2:
	s_load_b32 s2, s[0:1], 0xc5c
	s_mov_b32 s17, 0
	s_waitcnt lgkmcnt(0)
	s_and_b32 s2, s2, 0xffff
	s_delay_alu instid0(SALU_CYCLE_1)
	s_lshl_b32 s16, s2, 2
	.p2align	6
.LBB157_3:                              ; =>This Inner Loop Header: Depth=1
	v_add_co_u32 v3, vcc_lo, s3, v1
	v_add_co_ci_u32_e32 v4, vcc_lo, s14, v2, vcc_lo
	global_load_b32 v5, v[3:4], off
	v_add_co_u32 v3, vcc_lo, s12, v1
	v_add_co_ci_u32_e32 v4, vcc_lo, s13, v2, vcc_lo
	v_add_co_u32 v1, vcc_lo, s16, v1
	v_add_co_ci_u32_e32 v2, vcc_lo, 0, v2, vcc_lo
	s_delay_alu instid0(VALU_DEP_1) | instskip(SKIP_1) | instid1(VALU_DEP_1)
	v_cmp_le_i64_e32 vcc_lo, s[4:5], v[1:2]
	v_cmp_lt_u64_e64 s2, 0xffff, v[1:2]
	s_or_b32 s2, vcc_lo, s2
	s_delay_alu instid0(SALU_CYCLE_1) | instskip(NEXT) | instid1(SALU_CYCLE_1)
	s_and_b32 s2, exec_lo, s2
	s_or_b32 s17, s2, s17
	s_waitcnt vmcnt(0)
	global_store_b32 v[3:4], v5, off
	s_and_not1_b32 exec_lo, exec_lo, s17
	s_cbranch_execnz .LBB157_3
.LBB157_4:
	s_or_b32 exec_lo, exec_lo, s15
	s_mov_b32 s2, 0
.LBB157_5:
	s_delay_alu instid0(SALU_CYCLE_1)
	s_and_not1_b32 vcc_lo, exec_lo, s2
	s_cbranch_vccnz .LBB157_25
; %bb.6:
	v_cmp_lt_i64_e64 s2, s[4:5], 1
	s_delay_alu instid0(VALU_DEP_1)
	s_and_b32 vcc_lo, exec_lo, s2
	s_cbranch_vccnz .LBB157_25
; %bb.7:
	s_load_b32 s0, s[0:1], 0xc5c
	v_add_co_u32 v1, s1, s10, v0
	s_delay_alu instid0(VALU_DEP_1) | instskip(SKIP_1) | instid1(VALU_DEP_3)
	v_add_co_ci_u32_e64 v2, null, s11, 0, s1
	v_cmp_gt_u64_e64 s1, 0x10000, s[4:5]
	v_add_co_u32 v9, vcc_lo, s6, v1
	s_delay_alu instid0(VALU_DEP_3)
	v_add_co_ci_u32_e32 v10, vcc_lo, s7, v2, vcc_lo
	v_add_co_u32 v11, vcc_lo, s8, v1
	v_add_co_ci_u32_e32 v12, vcc_lo, s9, v2, vcc_lo
                                        ; implicit-def: $vgpr31
                                        ; implicit-def: $vgpr32
                                        ; implicit-def: $vgpr33
                                        ; implicit-def: $vgpr34
	s_waitcnt lgkmcnt(0)
	s_and_b32 s0, s0, 0xffff
	s_and_b32 s1, s1, exec_lo
	s_mul_i32 s13, s0, 3
	s_cselect_b32 s3, s5, 0
	s_cselect_b32 s2, s4, 0x10000
	s_lshl_b32 s12, s0, 1
	s_lshl_b32 s1, s0, 2
	s_add_u32 s14, s10, s13
	s_addc_u32 s15, s11, 0
	v_add_co_u32 v3, s14, s14, v0
	s_delay_alu instid0(VALU_DEP_1) | instskip(SKIP_1) | instid1(VALU_DEP_2)
	v_add_co_ci_u32_e64 v4, null, s15, 0, s14
	s_add_u32 s10, s10, s12
	v_add_co_u32 v13, vcc_lo, s6, v3
	s_delay_alu instid0(VALU_DEP_2)
	v_add_co_ci_u32_e32 v14, vcc_lo, s7, v4, vcc_lo
	v_add_co_u32 v15, vcc_lo, s8, v3
	s_addc_u32 s11, s11, 0
	v_add_co_u32 v3, s10, s10, v0
	v_add_co_ci_u32_e32 v16, vcc_lo, s9, v4, vcc_lo
	v_add_co_ci_u32_e64 v4, null, s11, 0, s10
	s_delay_alu instid0(VALU_DEP_3) | instskip(SKIP_1) | instid1(VALU_DEP_3)
	v_add_co_u32 v19, vcc_lo, s6, v3
	v_add_co_u32 v17, s10, s13, v0
	v_add_co_ci_u32_e32 v20, vcc_lo, s7, v4, vcc_lo
	v_add_co_u32 v21, vcc_lo, s8, v3
	v_add_co_ci_u32_e32 v22, vcc_lo, s9, v4, vcc_lo
	v_add_co_u32 v1, vcc_lo, v1, s0
	v_add_co_ci_u32_e32 v2, vcc_lo, 0, v2, vcc_lo
	v_add_co_ci_u32_e64 v18, null, 0, 0, s10
	s_delay_alu instid0(VALU_DEP_3) | instskip(NEXT) | instid1(VALU_DEP_3)
	v_add_co_u32 v25, vcc_lo, s6, v1
	v_add_co_ci_u32_e32 v26, vcc_lo, s7, v2, vcc_lo
	v_add_co_u32 v23, s10, s12, v0
	v_add_co_u32 v27, vcc_lo, s8, v1
	v_add_co_u32 v29, s0, v0, s0
	v_add_co_ci_u32_e64 v24, null, 0, 0, s10
	v_add_co_ci_u32_e32 v28, vcc_lo, s9, v2, vcc_lo
	v_add_co_ci_u32_e64 v30, null, 0, 0, s0
	s_mov_b64 s[6:7], 0
	s_branch .LBB157_9
.LBB157_8:                              ;   in Loop: Header=BB157_9 Depth=1
	s_or_b32 exec_lo, exec_lo, s0
	s_add_u32 s6, s6, s1
	s_addc_u32 s7, s7, 0
	s_delay_alu instid0(SALU_CYCLE_1) | instskip(SKIP_1) | instid1(VALU_DEP_1)
	v_cmp_ge_i64_e64 s0, s[6:7], s[4:5]
	v_cmp_lt_u64_e64 s8, 0xffff, s[6:7]
	s_or_b32 s0, s0, s8
	s_delay_alu instid0(SALU_CYCLE_1)
	s_and_b32 vcc_lo, exec_lo, s0
	s_cbranch_vccnz .LBB157_25
.LBB157_9:                              ; =>This Inner Loop Header: Depth=1
	v_add_co_u32 v1, s0, v0, s6
	s_delay_alu instid0(VALU_DEP_1) | instskip(NEXT) | instid1(VALU_DEP_1)
	v_add_co_ci_u32_e64 v2, null, 0, s7, s0
	v_cmp_gt_i64_e32 vcc_lo, s[4:5], v[1:2]
	v_cmp_gt_u64_e64 s0, 0x10000, v[1:2]
	s_delay_alu instid0(VALU_DEP_1) | instskip(NEXT) | instid1(SALU_CYCLE_1)
	s_and_b32 s8, vcc_lo, s0
	s_and_saveexec_b32 s0, s8
	s_cbranch_execz .LBB157_11
; %bb.10:                               ;   in Loop: Header=BB157_9 Depth=1
	v_add_co_u32 v3, vcc_lo, v9, s6
	v_add_co_ci_u32_e32 v4, vcc_lo, s7, v10, vcc_lo
	global_load_u8 v31, v[3:4], off
.LBB157_11:                             ;   in Loop: Header=BB157_9 Depth=1
	s_or_b32 exec_lo, exec_lo, s0
	v_add_co_u32 v3, vcc_lo, v29, s6
	v_add_co_ci_u32_e32 v4, vcc_lo, s7, v30, vcc_lo
	s_delay_alu instid0(VALU_DEP_1) | instskip(SKIP_1) | instid1(VALU_DEP_1)
	v_cmp_gt_i64_e32 vcc_lo, s[4:5], v[3:4]
	v_cmp_gt_u64_e64 s0, 0x10000, v[3:4]
	s_and_b32 s8, vcc_lo, s0
	s_delay_alu instid0(SALU_CYCLE_1)
	s_and_saveexec_b32 s0, s8
	s_cbranch_execz .LBB157_13
; %bb.12:                               ;   in Loop: Header=BB157_9 Depth=1
	v_add_co_u32 v5, vcc_lo, v25, s6
	v_add_co_ci_u32_e32 v6, vcc_lo, s7, v26, vcc_lo
	global_load_u8 v32, v[5:6], off
.LBB157_13:                             ;   in Loop: Header=BB157_9 Depth=1
	s_or_b32 exec_lo, exec_lo, s0
	v_add_co_u32 v5, vcc_lo, v23, s6
	v_add_co_ci_u32_e32 v6, vcc_lo, s7, v24, vcc_lo
	s_delay_alu instid0(VALU_DEP_1) | instskip(SKIP_1) | instid1(VALU_DEP_1)
	v_cmp_gt_i64_e32 vcc_lo, s[4:5], v[5:6]
	v_cmp_gt_u64_e64 s0, 0x10000, v[5:6]
	s_and_b32 s8, vcc_lo, s0
	s_delay_alu instid0(SALU_CYCLE_1)
	;; [unrolled: 15-line block ×3, first 2 shown]
	s_and_saveexec_b32 s0, s8
	s_cbranch_execnz .LBB157_20
; %bb.16:                               ;   in Loop: Header=BB157_9 Depth=1
	s_or_b32 exec_lo, exec_lo, s0
	s_delay_alu instid0(SALU_CYCLE_1)
	s_mov_b32 s0, exec_lo
	v_cmpx_gt_u64_e64 s[2:3], v[1:2]
	s_cbranch_execnz .LBB157_21
.LBB157_17:                             ;   in Loop: Header=BB157_9 Depth=1
	s_or_b32 exec_lo, exec_lo, s0
	s_delay_alu instid0(SALU_CYCLE_1)
	s_mov_b32 s0, exec_lo
	v_cmpx_gt_u64_e64 s[2:3], v[3:4]
	s_cbranch_execnz .LBB157_22
.LBB157_18:                             ;   in Loop: Header=BB157_9 Depth=1
	s_or_b32 exec_lo, exec_lo, s0
	s_delay_alu instid0(SALU_CYCLE_1)
	s_mov_b32 s0, exec_lo
	v_cmpx_gt_u64_e64 s[2:3], v[5:6]
	s_cbranch_execnz .LBB157_23
.LBB157_19:                             ;   in Loop: Header=BB157_9 Depth=1
	s_or_b32 exec_lo, exec_lo, s0
	s_delay_alu instid0(SALU_CYCLE_1)
	s_mov_b32 s0, exec_lo
	v_cmpx_gt_u64_e64 s[2:3], v[7:8]
	s_cbranch_execz .LBB157_8
	s_branch .LBB157_24
.LBB157_20:                             ;   in Loop: Header=BB157_9 Depth=1
	s_waitcnt vmcnt(0)
	v_add_co_u32 v34, vcc_lo, v13, s6
	v_add_co_ci_u32_e32 v35, vcc_lo, s7, v14, vcc_lo
	global_load_u8 v34, v[34:35], off
	s_or_b32 exec_lo, exec_lo, s0
	s_delay_alu instid0(SALU_CYCLE_1)
	s_mov_b32 s0, exec_lo
	v_cmpx_gt_u64_e64 s[2:3], v[1:2]
	s_cbranch_execz .LBB157_17
.LBB157_21:                             ;   in Loop: Header=BB157_9 Depth=1
	v_add_co_u32 v1, vcc_lo, v11, s6
	v_add_co_ci_u32_e32 v2, vcc_lo, s7, v12, vcc_lo
	s_waitcnt vmcnt(0)
	global_store_b8 v[1:2], v31, off
	s_or_b32 exec_lo, exec_lo, s0
	s_delay_alu instid0(SALU_CYCLE_1)
	s_mov_b32 s0, exec_lo
	v_cmpx_gt_u64_e64 s[2:3], v[3:4]
	s_cbranch_execz .LBB157_18
.LBB157_22:                             ;   in Loop: Header=BB157_9 Depth=1
	v_add_co_u32 v1, vcc_lo, v27, s6
	v_add_co_ci_u32_e32 v2, vcc_lo, s7, v28, vcc_lo
	s_waitcnt vmcnt(0)
	global_store_b8 v[1:2], v32, off
	s_or_b32 exec_lo, exec_lo, s0
	s_delay_alu instid0(SALU_CYCLE_1)
	s_mov_b32 s0, exec_lo
	v_cmpx_gt_u64_e64 s[2:3], v[5:6]
	s_cbranch_execz .LBB157_19
.LBB157_23:                             ;   in Loop: Header=BB157_9 Depth=1
	v_add_co_u32 v1, vcc_lo, v21, s6
	v_add_co_ci_u32_e32 v2, vcc_lo, s7, v22, vcc_lo
	s_waitcnt vmcnt(0)
	global_store_b8 v[1:2], v33, off
	s_or_b32 exec_lo, exec_lo, s0
	s_delay_alu instid0(SALU_CYCLE_1)
	s_mov_b32 s0, exec_lo
	v_cmpx_gt_u64_e64 s[2:3], v[7:8]
	s_cbranch_execz .LBB157_8
.LBB157_24:                             ;   in Loop: Header=BB157_9 Depth=1
	v_add_co_u32 v1, vcc_lo, v15, s6
	v_add_co_ci_u32_e32 v2, vcc_lo, s7, v16, vcc_lo
	s_waitcnt vmcnt(0)
	global_store_b8 v[1:2], v34, off
	s_branch .LBB157_8
.LBB157_25:
	s_nop 0
	s_sendmsg sendmsg(MSG_DEALLOC_VGPRS)
	s_endpgm
	.section	.rodata,"a",@progbits
	.p2align	6, 0x0
	.amdhsa_kernel _ZN2at6native12_GLOBAL__N_125multi_tensor_apply_kernelINS1_18TensorListMetadataILi2EEENS1_11CopyFunctorIhaLi2ELi1ELi1EEEJNS0_4CopyIhaEEEEEvT_T0_DpT1_
		.amdhsa_group_segment_fixed_size 0
		.amdhsa_private_segment_fixed_size 0
		.amdhsa_kernarg_size 3408
		.amdhsa_user_sgpr_count 15
		.amdhsa_user_sgpr_dispatch_ptr 0
		.amdhsa_user_sgpr_queue_ptr 0
		.amdhsa_user_sgpr_kernarg_segment_ptr 1
		.amdhsa_user_sgpr_dispatch_id 0
		.amdhsa_user_sgpr_private_segment_size 0
		.amdhsa_wavefront_size32 1
		.amdhsa_uses_dynamic_stack 0
		.amdhsa_enable_private_segment 0
		.amdhsa_system_sgpr_workgroup_id_x 1
		.amdhsa_system_sgpr_workgroup_id_y 0
		.amdhsa_system_sgpr_workgroup_id_z 0
		.amdhsa_system_sgpr_workgroup_info 0
		.amdhsa_system_vgpr_workitem_id 0
		.amdhsa_next_free_vgpr 36
		.amdhsa_next_free_sgpr 18
		.amdhsa_reserve_vcc 1
		.amdhsa_float_round_mode_32 0
		.amdhsa_float_round_mode_16_64 0
		.amdhsa_float_denorm_mode_32 3
		.amdhsa_float_denorm_mode_16_64 3
		.amdhsa_dx10_clamp 1
		.amdhsa_ieee_mode 1
		.amdhsa_fp16_overflow 0
		.amdhsa_workgroup_processor_mode 1
		.amdhsa_memory_ordered 1
		.amdhsa_forward_progress 0
		.amdhsa_shared_vgpr_count 0
		.amdhsa_exception_fp_ieee_invalid_op 0
		.amdhsa_exception_fp_denorm_src 0
		.amdhsa_exception_fp_ieee_div_zero 0
		.amdhsa_exception_fp_ieee_overflow 0
		.amdhsa_exception_fp_ieee_underflow 0
		.amdhsa_exception_fp_ieee_inexact 0
		.amdhsa_exception_int_div_zero 0
	.end_amdhsa_kernel
	.section	.text._ZN2at6native12_GLOBAL__N_125multi_tensor_apply_kernelINS1_18TensorListMetadataILi2EEENS1_11CopyFunctorIhaLi2ELi1ELi1EEEJNS0_4CopyIhaEEEEEvT_T0_DpT1_,"axG",@progbits,_ZN2at6native12_GLOBAL__N_125multi_tensor_apply_kernelINS1_18TensorListMetadataILi2EEENS1_11CopyFunctorIhaLi2ELi1ELi1EEEJNS0_4CopyIhaEEEEEvT_T0_DpT1_,comdat
.Lfunc_end157:
	.size	_ZN2at6native12_GLOBAL__N_125multi_tensor_apply_kernelINS1_18TensorListMetadataILi2EEENS1_11CopyFunctorIhaLi2ELi1ELi1EEEJNS0_4CopyIhaEEEEEvT_T0_DpT1_, .Lfunc_end157-_ZN2at6native12_GLOBAL__N_125multi_tensor_apply_kernelINS1_18TensorListMetadataILi2EEENS1_11CopyFunctorIhaLi2ELi1ELi1EEEJNS0_4CopyIhaEEEEEvT_T0_DpT1_
                                        ; -- End function
	.section	.AMDGPU.csdata,"",@progbits
; Kernel info:
; codeLenInByte = 1324
; NumSgprs: 20
; NumVgprs: 36
; ScratchSize: 0
; MemoryBound: 0
; FloatMode: 240
; IeeeMode: 1
; LDSByteSize: 0 bytes/workgroup (compile time only)
; SGPRBlocks: 2
; VGPRBlocks: 4
; NumSGPRsForWavesPerEU: 20
; NumVGPRsForWavesPerEU: 36
; Occupancy: 16
; WaveLimiterHint : 0
; COMPUTE_PGM_RSRC2:SCRATCH_EN: 0
; COMPUTE_PGM_RSRC2:USER_SGPR: 15
; COMPUTE_PGM_RSRC2:TRAP_HANDLER: 0
; COMPUTE_PGM_RSRC2:TGID_X_EN: 1
; COMPUTE_PGM_RSRC2:TGID_Y_EN: 0
; COMPUTE_PGM_RSRC2:TGID_Z_EN: 0
; COMPUTE_PGM_RSRC2:TIDIG_COMP_CNT: 0
	.section	.text._ZN2at6native12_GLOBAL__N_125multi_tensor_apply_kernelINS1_18TensorListMetadataILi2EEENS1_11CopyFunctorIhlLi2ELi1ELi1EEEJNS0_4CopyIhlEEEEEvT_T0_DpT1_,"axG",@progbits,_ZN2at6native12_GLOBAL__N_125multi_tensor_apply_kernelINS1_18TensorListMetadataILi2EEENS1_11CopyFunctorIhlLi2ELi1ELi1EEEJNS0_4CopyIhlEEEEEvT_T0_DpT1_,comdat
	.globl	_ZN2at6native12_GLOBAL__N_125multi_tensor_apply_kernelINS1_18TensorListMetadataILi2EEENS1_11CopyFunctorIhlLi2ELi1ELi1EEEJNS0_4CopyIhlEEEEEvT_T0_DpT1_ ; -- Begin function _ZN2at6native12_GLOBAL__N_125multi_tensor_apply_kernelINS1_18TensorListMetadataILi2EEENS1_11CopyFunctorIhlLi2ELi1ELi1EEEJNS0_4CopyIhlEEEEEvT_T0_DpT1_
	.p2align	8
	.type	_ZN2at6native12_GLOBAL__N_125multi_tensor_apply_kernelINS1_18TensorListMetadataILi2EEENS1_11CopyFunctorIhlLi2ELi1ELi1EEEJNS0_4CopyIhlEEEEEvT_T0_DpT1_,@function
_ZN2at6native12_GLOBAL__N_125multi_tensor_apply_kernelINS1_18TensorListMetadataILi2EEENS1_11CopyFunctorIhlLi2ELi1ELi1EEEJNS0_4CopyIhlEEEEEvT_T0_DpT1_: ; @_ZN2at6native12_GLOBAL__N_125multi_tensor_apply_kernelINS1_18TensorListMetadataILi2EEENS1_11CopyFunctorIhlLi2ELi1ELi1EEEJNS0_4CopyIhlEEEEEvT_T0_DpT1_
; %bb.0:
	v_mov_b32_e32 v1, s15
	s_add_u32 s2, s0, s15
	s_mul_i32 s4, s15, 3
	s_addc_u32 s3, s1, 0
	s_mul_hi_u32 s5, s15, 3
	global_load_u8 v1, v1, s[0:1] offset:1536
	s_add_u32 s2, s2, s4
	s_addc_u32 s3, s3, s5
	s_mov_b32 s17, 0
	s_load_b32 s10, s[2:3], 0x740
	s_waitcnt lgkmcnt(0)
	s_ashr_i32 s11, s10, 31
	s_delay_alu instid0(SALU_CYCLE_1) | instskip(SKIP_2) | instid1(VALU_DEP_1)
	s_lshl_b64 s[8:9], s[10:11], 16
	s_waitcnt vmcnt(0)
	v_readfirstlane_b32 s4, v1
	s_lshl_b32 s4, s4, 3
	s_clause 0x2
	s_load_b64 s[6:7], s[0:1], s4 offset:0x200
	s_load_b64 s[2:3], s[0:1], s4 offset:0x400
	;; [unrolled: 1-line block ×3, first 2 shown]
	s_waitcnt lgkmcnt(0)
	s_add_u32 s14, s6, s8
	s_addc_u32 s15, s7, s9
	s_delay_alu instid0(SALU_CYCLE_1) | instskip(SKIP_2) | instid1(SALU_CYCLE_1)
	s_or_b64 s[4:5], s[2:3], s[14:15]
	s_and_b32 s5, s12, 31
	s_and_b32 s4, s4, 3
	s_or_b32 s16, s4, s5
	s_sub_u32 s4, s2, s8
	s_subb_u32 s5, s3, s9
	s_cmp_eq_u64 s[16:17], 0
	s_mov_b32 s2, -1
	s_cbranch_scc0 .LBB158_5
; %bb.1:
	v_dual_mov_b32 v2, 0 :: v_dual_lshlrev_b32 v1, 2, v0
	s_mov_b32 s16, exec_lo
	s_delay_alu instid0(VALU_DEP_1)
	v_cmpx_gt_i64_e64 s[4:5], v[1:2]
	s_cbranch_execz .LBB158_4
; %bb.2:
	s_load_b32 s17, s[0:1], 0xc5c
	v_lshlrev_b32_e32 v3, 5, v0
	s_lshl_b64 s[2:3], s[10:11], 19
	s_mov_b32 s18, 0
	s_waitcnt lgkmcnt(0)
	s_and_b32 s19, s17, 0xffff
	s_delay_alu instid0(SALU_CYCLE_1) | instskip(SKIP_3) | instid1(VALU_DEP_1)
	s_lshl_b32 s17, s19, 2
	s_add_u32 s2, s12, s2
	s_addc_u32 s3, s13, s3
	v_add_co_u32 v3, s2, s2, v3
	v_add_co_ci_u32_e64 v4, null, s3, 0, s2
	s_lshl_b32 s19, s19, 5
	s_set_inst_prefetch_distance 0x1
	.p2align	6
.LBB158_3:                              ; =>This Inner Loop Header: Depth=1
	s_clause 0x1
	global_load_b128 v[5:8], v[3:4], off
	global_load_b128 v[8:11], v[3:4], off offset:16
	s_waitcnt vmcnt(0)
	v_add_co_u32 v11, vcc_lo, s14, v1
	v_add_co_ci_u32_e32 v12, vcc_lo, s15, v2, vcc_lo
	v_add_co_u32 v1, vcc_lo, s17, v1
	v_add_co_ci_u32_e32 v2, vcc_lo, 0, v2, vcc_lo
	v_add_co_u32 v3, s3, v3, s19
	s_delay_alu instid0(VALU_DEP_1) | instskip(NEXT) | instid1(VALU_DEP_3)
	v_add_co_ci_u32_e64 v4, s3, 0, v4, s3
	v_cmp_le_i64_e32 vcc_lo, s[4:5], v[1:2]
	v_cmp_lt_u64_e64 s2, 0xffff, v[1:2]
	s_delay_alu instid0(VALU_DEP_1) | instskip(NEXT) | instid1(SALU_CYCLE_1)
	s_or_b32 s2, vcc_lo, s2
	s_and_b32 s2, exec_lo, s2
	s_delay_alu instid0(SALU_CYCLE_1) | instskip(SKIP_4) | instid1(VALU_DEP_3)
	s_or_b32 s18, s2, s18
	v_lshlrev_b16 v6, 8, v7
	v_and_b32_e32 v5, 0xff, v5
	v_lshlrev_b16 v7, 8, v10
	v_and_b32_e32 v8, 0xff, v8
	v_or_b32_e32 v5, v5, v6
	s_delay_alu instid0(VALU_DEP_2) | instskip(NEXT) | instid1(VALU_DEP_2)
	v_or_b32_e32 v6, v8, v7
	v_and_b32_e32 v5, 0xffff, v5
	s_delay_alu instid0(VALU_DEP_2) | instskip(NEXT) | instid1(VALU_DEP_1)
	v_lshlrev_b32_e32 v6, 16, v6
	v_or_b32_e32 v5, v5, v6
	global_store_b32 v[11:12], v5, off
	s_and_not1_b32 exec_lo, exec_lo, s18
	s_cbranch_execnz .LBB158_3
.LBB158_4:
	s_set_inst_prefetch_distance 0x2
	s_or_b32 exec_lo, exec_lo, s16
	s_mov_b32 s2, 0
.LBB158_5:
	s_delay_alu instid0(SALU_CYCLE_1)
	s_and_not1_b32 vcc_lo, exec_lo, s2
	s_cbranch_vccnz .LBB158_25
; %bb.6:
	v_cmp_lt_i64_e64 s2, s[4:5], 1
	s_delay_alu instid0(VALU_DEP_1)
	s_and_b32 vcc_lo, exec_lo, s2
	s_cbranch_vccnz .LBB158_25
; %bb.7:
	s_load_b32 s0, s[0:1], 0xc5c
	v_cmp_gt_u64_e64 s1, 0x10000, s[4:5]
	v_add_co_u32 v5, s2, s8, v0
	v_lshlrev_b32_e32 v1, 3, v0
	v_add_co_ci_u32_e64 v6, null, s9, 0, s2
	s_delay_alu instid0(VALU_DEP_3) | instskip(NEXT) | instid1(VALU_DEP_2)
	v_add_co_u32 v21, vcc_lo, s6, v5
                                        ; implicit-def: $vgpr9_vgpr10
                                        ; implicit-def: $vgpr11_vgpr12
                                        ; implicit-def: $vgpr7_vgpr8
	v_add_co_ci_u32_e32 v22, vcc_lo, s7, v6, vcc_lo
	s_waitcnt lgkmcnt(0)
	s_and_b32 s0, s0, 0xffff
	s_and_b32 s1, s1, exec_lo
	s_cselect_b32 s3, s5, 0
	s_cselect_b32 s2, s4, 0x10000
	s_lshl_b64 s[10:11], s[10:11], 19
	s_lshl_b32 s14, s0, 1
	s_lshl_b32 s1, s0, 2
	s_add_u32 s12, s12, s10
	s_mul_i32 s15, s0, 3
	s_addc_u32 s13, s13, s11
	s_lshl_b32 s10, s0, 5
	v_add_co_u32 v1, s16, s12, v1
	s_add_u32 s11, s8, s15
	v_add_co_ci_u32_e64 v2, null, s13, 0, s16
	s_addc_u32 s16, s9, 0
	s_add_u32 s11, s6, s11
	s_addc_u32 s16, s7, s16
	v_add_co_u32 v23, s11, s11, v0
	s_delay_alu instid0(VALU_DEP_1)
	v_add_co_ci_u32_e64 v24, null, s16, 0, s11
	v_add_co_u32 v25, s11, s15, v0
	v_add_co_u32 v27, s15, v0, s0
	v_add_co_ci_u32_e64 v26, null, 0, 0, s11
	s_lshl_b32 s11, s0, 4
	s_add_u32 s8, s8, s14
	s_addc_u32 s9, s9, 0
	s_add_u32 s8, s6, s8
	v_lshlrev_b32_e32 v3, 3, v27
	s_addc_u32 s9, s7, s9
	v_add_co_u32 v28, s8, s8, v0
	s_delay_alu instid0(VALU_DEP_1)
	v_add_co_ci_u32_e64 v29, null, s9, 0, s8
	v_add_co_u32 v31, s8, s14, v0
	s_add_u32 s6, s6, s0
	v_add_co_ci_u32_e64 v32, null, 0, 0, s8
	v_add_co_u32 v3, s8, s12, v3
	s_addc_u32 s7, s7, 0
	v_add_co_u32 v33, vcc_lo, s6, v5
	v_add_co_ci_u32_e64 v30, null, 0, 0, s15
	v_add_co_ci_u32_e64 v4, null, s13, 0, s8
	v_add_co_ci_u32_e32 v34, vcc_lo, s7, v6, vcc_lo
	s_mul_i32 s8, s0, 24
	s_mov_b64 s[6:7], 0
                                        ; implicit-def: $vgpr5_vgpr6
	s_branch .LBB158_9
.LBB158_8:                              ;   in Loop: Header=BB158_9 Depth=1
	s_or_b32 exec_lo, exec_lo, s0
	s_add_u32 s6, s6, s1
	s_addc_u32 s7, s7, 0
	v_add_co_u32 v1, vcc_lo, v1, s10
	v_cmp_ge_i64_e64 s0, s[6:7], s[4:5]
	v_cmp_lt_u64_e64 s9, 0xffff, s[6:7]
	v_add_co_ci_u32_e32 v2, vcc_lo, 0, v2, vcc_lo
	v_add_co_u32 v3, vcc_lo, v3, s10
	v_add_co_ci_u32_e32 v4, vcc_lo, 0, v4, vcc_lo
	s_delay_alu instid0(VALU_DEP_4) | instskip(NEXT) | instid1(SALU_CYCLE_1)
	s_or_b32 s0, s0, s9
	s_and_b32 vcc_lo, exec_lo, s0
	s_cbranch_vccnz .LBB158_25
.LBB158_9:                              ; =>This Inner Loop Header: Depth=1
	v_add_co_u32 v13, s0, v0, s6
	s_delay_alu instid0(VALU_DEP_1) | instskip(NEXT) | instid1(VALU_DEP_1)
	v_add_co_ci_u32_e64 v14, null, 0, s7, s0
	v_cmp_gt_i64_e32 vcc_lo, s[4:5], v[13:14]
	v_cmp_gt_u64_e64 s0, 0x10000, v[13:14]
	s_delay_alu instid0(VALU_DEP_1) | instskip(NEXT) | instid1(SALU_CYCLE_1)
	s_and_b32 s9, vcc_lo, s0
	s_and_saveexec_b32 s0, s9
	s_cbranch_execz .LBB158_11
; %bb.10:                               ;   in Loop: Header=BB158_9 Depth=1
	global_load_b64 v[7:8], v[1:2], off
.LBB158_11:                             ;   in Loop: Header=BB158_9 Depth=1
	s_or_b32 exec_lo, exec_lo, s0
	v_add_co_u32 v15, vcc_lo, v27, s6
	v_add_co_ci_u32_e32 v16, vcc_lo, s7, v30, vcc_lo
	s_delay_alu instid0(VALU_DEP_1) | instskip(SKIP_1) | instid1(VALU_DEP_1)
	v_cmp_gt_i64_e32 vcc_lo, s[4:5], v[15:16]
	v_cmp_gt_u64_e64 s0, 0x10000, v[15:16]
	s_and_b32 s9, vcc_lo, s0
	s_delay_alu instid0(SALU_CYCLE_1)
	s_and_saveexec_b32 s0, s9
	s_cbranch_execz .LBB158_13
; %bb.12:                               ;   in Loop: Header=BB158_9 Depth=1
	global_load_b64 v[5:6], v[3:4], off
.LBB158_13:                             ;   in Loop: Header=BB158_9 Depth=1
	s_or_b32 exec_lo, exec_lo, s0
	v_add_co_u32 v17, vcc_lo, v31, s6
	v_add_co_ci_u32_e32 v18, vcc_lo, s7, v32, vcc_lo
	s_delay_alu instid0(VALU_DEP_1) | instskip(SKIP_1) | instid1(VALU_DEP_1)
	v_cmp_gt_i64_e32 vcc_lo, s[4:5], v[17:18]
	v_cmp_gt_u64_e64 s0, 0x10000, v[17:18]
	s_and_b32 s9, vcc_lo, s0
	s_delay_alu instid0(SALU_CYCLE_1)
	s_and_saveexec_b32 s0, s9
	s_cbranch_execz .LBB158_15
; %bb.14:                               ;   in Loop: Header=BB158_9 Depth=1
	s_waitcnt vmcnt(0)
	v_add_co_u32 v10, vcc_lo, v1, s11
	v_add_co_ci_u32_e32 v11, vcc_lo, 0, v2, vcc_lo
	global_load_b64 v[11:12], v[10:11], off
.LBB158_15:                             ;   in Loop: Header=BB158_9 Depth=1
	s_or_b32 exec_lo, exec_lo, s0
	v_add_co_u32 v19, vcc_lo, v25, s6
	v_add_co_ci_u32_e32 v20, vcc_lo, s7, v26, vcc_lo
	s_delay_alu instid0(VALU_DEP_1) | instskip(SKIP_1) | instid1(VALU_DEP_1)
	v_cmp_gt_i64_e32 vcc_lo, s[4:5], v[19:20]
	v_cmp_gt_u64_e64 s0, 0x10000, v[19:20]
	s_and_b32 s9, vcc_lo, s0
	s_delay_alu instid0(SALU_CYCLE_1)
	s_and_saveexec_b32 s0, s9
	s_cbranch_execnz .LBB158_20
; %bb.16:                               ;   in Loop: Header=BB158_9 Depth=1
	s_or_b32 exec_lo, exec_lo, s0
	s_delay_alu instid0(SALU_CYCLE_1)
	s_mov_b32 s0, exec_lo
	v_cmpx_gt_u64_e64 s[2:3], v[13:14]
	s_cbranch_execnz .LBB158_21
.LBB158_17:                             ;   in Loop: Header=BB158_9 Depth=1
	s_or_b32 exec_lo, exec_lo, s0
	s_delay_alu instid0(SALU_CYCLE_1)
	s_mov_b32 s0, exec_lo
	v_cmpx_gt_u64_e64 s[2:3], v[15:16]
	s_cbranch_execnz .LBB158_22
.LBB158_18:                             ;   in Loop: Header=BB158_9 Depth=1
	s_or_b32 exec_lo, exec_lo, s0
	s_delay_alu instid0(SALU_CYCLE_1)
	s_mov_b32 s0, exec_lo
	v_cmpx_gt_u64_e64 s[2:3], v[17:18]
	s_cbranch_execnz .LBB158_23
.LBB158_19:                             ;   in Loop: Header=BB158_9 Depth=1
	s_or_b32 exec_lo, exec_lo, s0
	s_delay_alu instid0(SALU_CYCLE_1)
	s_mov_b32 s0, exec_lo
	v_cmpx_gt_u64_e64 s[2:3], v[19:20]
	s_cbranch_execz .LBB158_8
	s_branch .LBB158_24
.LBB158_20:                             ;   in Loop: Header=BB158_9 Depth=1
	s_waitcnt vmcnt(0)
	v_add_co_u32 v8, vcc_lo, v1, s8
	v_add_co_ci_u32_e32 v9, vcc_lo, 0, v2, vcc_lo
	global_load_b64 v[9:10], v[8:9], off
	s_or_b32 exec_lo, exec_lo, s0
	s_delay_alu instid0(SALU_CYCLE_1)
	s_mov_b32 s0, exec_lo
	v_cmpx_gt_u64_e64 s[2:3], v[13:14]
	s_cbranch_execz .LBB158_17
.LBB158_21:                             ;   in Loop: Header=BB158_9 Depth=1
	s_waitcnt vmcnt(0)
	v_add_co_u32 v12, vcc_lo, v21, s6
	v_add_co_ci_u32_e32 v13, vcc_lo, s7, v22, vcc_lo
	global_store_b8 v[12:13], v7, off
	s_or_b32 exec_lo, exec_lo, s0
	s_delay_alu instid0(SALU_CYCLE_1)
	s_mov_b32 s0, exec_lo
	v_cmpx_gt_u64_e64 s[2:3], v[15:16]
	s_cbranch_execz .LBB158_18
.LBB158_22:                             ;   in Loop: Header=BB158_9 Depth=1
	s_waitcnt vmcnt(0)
	v_add_co_u32 v12, vcc_lo, v33, s6
	v_add_co_ci_u32_e32 v13, vcc_lo, s7, v34, vcc_lo
	global_store_b8 v[12:13], v5, off
	s_or_b32 exec_lo, exec_lo, s0
	s_delay_alu instid0(SALU_CYCLE_1)
	s_mov_b32 s0, exec_lo
	v_cmpx_gt_u64_e64 s[2:3], v[17:18]
	s_cbranch_execz .LBB158_19
.LBB158_23:                             ;   in Loop: Header=BB158_9 Depth=1
	s_waitcnt vmcnt(0)
	v_add_co_u32 v12, vcc_lo, v28, s6
	v_add_co_ci_u32_e32 v13, vcc_lo, s7, v29, vcc_lo
	global_store_b8 v[12:13], v11, off
	s_or_b32 exec_lo, exec_lo, s0
	s_delay_alu instid0(SALU_CYCLE_1)
	s_mov_b32 s0, exec_lo
	v_cmpx_gt_u64_e64 s[2:3], v[19:20]
	s_cbranch_execz .LBB158_8
.LBB158_24:                             ;   in Loop: Header=BB158_9 Depth=1
	s_waitcnt vmcnt(0)
	v_add_co_u32 v12, vcc_lo, v23, s6
	v_add_co_ci_u32_e32 v13, vcc_lo, s7, v24, vcc_lo
	global_store_b8 v[12:13], v9, off
	s_branch .LBB158_8
.LBB158_25:
	s_nop 0
	s_sendmsg sendmsg(MSG_DEALLOC_VGPRS)
	s_endpgm
	.section	.rodata,"a",@progbits
	.p2align	6, 0x0
	.amdhsa_kernel _ZN2at6native12_GLOBAL__N_125multi_tensor_apply_kernelINS1_18TensorListMetadataILi2EEENS1_11CopyFunctorIhlLi2ELi1ELi1EEEJNS0_4CopyIhlEEEEEvT_T0_DpT1_
		.amdhsa_group_segment_fixed_size 0
		.amdhsa_private_segment_fixed_size 0
		.amdhsa_kernarg_size 3408
		.amdhsa_user_sgpr_count 15
		.amdhsa_user_sgpr_dispatch_ptr 0
		.amdhsa_user_sgpr_queue_ptr 0
		.amdhsa_user_sgpr_kernarg_segment_ptr 1
		.amdhsa_user_sgpr_dispatch_id 0
		.amdhsa_user_sgpr_private_segment_size 0
		.amdhsa_wavefront_size32 1
		.amdhsa_uses_dynamic_stack 0
		.amdhsa_enable_private_segment 0
		.amdhsa_system_sgpr_workgroup_id_x 1
		.amdhsa_system_sgpr_workgroup_id_y 0
		.amdhsa_system_sgpr_workgroup_id_z 0
		.amdhsa_system_sgpr_workgroup_info 0
		.amdhsa_system_vgpr_workitem_id 0
		.amdhsa_next_free_vgpr 35
		.amdhsa_next_free_sgpr 20
		.amdhsa_reserve_vcc 1
		.amdhsa_float_round_mode_32 0
		.amdhsa_float_round_mode_16_64 0
		.amdhsa_float_denorm_mode_32 3
		.amdhsa_float_denorm_mode_16_64 3
		.amdhsa_dx10_clamp 1
		.amdhsa_ieee_mode 1
		.amdhsa_fp16_overflow 0
		.amdhsa_workgroup_processor_mode 1
		.amdhsa_memory_ordered 1
		.amdhsa_forward_progress 0
		.amdhsa_shared_vgpr_count 0
		.amdhsa_exception_fp_ieee_invalid_op 0
		.amdhsa_exception_fp_denorm_src 0
		.amdhsa_exception_fp_ieee_div_zero 0
		.amdhsa_exception_fp_ieee_overflow 0
		.amdhsa_exception_fp_ieee_underflow 0
		.amdhsa_exception_fp_ieee_inexact 0
		.amdhsa_exception_int_div_zero 0
	.end_amdhsa_kernel
	.section	.text._ZN2at6native12_GLOBAL__N_125multi_tensor_apply_kernelINS1_18TensorListMetadataILi2EEENS1_11CopyFunctorIhlLi2ELi1ELi1EEEJNS0_4CopyIhlEEEEEvT_T0_DpT1_,"axG",@progbits,_ZN2at6native12_GLOBAL__N_125multi_tensor_apply_kernelINS1_18TensorListMetadataILi2EEENS1_11CopyFunctorIhlLi2ELi1ELi1EEEJNS0_4CopyIhlEEEEEvT_T0_DpT1_,comdat
.Lfunc_end158:
	.size	_ZN2at6native12_GLOBAL__N_125multi_tensor_apply_kernelINS1_18TensorListMetadataILi2EEENS1_11CopyFunctorIhlLi2ELi1ELi1EEEJNS0_4CopyIhlEEEEEvT_T0_DpT1_, .Lfunc_end158-_ZN2at6native12_GLOBAL__N_125multi_tensor_apply_kernelINS1_18TensorListMetadataILi2EEENS1_11CopyFunctorIhlLi2ELi1ELi1EEEJNS0_4CopyIhlEEEEEvT_T0_DpT1_
                                        ; -- End function
	.section	.AMDGPU.csdata,"",@progbits
; Kernel info:
; codeLenInByte = 1440
; NumSgprs: 22
; NumVgprs: 35
; ScratchSize: 0
; MemoryBound: 0
; FloatMode: 240
; IeeeMode: 1
; LDSByteSize: 0 bytes/workgroup (compile time only)
; SGPRBlocks: 2
; VGPRBlocks: 4
; NumSGPRsForWavesPerEU: 22
; NumVGPRsForWavesPerEU: 35
; Occupancy: 16
; WaveLimiterHint : 0
; COMPUTE_PGM_RSRC2:SCRATCH_EN: 0
; COMPUTE_PGM_RSRC2:USER_SGPR: 15
; COMPUTE_PGM_RSRC2:TRAP_HANDLER: 0
; COMPUTE_PGM_RSRC2:TGID_X_EN: 1
; COMPUTE_PGM_RSRC2:TGID_Y_EN: 0
; COMPUTE_PGM_RSRC2:TGID_Z_EN: 0
; COMPUTE_PGM_RSRC2:TIDIG_COMP_CNT: 0
	.section	.text._ZN2at6native12_GLOBAL__N_125multi_tensor_apply_kernelINS1_18TensorListMetadataILi2EEENS1_11CopyFunctorIhsLi2ELi1ELi1EEEJNS0_4CopyIhsEEEEEvT_T0_DpT1_,"axG",@progbits,_ZN2at6native12_GLOBAL__N_125multi_tensor_apply_kernelINS1_18TensorListMetadataILi2EEENS1_11CopyFunctorIhsLi2ELi1ELi1EEEJNS0_4CopyIhsEEEEEvT_T0_DpT1_,comdat
	.globl	_ZN2at6native12_GLOBAL__N_125multi_tensor_apply_kernelINS1_18TensorListMetadataILi2EEENS1_11CopyFunctorIhsLi2ELi1ELi1EEEJNS0_4CopyIhsEEEEEvT_T0_DpT1_ ; -- Begin function _ZN2at6native12_GLOBAL__N_125multi_tensor_apply_kernelINS1_18TensorListMetadataILi2EEENS1_11CopyFunctorIhsLi2ELi1ELi1EEEJNS0_4CopyIhsEEEEEvT_T0_DpT1_
	.p2align	8
	.type	_ZN2at6native12_GLOBAL__N_125multi_tensor_apply_kernelINS1_18TensorListMetadataILi2EEENS1_11CopyFunctorIhsLi2ELi1ELi1EEEJNS0_4CopyIhsEEEEEvT_T0_DpT1_,@function
_ZN2at6native12_GLOBAL__N_125multi_tensor_apply_kernelINS1_18TensorListMetadataILi2EEENS1_11CopyFunctorIhsLi2ELi1ELi1EEEJNS0_4CopyIhsEEEEEvT_T0_DpT1_: ; @_ZN2at6native12_GLOBAL__N_125multi_tensor_apply_kernelINS1_18TensorListMetadataILi2EEENS1_11CopyFunctorIhsLi2ELi1ELi1EEEJNS0_4CopyIhsEEEEEvT_T0_DpT1_
; %bb.0:
	v_mov_b32_e32 v1, s15
	s_add_u32 s2, s0, s15
	s_mul_i32 s4, s15, 3
	s_addc_u32 s3, s1, 0
	s_mul_hi_u32 s5, s15, 3
	global_load_u8 v1, v1, s[0:1] offset:1536
	s_add_u32 s2, s2, s4
	s_addc_u32 s3, s3, s5
	s_mov_b32 s17, 0
	s_load_b32 s10, s[2:3], 0x740
	s_waitcnt lgkmcnt(0)
	s_ashr_i32 s11, s10, 31
	s_delay_alu instid0(SALU_CYCLE_1) | instskip(SKIP_2) | instid1(VALU_DEP_1)
	s_lshl_b64 s[8:9], s[10:11], 16
	s_waitcnt vmcnt(0)
	v_readfirstlane_b32 s4, v1
	s_lshl_b32 s4, s4, 3
	s_clause 0x2
	s_load_b64 s[6:7], s[0:1], s4 offset:0x200
	s_load_b64 s[2:3], s[0:1], s4 offset:0x400
	;; [unrolled: 1-line block ×3, first 2 shown]
	s_waitcnt lgkmcnt(0)
	s_add_u32 s14, s6, s8
	s_addc_u32 s15, s7, s9
	s_delay_alu instid0(SALU_CYCLE_1) | instskip(SKIP_2) | instid1(SALU_CYCLE_1)
	s_or_b64 s[4:5], s[2:3], s[14:15]
	s_and_b32 s5, s12, 7
	s_and_b32 s4, s4, 3
	s_or_b32 s16, s4, s5
	s_sub_u32 s4, s2, s8
	s_subb_u32 s5, s3, s9
	s_cmp_eq_u64 s[16:17], 0
	s_mov_b32 s2, -1
	s_cbranch_scc0 .LBB159_5
; %bb.1:
	v_dual_mov_b32 v2, 0 :: v_dual_lshlrev_b32 v1, 2, v0
	s_mov_b32 s16, exec_lo
	s_delay_alu instid0(VALU_DEP_1)
	v_cmpx_gt_i64_e64 s[4:5], v[1:2]
	s_cbranch_execz .LBB159_4
; %bb.2:
	s_load_b32 s17, s[0:1], 0xc5c
	v_lshlrev_b32_e32 v3, 3, v0
	s_lshl_b64 s[2:3], s[10:11], 17
	s_waitcnt lgkmcnt(0)
	s_and_b32 s19, s17, 0xffff
	s_add_u32 s2, s12, s2
	s_addc_u32 s3, s13, s3
	v_add_co_u32 v3, s2, s2, v3
	s_delay_alu instid0(VALU_DEP_1)
	v_add_co_ci_u32_e64 v4, null, s3, 0, s2
	s_mov_b32 s17, 0
	s_lshl_b32 s18, s19, 3
	s_lshl_b32 s19, s19, 2
	.p2align	6
.LBB159_3:                              ; =>This Inner Loop Header: Depth=1
	global_load_b64 v[5:6], v[3:4], off
	v_add_co_u32 v7, vcc_lo, s14, v1
	v_add_co_ci_u32_e32 v8, vcc_lo, s15, v2, vcc_lo
	v_add_co_u32 v1, vcc_lo, s19, v1
	v_add_co_ci_u32_e32 v2, vcc_lo, 0, v2, vcc_lo
	v_add_co_u32 v3, s3, v3, s18
	s_delay_alu instid0(VALU_DEP_1) | instskip(NEXT) | instid1(VALU_DEP_3)
	v_add_co_ci_u32_e64 v4, s3, 0, v4, s3
	v_cmp_le_i64_e32 vcc_lo, s[4:5], v[1:2]
	v_cmp_lt_u64_e64 s2, 0xffff, v[1:2]
	s_delay_alu instid0(VALU_DEP_1) | instskip(NEXT) | instid1(SALU_CYCLE_1)
	s_or_b32 s2, vcc_lo, s2
	s_and_b32 s2, exec_lo, s2
	s_delay_alu instid0(SALU_CYCLE_1)
	s_or_b32 s17, s2, s17
	s_waitcnt vmcnt(0)
	v_perm_b32 v5, v5, v6, 0x2000604
	global_store_b32 v[7:8], v5, off
	s_and_not1_b32 exec_lo, exec_lo, s17
	s_cbranch_execnz .LBB159_3
.LBB159_4:
	s_or_b32 exec_lo, exec_lo, s16
	s_mov_b32 s2, 0
.LBB159_5:
	s_delay_alu instid0(SALU_CYCLE_1)
	s_and_not1_b32 vcc_lo, exec_lo, s2
	s_cbranch_vccnz .LBB159_25
; %bb.6:
	v_cmp_lt_i64_e64 s2, s[4:5], 1
	s_delay_alu instid0(VALU_DEP_1)
	s_and_b32 vcc_lo, exec_lo, s2
	s_cbranch_vccnz .LBB159_25
; %bb.7:
	s_load_b32 s0, s[0:1], 0xc5c
	v_cmp_gt_u64_e64 s1, 0x10000, s[4:5]
	v_add_co_u32 v5, s2, s8, v0
	v_lshlrev_b32_e32 v1, 1, v0
	v_add_co_ci_u32_e64 v6, null, s9, 0, s2
	s_delay_alu instid0(VALU_DEP_3) | instskip(NEXT) | instid1(VALU_DEP_2)
	v_add_co_u32 v15, vcc_lo, s6, v5
	v_add_co_ci_u32_e32 v16, vcc_lo, s7, v6, vcc_lo
	s_waitcnt lgkmcnt(0)
	s_and_b32 s0, s0, 0xffff
	s_and_b32 s1, s1, exec_lo
	s_cselect_b32 s3, s5, 0
	s_cselect_b32 s2, s4, 0x10000
	s_lshl_b64 s[10:11], s[10:11], 17
	s_lshl_b32 s14, s0, 1
	s_lshl_b32 s1, s0, 2
	s_add_u32 s12, s12, s10
	s_mul_i32 s15, s0, 3
	s_addc_u32 s11, s13, s11
	s_lshl_b32 s10, s0, 3
	v_add_co_u32 v1, s16, s12, v1
	s_add_u32 s13, s8, s15
	v_add_co_ci_u32_e64 v2, null, s11, 0, s16
	s_addc_u32 s16, s9, 0
	s_add_u32 s13, s6, s13
	s_addc_u32 s16, s7, s16
	v_add_co_u32 v17, s13, s13, v0
	s_delay_alu instid0(VALU_DEP_1) | instskip(SKIP_1) | instid1(VALU_DEP_1)
	v_add_co_ci_u32_e64 v18, null, s16, 0, s13
	v_add_co_u32 v19, s13, s15, v0
	v_add_co_ci_u32_e64 v20, null, 0, 0, s13
	v_add_co_u32 v21, s13, v0, s0
	s_add_u32 s8, s8, s14
	s_addc_u32 s9, s9, 0
	s_add_u32 s8, s6, s8
	s_delay_alu instid0(VALU_DEP_1) | instskip(SKIP_2) | instid1(VALU_DEP_1)
	v_lshlrev_b32_e32 v3, 1, v21
	s_addc_u32 s9, s7, s9
	v_add_co_u32 v22, s8, s8, v0
	v_add_co_ci_u32_e64 v23, null, s9, 0, s8
	v_add_co_u32 v25, s8, s14, v0
	s_add_u32 s6, s6, s0
	v_add_co_ci_u32_e64 v26, null, 0, 0, s8
	v_add_co_u32 v3, s8, s12, v3
	s_addc_u32 s7, s7, 0
	v_add_co_u32 v27, vcc_lo, s6, v5
	v_add_co_ci_u32_e64 v24, null, 0, 0, s13
	v_add_co_ci_u32_e64 v4, null, s11, 0, s8
	v_add_co_ci_u32_e32 v28, vcc_lo, s7, v6, vcc_lo
	s_mul_i32 s8, s0, 6
	s_mov_b64 s[6:7], 0
                                        ; implicit-def: $vgpr5_vgpr6
	s_branch .LBB159_9
.LBB159_8:                              ;   in Loop: Header=BB159_9 Depth=1
	s_or_b32 exec_lo, exec_lo, s0
	s_add_u32 s6, s6, s1
	s_addc_u32 s7, s7, 0
	v_add_co_u32 v1, vcc_lo, v1, s10
	v_cmp_ge_i64_e64 s0, s[6:7], s[4:5]
	v_cmp_lt_u64_e64 s9, 0xffff, s[6:7]
	v_add_co_ci_u32_e32 v2, vcc_lo, 0, v2, vcc_lo
	v_add_co_u32 v3, vcc_lo, v3, s10
	v_add_co_ci_u32_e32 v4, vcc_lo, 0, v4, vcc_lo
	s_delay_alu instid0(VALU_DEP_4) | instskip(NEXT) | instid1(SALU_CYCLE_1)
	s_or_b32 s0, s0, s9
	s_and_b32 vcc_lo, exec_lo, s0
	s_cbranch_vccnz .LBB159_25
.LBB159_9:                              ; =>This Inner Loop Header: Depth=1
	v_add_co_u32 v7, s0, v0, s6
	s_delay_alu instid0(VALU_DEP_1) | instskip(NEXT) | instid1(VALU_DEP_1)
	v_add_co_ci_u32_e64 v8, null, 0, s7, s0
	v_cmp_gt_i64_e32 vcc_lo, s[4:5], v[7:8]
	v_cmp_gt_u64_e64 s0, 0x10000, v[7:8]
	s_delay_alu instid0(VALU_DEP_1) | instskip(NEXT) | instid1(SALU_CYCLE_1)
	s_and_b32 s9, vcc_lo, s0
	s_and_saveexec_b32 s0, s9
	s_cbranch_execz .LBB159_11
; %bb.10:                               ;   in Loop: Header=BB159_9 Depth=1
	global_load_d16_b16 v5, v[1:2], off
.LBB159_11:                             ;   in Loop: Header=BB159_9 Depth=1
	s_or_b32 exec_lo, exec_lo, s0
	v_add_co_u32 v9, vcc_lo, v21, s6
	v_add_co_ci_u32_e32 v10, vcc_lo, s7, v24, vcc_lo
	s_delay_alu instid0(VALU_DEP_1) | instskip(SKIP_1) | instid1(VALU_DEP_1)
	v_cmp_gt_i64_e32 vcc_lo, s[4:5], v[9:10]
	v_cmp_gt_u64_e64 s0, 0x10000, v[9:10]
	s_and_b32 s9, vcc_lo, s0
	s_delay_alu instid0(SALU_CYCLE_1)
	s_and_saveexec_b32 s0, s9
	s_cbranch_execz .LBB159_13
; %bb.12:                               ;   in Loop: Header=BB159_9 Depth=1
	global_load_d16_hi_b16 v5, v[3:4], off
.LBB159_13:                             ;   in Loop: Header=BB159_9 Depth=1
	s_or_b32 exec_lo, exec_lo, s0
	v_add_co_u32 v11, vcc_lo, v25, s6
	v_add_co_ci_u32_e32 v12, vcc_lo, s7, v26, vcc_lo
	s_delay_alu instid0(VALU_DEP_1) | instskip(SKIP_1) | instid1(VALU_DEP_1)
	v_cmp_gt_i64_e32 vcc_lo, s[4:5], v[11:12]
	v_cmp_gt_u64_e64 s0, 0x10000, v[11:12]
	s_and_b32 s9, vcc_lo, s0
	s_delay_alu instid0(SALU_CYCLE_1)
	s_and_saveexec_b32 s0, s9
	s_cbranch_execz .LBB159_15
; %bb.14:                               ;   in Loop: Header=BB159_9 Depth=1
	v_add_co_u32 v13, vcc_lo, v1, s1
	v_add_co_ci_u32_e32 v14, vcc_lo, 0, v2, vcc_lo
	global_load_d16_b16 v6, v[13:14], off
.LBB159_15:                             ;   in Loop: Header=BB159_9 Depth=1
	s_or_b32 exec_lo, exec_lo, s0
	v_add_co_u32 v13, vcc_lo, v19, s6
	v_add_co_ci_u32_e32 v14, vcc_lo, s7, v20, vcc_lo
	s_delay_alu instid0(VALU_DEP_1) | instskip(SKIP_1) | instid1(VALU_DEP_1)
	v_cmp_gt_i64_e32 vcc_lo, s[4:5], v[13:14]
	v_cmp_gt_u64_e64 s0, 0x10000, v[13:14]
	s_and_b32 s9, vcc_lo, s0
	s_delay_alu instid0(SALU_CYCLE_1)
	s_and_saveexec_b32 s0, s9
	s_cbranch_execnz .LBB159_20
; %bb.16:                               ;   in Loop: Header=BB159_9 Depth=1
	s_or_b32 exec_lo, exec_lo, s0
	s_delay_alu instid0(SALU_CYCLE_1)
	s_mov_b32 s0, exec_lo
	v_cmpx_gt_u64_e64 s[2:3], v[7:8]
	s_cbranch_execnz .LBB159_21
.LBB159_17:                             ;   in Loop: Header=BB159_9 Depth=1
	s_or_b32 exec_lo, exec_lo, s0
	s_delay_alu instid0(SALU_CYCLE_1)
	s_mov_b32 s0, exec_lo
	v_cmpx_gt_u64_e64 s[2:3], v[9:10]
	s_cbranch_execnz .LBB159_22
.LBB159_18:                             ;   in Loop: Header=BB159_9 Depth=1
	s_or_b32 exec_lo, exec_lo, s0
	s_delay_alu instid0(SALU_CYCLE_1)
	s_mov_b32 s0, exec_lo
	v_cmpx_gt_u64_e64 s[2:3], v[11:12]
	s_cbranch_execnz .LBB159_23
.LBB159_19:                             ;   in Loop: Header=BB159_9 Depth=1
	s_or_b32 exec_lo, exec_lo, s0
	s_delay_alu instid0(SALU_CYCLE_1)
	s_mov_b32 s0, exec_lo
	v_cmpx_gt_u64_e64 s[2:3], v[13:14]
	s_cbranch_execz .LBB159_8
	s_branch .LBB159_24
.LBB159_20:                             ;   in Loop: Header=BB159_9 Depth=1
	v_add_co_u32 v29, vcc_lo, v1, s8
	v_add_co_ci_u32_e32 v30, vcc_lo, 0, v2, vcc_lo
	global_load_d16_hi_b16 v6, v[29:30], off
	s_or_b32 exec_lo, exec_lo, s0
	s_delay_alu instid0(SALU_CYCLE_1)
	s_mov_b32 s0, exec_lo
	v_cmpx_gt_u64_e64 s[2:3], v[7:8]
	s_cbranch_execz .LBB159_17
.LBB159_21:                             ;   in Loop: Header=BB159_9 Depth=1
	v_add_co_u32 v7, vcc_lo, v15, s6
	v_add_co_ci_u32_e32 v8, vcc_lo, s7, v16, vcc_lo
	s_waitcnt vmcnt(0)
	global_store_b8 v[7:8], v5, off
	s_or_b32 exec_lo, exec_lo, s0
	s_delay_alu instid0(SALU_CYCLE_1)
	s_mov_b32 s0, exec_lo
	v_cmpx_gt_u64_e64 s[2:3], v[9:10]
	s_cbranch_execz .LBB159_18
.LBB159_22:                             ;   in Loop: Header=BB159_9 Depth=1
	v_add_co_u32 v7, vcc_lo, v27, s6
	v_add_co_ci_u32_e32 v8, vcc_lo, s7, v28, vcc_lo
	s_waitcnt vmcnt(0)
	global_store_d16_hi_b8 v[7:8], v5, off
	s_or_b32 exec_lo, exec_lo, s0
	s_delay_alu instid0(SALU_CYCLE_1)
	s_mov_b32 s0, exec_lo
	v_cmpx_gt_u64_e64 s[2:3], v[11:12]
	s_cbranch_execz .LBB159_19
.LBB159_23:                             ;   in Loop: Header=BB159_9 Depth=1
	v_add_co_u32 v7, vcc_lo, v22, s6
	v_add_co_ci_u32_e32 v8, vcc_lo, s7, v23, vcc_lo
	s_waitcnt vmcnt(0)
	global_store_b8 v[7:8], v6, off
	s_or_b32 exec_lo, exec_lo, s0
	s_delay_alu instid0(SALU_CYCLE_1)
	s_mov_b32 s0, exec_lo
	v_cmpx_gt_u64_e64 s[2:3], v[13:14]
	s_cbranch_execz .LBB159_8
.LBB159_24:                             ;   in Loop: Header=BB159_9 Depth=1
	v_add_co_u32 v7, vcc_lo, v17, s6
	v_add_co_ci_u32_e32 v8, vcc_lo, s7, v18, vcc_lo
	s_waitcnt vmcnt(0)
	global_store_d16_hi_b8 v[7:8], v6, off
	s_branch .LBB159_8
.LBB159_25:
	s_nop 0
	s_sendmsg sendmsg(MSG_DEALLOC_VGPRS)
	s_endpgm
	.section	.rodata,"a",@progbits
	.p2align	6, 0x0
	.amdhsa_kernel _ZN2at6native12_GLOBAL__N_125multi_tensor_apply_kernelINS1_18TensorListMetadataILi2EEENS1_11CopyFunctorIhsLi2ELi1ELi1EEEJNS0_4CopyIhsEEEEEvT_T0_DpT1_
		.amdhsa_group_segment_fixed_size 0
		.amdhsa_private_segment_fixed_size 0
		.amdhsa_kernarg_size 3408
		.amdhsa_user_sgpr_count 15
		.amdhsa_user_sgpr_dispatch_ptr 0
		.amdhsa_user_sgpr_queue_ptr 0
		.amdhsa_user_sgpr_kernarg_segment_ptr 1
		.amdhsa_user_sgpr_dispatch_id 0
		.amdhsa_user_sgpr_private_segment_size 0
		.amdhsa_wavefront_size32 1
		.amdhsa_uses_dynamic_stack 0
		.amdhsa_enable_private_segment 0
		.amdhsa_system_sgpr_workgroup_id_x 1
		.amdhsa_system_sgpr_workgroup_id_y 0
		.amdhsa_system_sgpr_workgroup_id_z 0
		.amdhsa_system_sgpr_workgroup_info 0
		.amdhsa_system_vgpr_workitem_id 0
		.amdhsa_next_free_vgpr 31
		.amdhsa_next_free_sgpr 20
		.amdhsa_reserve_vcc 1
		.amdhsa_float_round_mode_32 0
		.amdhsa_float_round_mode_16_64 0
		.amdhsa_float_denorm_mode_32 3
		.amdhsa_float_denorm_mode_16_64 3
		.amdhsa_dx10_clamp 1
		.amdhsa_ieee_mode 1
		.amdhsa_fp16_overflow 0
		.amdhsa_workgroup_processor_mode 1
		.amdhsa_memory_ordered 1
		.amdhsa_forward_progress 0
		.amdhsa_shared_vgpr_count 0
		.amdhsa_exception_fp_ieee_invalid_op 0
		.amdhsa_exception_fp_denorm_src 0
		.amdhsa_exception_fp_ieee_div_zero 0
		.amdhsa_exception_fp_ieee_overflow 0
		.amdhsa_exception_fp_ieee_underflow 0
		.amdhsa_exception_fp_ieee_inexact 0
		.amdhsa_exception_int_div_zero 0
	.end_amdhsa_kernel
	.section	.text._ZN2at6native12_GLOBAL__N_125multi_tensor_apply_kernelINS1_18TensorListMetadataILi2EEENS1_11CopyFunctorIhsLi2ELi1ELi1EEEJNS0_4CopyIhsEEEEEvT_T0_DpT1_,"axG",@progbits,_ZN2at6native12_GLOBAL__N_125multi_tensor_apply_kernelINS1_18TensorListMetadataILi2EEENS1_11CopyFunctorIhsLi2ELi1ELi1EEEJNS0_4CopyIhsEEEEEvT_T0_DpT1_,comdat
.Lfunc_end159:
	.size	_ZN2at6native12_GLOBAL__N_125multi_tensor_apply_kernelINS1_18TensorListMetadataILi2EEENS1_11CopyFunctorIhsLi2ELi1ELi1EEEJNS0_4CopyIhsEEEEEvT_T0_DpT1_, .Lfunc_end159-_ZN2at6native12_GLOBAL__N_125multi_tensor_apply_kernelINS1_18TensorListMetadataILi2EEENS1_11CopyFunctorIhsLi2ELi1ELi1EEEJNS0_4CopyIhsEEEEEvT_T0_DpT1_
                                        ; -- End function
	.section	.AMDGPU.csdata,"",@progbits
; Kernel info:
; codeLenInByte = 1356
; NumSgprs: 22
; NumVgprs: 31
; ScratchSize: 0
; MemoryBound: 0
; FloatMode: 240
; IeeeMode: 1
; LDSByteSize: 0 bytes/workgroup (compile time only)
; SGPRBlocks: 2
; VGPRBlocks: 3
; NumSGPRsForWavesPerEU: 22
; NumVGPRsForWavesPerEU: 31
; Occupancy: 16
; WaveLimiterHint : 0
; COMPUTE_PGM_RSRC2:SCRATCH_EN: 0
; COMPUTE_PGM_RSRC2:USER_SGPR: 15
; COMPUTE_PGM_RSRC2:TRAP_HANDLER: 0
; COMPUTE_PGM_RSRC2:TGID_X_EN: 1
; COMPUTE_PGM_RSRC2:TGID_Y_EN: 0
; COMPUTE_PGM_RSRC2:TGID_Z_EN: 0
; COMPUTE_PGM_RSRC2:TIDIG_COMP_CNT: 0
	.section	.text._ZN2at6native12_GLOBAL__N_125multi_tensor_apply_kernelINS1_18TensorListMetadataILi2EEENS1_11CopyFunctorIhiLi2ELi1ELi1EEEJNS0_4CopyIhiEEEEEvT_T0_DpT1_,"axG",@progbits,_ZN2at6native12_GLOBAL__N_125multi_tensor_apply_kernelINS1_18TensorListMetadataILi2EEENS1_11CopyFunctorIhiLi2ELi1ELi1EEEJNS0_4CopyIhiEEEEEvT_T0_DpT1_,comdat
	.globl	_ZN2at6native12_GLOBAL__N_125multi_tensor_apply_kernelINS1_18TensorListMetadataILi2EEENS1_11CopyFunctorIhiLi2ELi1ELi1EEEJNS0_4CopyIhiEEEEEvT_T0_DpT1_ ; -- Begin function _ZN2at6native12_GLOBAL__N_125multi_tensor_apply_kernelINS1_18TensorListMetadataILi2EEENS1_11CopyFunctorIhiLi2ELi1ELi1EEEJNS0_4CopyIhiEEEEEvT_T0_DpT1_
	.p2align	8
	.type	_ZN2at6native12_GLOBAL__N_125multi_tensor_apply_kernelINS1_18TensorListMetadataILi2EEENS1_11CopyFunctorIhiLi2ELi1ELi1EEEJNS0_4CopyIhiEEEEEvT_T0_DpT1_,@function
_ZN2at6native12_GLOBAL__N_125multi_tensor_apply_kernelINS1_18TensorListMetadataILi2EEENS1_11CopyFunctorIhiLi2ELi1ELi1EEEJNS0_4CopyIhiEEEEEvT_T0_DpT1_: ; @_ZN2at6native12_GLOBAL__N_125multi_tensor_apply_kernelINS1_18TensorListMetadataILi2EEENS1_11CopyFunctorIhiLi2ELi1ELi1EEEJNS0_4CopyIhiEEEEEvT_T0_DpT1_
; %bb.0:
	v_mov_b32_e32 v1, s15
	s_add_u32 s2, s0, s15
	s_mul_i32 s4, s15, 3
	s_addc_u32 s3, s1, 0
	s_mul_hi_u32 s5, s15, 3
	global_load_u8 v1, v1, s[0:1] offset:1536
	s_add_u32 s2, s2, s4
	s_addc_u32 s3, s3, s5
	s_mov_b32 s17, 0
	s_load_b32 s10, s[2:3], 0x740
	s_waitcnt lgkmcnt(0)
	s_ashr_i32 s11, s10, 31
	s_delay_alu instid0(SALU_CYCLE_1) | instskip(SKIP_2) | instid1(VALU_DEP_1)
	s_lshl_b64 s[8:9], s[10:11], 16
	s_waitcnt vmcnt(0)
	v_readfirstlane_b32 s4, v1
	s_lshl_b32 s4, s4, 3
	s_clause 0x2
	s_load_b64 s[6:7], s[0:1], s4 offset:0x200
	s_load_b64 s[2:3], s[0:1], s4 offset:0x400
	s_load_b64 s[12:13], s[0:1], s4 offset:0x0
	s_waitcnt lgkmcnt(0)
	s_add_u32 s14, s6, s8
	s_addc_u32 s15, s7, s9
	s_delay_alu instid0(SALU_CYCLE_1) | instskip(SKIP_2) | instid1(SALU_CYCLE_1)
	s_or_b64 s[4:5], s[2:3], s[14:15]
	s_and_b32 s5, s12, 15
	s_and_b32 s4, s4, 3
	s_or_b32 s16, s4, s5
	s_sub_u32 s4, s2, s8
	s_subb_u32 s5, s3, s9
	s_cmp_eq_u64 s[16:17], 0
	s_mov_b32 s2, -1
	s_cbranch_scc0 .LBB160_5
; %bb.1:
	v_dual_mov_b32 v2, 0 :: v_dual_lshlrev_b32 v1, 2, v0
	s_mov_b32 s16, exec_lo
	s_delay_alu instid0(VALU_DEP_1)
	v_cmpx_gt_i64_e64 s[4:5], v[1:2]
	s_cbranch_execz .LBB160_4
; %bb.2:
	s_load_b32 s17, s[0:1], 0xc5c
	v_lshlrev_b32_e32 v3, 4, v0
	s_lshl_b64 s[2:3], s[10:11], 18
	s_mov_b32 s18, 0
	s_waitcnt lgkmcnt(0)
	s_and_b32 s19, s17, 0xffff
	s_delay_alu instid0(SALU_CYCLE_1) | instskip(SKIP_3) | instid1(VALU_DEP_1)
	s_lshl_b32 s17, s19, 2
	s_add_u32 s2, s12, s2
	s_addc_u32 s3, s13, s3
	v_add_co_u32 v3, s2, s2, v3
	v_add_co_ci_u32_e64 v4, null, s3, 0, s2
	s_lshl_b32 s19, s19, 4
	s_set_inst_prefetch_distance 0x1
	.p2align	6
.LBB160_3:                              ; =>This Inner Loop Header: Depth=1
	global_load_b128 v[5:8], v[3:4], off
	v_add_co_u32 v9, vcc_lo, s14, v1
	v_add_co_ci_u32_e32 v10, vcc_lo, s15, v2, vcc_lo
	v_add_co_u32 v1, vcc_lo, s17, v1
	v_add_co_ci_u32_e32 v2, vcc_lo, 0, v2, vcc_lo
	v_add_co_u32 v3, s3, v3, s19
	s_delay_alu instid0(VALU_DEP_1) | instskip(NEXT) | instid1(VALU_DEP_3)
	v_add_co_ci_u32_e64 v4, s3, 0, v4, s3
	v_cmp_le_i64_e32 vcc_lo, s[4:5], v[1:2]
	v_cmp_lt_u64_e64 s2, 0xffff, v[1:2]
	s_delay_alu instid0(VALU_DEP_1) | instskip(NEXT) | instid1(SALU_CYCLE_1)
	s_or_b32 s2, vcc_lo, s2
	s_and_b32 s2, exec_lo, s2
	s_delay_alu instid0(SALU_CYCLE_1)
	s_or_b32 s18, s2, s18
	s_waitcnt vmcnt(0)
	v_lshlrev_b16 v6, 8, v6
	v_and_b32_e32 v5, 0xff, v5
	v_lshlrev_b16 v8, 8, v8
	v_and_b32_e32 v7, 0xff, v7
	s_delay_alu instid0(VALU_DEP_3) | instskip(NEXT) | instid1(VALU_DEP_2)
	v_or_b32_e32 v5, v5, v6
	v_or_b32_e32 v6, v7, v8
	s_delay_alu instid0(VALU_DEP_2) | instskip(NEXT) | instid1(VALU_DEP_2)
	v_and_b32_e32 v5, 0xffff, v5
	v_lshlrev_b32_e32 v6, 16, v6
	s_delay_alu instid0(VALU_DEP_1)
	v_or_b32_e32 v5, v5, v6
	global_store_b32 v[9:10], v5, off
	s_and_not1_b32 exec_lo, exec_lo, s18
	s_cbranch_execnz .LBB160_3
.LBB160_4:
	s_set_inst_prefetch_distance 0x2
	s_or_b32 exec_lo, exec_lo, s16
	s_mov_b32 s2, 0
.LBB160_5:
	s_delay_alu instid0(SALU_CYCLE_1)
	s_and_not1_b32 vcc_lo, exec_lo, s2
	s_cbranch_vccnz .LBB160_25
; %bb.6:
	v_cmp_lt_i64_e64 s2, s[4:5], 1
	s_delay_alu instid0(VALU_DEP_1)
	s_and_b32 vcc_lo, exec_lo, s2
	s_cbranch_vccnz .LBB160_25
; %bb.7:
	s_load_b32 s0, s[0:1], 0xc5c
	v_cmp_gt_u64_e64 s1, 0x10000, s[4:5]
	v_add_co_u32 v5, s2, s8, v0
	v_lshlrev_b32_e32 v1, 2, v0
	v_add_co_ci_u32_e64 v6, null, s9, 0, s2
	s_delay_alu instid0(VALU_DEP_3) | instskip(NEXT) | instid1(VALU_DEP_2)
	v_add_co_u32 v13, vcc_lo, s6, v5
                                        ; implicit-def: $vgpr29
                                        ; implicit-def: $vgpr30
                                        ; implicit-def: $vgpr27
                                        ; implicit-def: $vgpr28
	v_add_co_ci_u32_e32 v14, vcc_lo, s7, v6, vcc_lo
	s_waitcnt lgkmcnt(0)
	s_and_b32 s0, s0, 0xffff
	s_and_b32 s1, s1, exec_lo
	s_cselect_b32 s3, s5, 0
	s_cselect_b32 s2, s4, 0x10000
	s_lshl_b64 s[10:11], s[10:11], 18
	s_lshl_b32 s14, s0, 1
	s_lshl_b32 s1, s0, 2
	s_add_u32 s12, s12, s10
	s_mul_i32 s15, s0, 3
	s_addc_u32 s13, s13, s11
	s_lshl_b32 s10, s0, 4
	v_add_co_u32 v1, s16, s12, v1
	s_add_u32 s11, s8, s15
	v_add_co_ci_u32_e64 v2, null, s13, 0, s16
	s_addc_u32 s16, s9, 0
	s_add_u32 s11, s6, s11
	s_addc_u32 s16, s7, s16
	v_add_co_u32 v15, s11, s11, v0
	s_delay_alu instid0(VALU_DEP_1)
	v_add_co_ci_u32_e64 v16, null, s16, 0, s11
	v_add_co_u32 v17, s11, s15, v0
	v_add_co_u32 v19, s15, v0, s0
	v_add_co_ci_u32_e64 v18, null, 0, 0, s11
	s_lshl_b32 s11, s0, 3
	s_add_u32 s8, s8, s14
	s_addc_u32 s9, s9, 0
	s_add_u32 s8, s6, s8
	v_lshlrev_b32_e32 v3, 2, v19
	s_addc_u32 s9, s7, s9
	v_add_co_u32 v20, s8, s8, v0
	s_delay_alu instid0(VALU_DEP_1)
	v_add_co_ci_u32_e64 v21, null, s9, 0, s8
	v_add_co_u32 v23, s8, s14, v0
	s_add_u32 s6, s6, s0
	v_add_co_ci_u32_e64 v24, null, 0, 0, s8
	v_add_co_u32 v3, s8, s12, v3
	s_addc_u32 s7, s7, 0
	v_add_co_u32 v25, vcc_lo, s6, v5
	v_add_co_ci_u32_e64 v22, null, 0, 0, s15
	v_add_co_ci_u32_e64 v4, null, s13, 0, s8
	v_add_co_ci_u32_e32 v26, vcc_lo, s7, v6, vcc_lo
	s_mul_i32 s8, s0, 12
	s_mov_b64 s[6:7], 0
	s_branch .LBB160_9
.LBB160_8:                              ;   in Loop: Header=BB160_9 Depth=1
	s_or_b32 exec_lo, exec_lo, s0
	s_add_u32 s6, s6, s1
	s_addc_u32 s7, s7, 0
	v_add_co_u32 v1, vcc_lo, v1, s10
	v_cmp_ge_i64_e64 s0, s[6:7], s[4:5]
	v_cmp_lt_u64_e64 s9, 0xffff, s[6:7]
	v_add_co_ci_u32_e32 v2, vcc_lo, 0, v2, vcc_lo
	v_add_co_u32 v3, vcc_lo, v3, s10
	v_add_co_ci_u32_e32 v4, vcc_lo, 0, v4, vcc_lo
	s_delay_alu instid0(VALU_DEP_4) | instskip(NEXT) | instid1(SALU_CYCLE_1)
	s_or_b32 s0, s0, s9
	s_and_b32 vcc_lo, exec_lo, s0
	s_cbranch_vccnz .LBB160_25
.LBB160_9:                              ; =>This Inner Loop Header: Depth=1
	v_add_co_u32 v5, s0, v0, s6
	s_delay_alu instid0(VALU_DEP_1) | instskip(NEXT) | instid1(VALU_DEP_1)
	v_add_co_ci_u32_e64 v6, null, 0, s7, s0
	v_cmp_gt_i64_e32 vcc_lo, s[4:5], v[5:6]
	v_cmp_gt_u64_e64 s0, 0x10000, v[5:6]
	s_delay_alu instid0(VALU_DEP_1) | instskip(NEXT) | instid1(SALU_CYCLE_1)
	s_and_b32 s9, vcc_lo, s0
	s_and_saveexec_b32 s0, s9
	s_cbranch_execz .LBB160_11
; %bb.10:                               ;   in Loop: Header=BB160_9 Depth=1
	global_load_b32 v28, v[1:2], off
.LBB160_11:                             ;   in Loop: Header=BB160_9 Depth=1
	s_or_b32 exec_lo, exec_lo, s0
	v_add_co_u32 v7, vcc_lo, v19, s6
	v_add_co_ci_u32_e32 v8, vcc_lo, s7, v22, vcc_lo
	s_delay_alu instid0(VALU_DEP_1) | instskip(SKIP_1) | instid1(VALU_DEP_1)
	v_cmp_gt_i64_e32 vcc_lo, s[4:5], v[7:8]
	v_cmp_gt_u64_e64 s0, 0x10000, v[7:8]
	s_and_b32 s9, vcc_lo, s0
	s_delay_alu instid0(SALU_CYCLE_1)
	s_and_saveexec_b32 s0, s9
	s_cbranch_execz .LBB160_13
; %bb.12:                               ;   in Loop: Header=BB160_9 Depth=1
	global_load_b32 v27, v[3:4], off
.LBB160_13:                             ;   in Loop: Header=BB160_9 Depth=1
	s_or_b32 exec_lo, exec_lo, s0
	v_add_co_u32 v9, vcc_lo, v23, s6
	v_add_co_ci_u32_e32 v10, vcc_lo, s7, v24, vcc_lo
	s_delay_alu instid0(VALU_DEP_1) | instskip(SKIP_1) | instid1(VALU_DEP_1)
	v_cmp_gt_i64_e32 vcc_lo, s[4:5], v[9:10]
	v_cmp_gt_u64_e64 s0, 0x10000, v[9:10]
	s_and_b32 s9, vcc_lo, s0
	s_delay_alu instid0(SALU_CYCLE_1)
	s_and_saveexec_b32 s0, s9
	s_cbranch_execz .LBB160_15
; %bb.14:                               ;   in Loop: Header=BB160_9 Depth=1
	v_add_co_u32 v11, vcc_lo, v1, s11
	v_add_co_ci_u32_e32 v12, vcc_lo, 0, v2, vcc_lo
	global_load_b32 v30, v[11:12], off
.LBB160_15:                             ;   in Loop: Header=BB160_9 Depth=1
	s_or_b32 exec_lo, exec_lo, s0
	v_add_co_u32 v11, vcc_lo, v17, s6
	v_add_co_ci_u32_e32 v12, vcc_lo, s7, v18, vcc_lo
	s_delay_alu instid0(VALU_DEP_1) | instskip(SKIP_1) | instid1(VALU_DEP_1)
	v_cmp_gt_i64_e32 vcc_lo, s[4:5], v[11:12]
	v_cmp_gt_u64_e64 s0, 0x10000, v[11:12]
	s_and_b32 s9, vcc_lo, s0
	s_delay_alu instid0(SALU_CYCLE_1)
	s_and_saveexec_b32 s0, s9
	s_cbranch_execnz .LBB160_20
; %bb.16:                               ;   in Loop: Header=BB160_9 Depth=1
	s_or_b32 exec_lo, exec_lo, s0
	s_delay_alu instid0(SALU_CYCLE_1)
	s_mov_b32 s0, exec_lo
	v_cmpx_gt_u64_e64 s[2:3], v[5:6]
	s_cbranch_execnz .LBB160_21
.LBB160_17:                             ;   in Loop: Header=BB160_9 Depth=1
	s_or_b32 exec_lo, exec_lo, s0
	s_delay_alu instid0(SALU_CYCLE_1)
	s_mov_b32 s0, exec_lo
	v_cmpx_gt_u64_e64 s[2:3], v[7:8]
	s_cbranch_execnz .LBB160_22
.LBB160_18:                             ;   in Loop: Header=BB160_9 Depth=1
	s_or_b32 exec_lo, exec_lo, s0
	s_delay_alu instid0(SALU_CYCLE_1)
	s_mov_b32 s0, exec_lo
	v_cmpx_gt_u64_e64 s[2:3], v[9:10]
	s_cbranch_execnz .LBB160_23
.LBB160_19:                             ;   in Loop: Header=BB160_9 Depth=1
	s_or_b32 exec_lo, exec_lo, s0
	s_delay_alu instid0(SALU_CYCLE_1)
	s_mov_b32 s0, exec_lo
	v_cmpx_gt_u64_e64 s[2:3], v[11:12]
	s_cbranch_execz .LBB160_8
	s_branch .LBB160_24
.LBB160_20:                             ;   in Loop: Header=BB160_9 Depth=1
	v_add_co_u32 v31, vcc_lo, v1, s8
	v_add_co_ci_u32_e32 v32, vcc_lo, 0, v2, vcc_lo
	global_load_b32 v29, v[31:32], off
	s_or_b32 exec_lo, exec_lo, s0
	s_delay_alu instid0(SALU_CYCLE_1)
	s_mov_b32 s0, exec_lo
	v_cmpx_gt_u64_e64 s[2:3], v[5:6]
	s_cbranch_execz .LBB160_17
.LBB160_21:                             ;   in Loop: Header=BB160_9 Depth=1
	v_add_co_u32 v5, vcc_lo, v13, s6
	v_add_co_ci_u32_e32 v6, vcc_lo, s7, v14, vcc_lo
	s_waitcnt vmcnt(0)
	global_store_b8 v[5:6], v28, off
	s_or_b32 exec_lo, exec_lo, s0
	s_delay_alu instid0(SALU_CYCLE_1)
	s_mov_b32 s0, exec_lo
	v_cmpx_gt_u64_e64 s[2:3], v[7:8]
	s_cbranch_execz .LBB160_18
.LBB160_22:                             ;   in Loop: Header=BB160_9 Depth=1
	v_add_co_u32 v5, vcc_lo, v25, s6
	v_add_co_ci_u32_e32 v6, vcc_lo, s7, v26, vcc_lo
	s_waitcnt vmcnt(0)
	global_store_b8 v[5:6], v27, off
	s_or_b32 exec_lo, exec_lo, s0
	s_delay_alu instid0(SALU_CYCLE_1)
	s_mov_b32 s0, exec_lo
	v_cmpx_gt_u64_e64 s[2:3], v[9:10]
	s_cbranch_execz .LBB160_19
.LBB160_23:                             ;   in Loop: Header=BB160_9 Depth=1
	v_add_co_u32 v5, vcc_lo, v20, s6
	v_add_co_ci_u32_e32 v6, vcc_lo, s7, v21, vcc_lo
	s_waitcnt vmcnt(0)
	global_store_b8 v[5:6], v30, off
	s_or_b32 exec_lo, exec_lo, s0
	s_delay_alu instid0(SALU_CYCLE_1)
	s_mov_b32 s0, exec_lo
	v_cmpx_gt_u64_e64 s[2:3], v[11:12]
	s_cbranch_execz .LBB160_8
.LBB160_24:                             ;   in Loop: Header=BB160_9 Depth=1
	v_add_co_u32 v5, vcc_lo, v15, s6
	v_add_co_ci_u32_e32 v6, vcc_lo, s7, v16, vcc_lo
	s_waitcnt vmcnt(0)
	global_store_b8 v[5:6], v29, off
	s_branch .LBB160_8
.LBB160_25:
	s_nop 0
	s_sendmsg sendmsg(MSG_DEALLOC_VGPRS)
	s_endpgm
	.section	.rodata,"a",@progbits
	.p2align	6, 0x0
	.amdhsa_kernel _ZN2at6native12_GLOBAL__N_125multi_tensor_apply_kernelINS1_18TensorListMetadataILi2EEENS1_11CopyFunctorIhiLi2ELi1ELi1EEEJNS0_4CopyIhiEEEEEvT_T0_DpT1_
		.amdhsa_group_segment_fixed_size 0
		.amdhsa_private_segment_fixed_size 0
		.amdhsa_kernarg_size 3408
		.amdhsa_user_sgpr_count 15
		.amdhsa_user_sgpr_dispatch_ptr 0
		.amdhsa_user_sgpr_queue_ptr 0
		.amdhsa_user_sgpr_kernarg_segment_ptr 1
		.amdhsa_user_sgpr_dispatch_id 0
		.amdhsa_user_sgpr_private_segment_size 0
		.amdhsa_wavefront_size32 1
		.amdhsa_uses_dynamic_stack 0
		.amdhsa_enable_private_segment 0
		.amdhsa_system_sgpr_workgroup_id_x 1
		.amdhsa_system_sgpr_workgroup_id_y 0
		.amdhsa_system_sgpr_workgroup_id_z 0
		.amdhsa_system_sgpr_workgroup_info 0
		.amdhsa_system_vgpr_workitem_id 0
		.amdhsa_next_free_vgpr 33
		.amdhsa_next_free_sgpr 20
		.amdhsa_reserve_vcc 1
		.amdhsa_float_round_mode_32 0
		.amdhsa_float_round_mode_16_64 0
		.amdhsa_float_denorm_mode_32 3
		.amdhsa_float_denorm_mode_16_64 3
		.amdhsa_dx10_clamp 1
		.amdhsa_ieee_mode 1
		.amdhsa_fp16_overflow 0
		.amdhsa_workgroup_processor_mode 1
		.amdhsa_memory_ordered 1
		.amdhsa_forward_progress 0
		.amdhsa_shared_vgpr_count 0
		.amdhsa_exception_fp_ieee_invalid_op 0
		.amdhsa_exception_fp_denorm_src 0
		.amdhsa_exception_fp_ieee_div_zero 0
		.amdhsa_exception_fp_ieee_overflow 0
		.amdhsa_exception_fp_ieee_underflow 0
		.amdhsa_exception_fp_ieee_inexact 0
		.amdhsa_exception_int_div_zero 0
	.end_amdhsa_kernel
	.section	.text._ZN2at6native12_GLOBAL__N_125multi_tensor_apply_kernelINS1_18TensorListMetadataILi2EEENS1_11CopyFunctorIhiLi2ELi1ELi1EEEJNS0_4CopyIhiEEEEEvT_T0_DpT1_,"axG",@progbits,_ZN2at6native12_GLOBAL__N_125multi_tensor_apply_kernelINS1_18TensorListMetadataILi2EEENS1_11CopyFunctorIhiLi2ELi1ELi1EEEJNS0_4CopyIhiEEEEEvT_T0_DpT1_,comdat
.Lfunc_end160:
	.size	_ZN2at6native12_GLOBAL__N_125multi_tensor_apply_kernelINS1_18TensorListMetadataILi2EEENS1_11CopyFunctorIhiLi2ELi1ELi1EEEJNS0_4CopyIhiEEEEEvT_T0_DpT1_, .Lfunc_end160-_ZN2at6native12_GLOBAL__N_125multi_tensor_apply_kernelINS1_18TensorListMetadataILi2EEENS1_11CopyFunctorIhiLi2ELi1ELi1EEEJNS0_4CopyIhiEEEEEvT_T0_DpT1_
                                        ; -- End function
	.section	.AMDGPU.csdata,"",@progbits
; Kernel info:
; codeLenInByte = 1424
; NumSgprs: 22
; NumVgprs: 33
; ScratchSize: 0
; MemoryBound: 0
; FloatMode: 240
; IeeeMode: 1
; LDSByteSize: 0 bytes/workgroup (compile time only)
; SGPRBlocks: 2
; VGPRBlocks: 4
; NumSGPRsForWavesPerEU: 22
; NumVGPRsForWavesPerEU: 33
; Occupancy: 16
; WaveLimiterHint : 0
; COMPUTE_PGM_RSRC2:SCRATCH_EN: 0
; COMPUTE_PGM_RSRC2:USER_SGPR: 15
; COMPUTE_PGM_RSRC2:TRAP_HANDLER: 0
; COMPUTE_PGM_RSRC2:TGID_X_EN: 1
; COMPUTE_PGM_RSRC2:TGID_Y_EN: 0
; COMPUTE_PGM_RSRC2:TGID_Z_EN: 0
; COMPUTE_PGM_RSRC2:TIDIG_COMP_CNT: 0
	.section	.text._ZN2at6native12_GLOBAL__N_125multi_tensor_apply_kernelINS1_18TensorListMetadataILi2EEENS1_11CopyFunctorIhdLi2ELi1ELi1EEEJNS0_4CopyIhdEEEEEvT_T0_DpT1_,"axG",@progbits,_ZN2at6native12_GLOBAL__N_125multi_tensor_apply_kernelINS1_18TensorListMetadataILi2EEENS1_11CopyFunctorIhdLi2ELi1ELi1EEEJNS0_4CopyIhdEEEEEvT_T0_DpT1_,comdat
	.globl	_ZN2at6native12_GLOBAL__N_125multi_tensor_apply_kernelINS1_18TensorListMetadataILi2EEENS1_11CopyFunctorIhdLi2ELi1ELi1EEEJNS0_4CopyIhdEEEEEvT_T0_DpT1_ ; -- Begin function _ZN2at6native12_GLOBAL__N_125multi_tensor_apply_kernelINS1_18TensorListMetadataILi2EEENS1_11CopyFunctorIhdLi2ELi1ELi1EEEJNS0_4CopyIhdEEEEEvT_T0_DpT1_
	.p2align	8
	.type	_ZN2at6native12_GLOBAL__N_125multi_tensor_apply_kernelINS1_18TensorListMetadataILi2EEENS1_11CopyFunctorIhdLi2ELi1ELi1EEEJNS0_4CopyIhdEEEEEvT_T0_DpT1_,@function
_ZN2at6native12_GLOBAL__N_125multi_tensor_apply_kernelINS1_18TensorListMetadataILi2EEENS1_11CopyFunctorIhdLi2ELi1ELi1EEEJNS0_4CopyIhdEEEEEvT_T0_DpT1_: ; @_ZN2at6native12_GLOBAL__N_125multi_tensor_apply_kernelINS1_18TensorListMetadataILi2EEENS1_11CopyFunctorIhdLi2ELi1ELi1EEEJNS0_4CopyIhdEEEEEvT_T0_DpT1_
; %bb.0:
	v_mov_b32_e32 v1, s15
	s_add_u32 s2, s0, s15
	s_mul_i32 s4, s15, 3
	s_addc_u32 s3, s1, 0
	s_mul_hi_u32 s5, s15, 3
	global_load_u8 v1, v1, s[0:1] offset:1536
	s_add_u32 s2, s2, s4
	s_addc_u32 s3, s3, s5
	s_mov_b32 s17, 0
	s_load_b32 s10, s[2:3], 0x740
	s_waitcnt lgkmcnt(0)
	s_ashr_i32 s11, s10, 31
	s_delay_alu instid0(SALU_CYCLE_1) | instskip(SKIP_2) | instid1(VALU_DEP_1)
	s_lshl_b64 s[8:9], s[10:11], 16
	s_waitcnt vmcnt(0)
	v_readfirstlane_b32 s4, v1
	s_lshl_b32 s4, s4, 3
	s_clause 0x2
	s_load_b64 s[6:7], s[0:1], s4 offset:0x200
	s_load_b64 s[2:3], s[0:1], s4 offset:0x400
	;; [unrolled: 1-line block ×3, first 2 shown]
	s_waitcnt lgkmcnt(0)
	s_add_u32 s14, s6, s8
	s_addc_u32 s15, s7, s9
	s_delay_alu instid0(SALU_CYCLE_1) | instskip(SKIP_2) | instid1(SALU_CYCLE_1)
	s_or_b64 s[4:5], s[2:3], s[14:15]
	s_and_b32 s5, s12, 31
	s_and_b32 s4, s4, 3
	s_or_b32 s16, s4, s5
	s_sub_u32 s4, s2, s8
	s_subb_u32 s5, s3, s9
	s_cmp_eq_u64 s[16:17], 0
	s_mov_b32 s2, -1
	s_cbranch_scc0 .LBB161_5
; %bb.1:
	v_dual_mov_b32 v2, 0 :: v_dual_lshlrev_b32 v1, 2, v0
	s_mov_b32 s16, exec_lo
	s_delay_alu instid0(VALU_DEP_1)
	v_cmpx_gt_i64_e64 s[4:5], v[1:2]
	s_cbranch_execz .LBB161_4
; %bb.2:
	s_load_b32 s17, s[0:1], 0xc5c
	v_lshlrev_b32_e32 v3, 5, v0
	s_lshl_b64 s[2:3], s[10:11], 19
	s_mov_b32 s18, 0
	s_waitcnt lgkmcnt(0)
	s_and_b32 s19, s17, 0xffff
	s_delay_alu instid0(SALU_CYCLE_1) | instskip(SKIP_3) | instid1(VALU_DEP_1)
	s_lshl_b32 s17, s19, 2
	s_add_u32 s2, s12, s2
	s_addc_u32 s3, s13, s3
	v_add_co_u32 v3, s2, s2, v3
	v_add_co_ci_u32_e64 v4, null, s3, 0, s2
	s_lshl_b32 s19, s19, 5
	s_set_inst_prefetch_distance 0x1
	.p2align	6
.LBB161_3:                              ; =>This Inner Loop Header: Depth=1
	s_clause 0x1
	global_load_b128 v[5:8], v[3:4], off
	global_load_b128 v[9:12], v[3:4], off offset:16
	v_add_co_u32 v3, s3, v3, s19
	s_delay_alu instid0(VALU_DEP_1)
	v_add_co_ci_u32_e64 v4, s3, 0, v4, s3
	s_waitcnt vmcnt(1)
	v_cvt_i32_f64_e32 v7, v[7:8]
	s_waitcnt vmcnt(0)
	v_cvt_i32_f64_e32 v8, v[11:12]
	v_cvt_i32_f64_e32 v11, v[5:6]
	;; [unrolled: 1-line block ×3, first 2 shown]
	v_add_co_u32 v5, vcc_lo, s14, v1
	v_add_co_ci_u32_e32 v6, vcc_lo, s15, v2, vcc_lo
	v_add_co_u32 v1, vcc_lo, s17, v1
	v_add_co_ci_u32_e32 v2, vcc_lo, 0, v2, vcc_lo
	s_delay_alu instid0(VALU_DEP_1) | instskip(SKIP_1) | instid1(VALU_DEP_1)
	v_cmp_le_i64_e32 vcc_lo, s[4:5], v[1:2]
	v_cmp_lt_u64_e64 s2, 0xffff, v[1:2]
	s_or_b32 s2, vcc_lo, s2
	s_delay_alu instid0(SALU_CYCLE_1) | instskip(NEXT) | instid1(SALU_CYCLE_1)
	s_and_b32 s2, exec_lo, s2
	s_or_b32 s18, s2, s18
	v_lshlrev_b16 v7, 8, v7
	v_lshlrev_b16 v8, 8, v8
	s_delay_alu instid0(VALU_DEP_2) | instskip(NEXT) | instid1(VALU_DEP_2)
	v_or_b32_e32 v7, v11, v7
	v_or_b32_e32 v8, v9, v8
	s_delay_alu instid0(VALU_DEP_2) | instskip(NEXT) | instid1(VALU_DEP_2)
	v_and_b32_e32 v7, 0xffff, v7
	v_lshlrev_b32_e32 v8, 16, v8
	s_delay_alu instid0(VALU_DEP_1)
	v_or_b32_e32 v7, v7, v8
	global_store_b32 v[5:6], v7, off
	s_and_not1_b32 exec_lo, exec_lo, s18
	s_cbranch_execnz .LBB161_3
.LBB161_4:
	s_set_inst_prefetch_distance 0x2
	s_or_b32 exec_lo, exec_lo, s16
	s_mov_b32 s2, 0
.LBB161_5:
	s_delay_alu instid0(SALU_CYCLE_1)
	s_and_not1_b32 vcc_lo, exec_lo, s2
	s_cbranch_vccnz .LBB161_25
; %bb.6:
	v_cmp_lt_i64_e64 s2, s[4:5], 1
	s_delay_alu instid0(VALU_DEP_1)
	s_and_b32 vcc_lo, exec_lo, s2
	s_cbranch_vccnz .LBB161_25
; %bb.7:
	s_load_b32 s0, s[0:1], 0xc5c
	v_cmp_gt_u64_e64 s1, 0x10000, s[4:5]
	v_add_co_u32 v5, s2, s8, v0
	v_lshlrev_b32_e32 v1, 3, v0
	v_add_co_ci_u32_e64 v6, null, s9, 0, s2
	s_delay_alu instid0(VALU_DEP_3) | instskip(NEXT) | instid1(VALU_DEP_2)
	v_add_co_u32 v21, vcc_lo, s6, v5
                                        ; implicit-def: $vgpr9_vgpr10
                                        ; implicit-def: $vgpr11_vgpr12
                                        ; implicit-def: $vgpr7_vgpr8
	v_add_co_ci_u32_e32 v22, vcc_lo, s7, v6, vcc_lo
	s_waitcnt lgkmcnt(0)
	s_and_b32 s0, s0, 0xffff
	s_and_b32 s1, s1, exec_lo
	s_cselect_b32 s3, s5, 0
	s_cselect_b32 s2, s4, 0x10000
	s_lshl_b64 s[10:11], s[10:11], 19
	s_lshl_b32 s14, s0, 1
	s_lshl_b32 s1, s0, 2
	s_add_u32 s12, s12, s10
	s_mul_i32 s15, s0, 3
	s_addc_u32 s13, s13, s11
	s_lshl_b32 s10, s0, 5
	v_add_co_u32 v1, s16, s12, v1
	s_add_u32 s11, s8, s15
	v_add_co_ci_u32_e64 v2, null, s13, 0, s16
	s_addc_u32 s16, s9, 0
	s_add_u32 s11, s6, s11
	s_addc_u32 s16, s7, s16
	v_add_co_u32 v23, s11, s11, v0
	s_delay_alu instid0(VALU_DEP_1)
	v_add_co_ci_u32_e64 v24, null, s16, 0, s11
	v_add_co_u32 v25, s11, s15, v0
	v_add_co_u32 v27, s15, v0, s0
	v_add_co_ci_u32_e64 v26, null, 0, 0, s11
	s_lshl_b32 s11, s0, 4
	s_add_u32 s8, s8, s14
	s_addc_u32 s9, s9, 0
	s_add_u32 s8, s6, s8
	v_lshlrev_b32_e32 v3, 3, v27
	s_addc_u32 s9, s7, s9
	v_add_co_u32 v28, s8, s8, v0
	s_delay_alu instid0(VALU_DEP_1)
	v_add_co_ci_u32_e64 v29, null, s9, 0, s8
	v_add_co_u32 v31, s8, s14, v0
	s_add_u32 s6, s6, s0
	v_add_co_ci_u32_e64 v32, null, 0, 0, s8
	v_add_co_u32 v3, s8, s12, v3
	s_addc_u32 s7, s7, 0
	v_add_co_u32 v33, vcc_lo, s6, v5
	v_add_co_ci_u32_e64 v30, null, 0, 0, s15
	v_add_co_ci_u32_e64 v4, null, s13, 0, s8
	v_add_co_ci_u32_e32 v34, vcc_lo, s7, v6, vcc_lo
	s_mul_i32 s8, s0, 24
	s_mov_b64 s[6:7], 0
                                        ; implicit-def: $vgpr5_vgpr6
	s_branch .LBB161_9
.LBB161_8:                              ;   in Loop: Header=BB161_9 Depth=1
	s_or_b32 exec_lo, exec_lo, s0
	s_add_u32 s6, s6, s1
	s_addc_u32 s7, s7, 0
	v_add_co_u32 v1, vcc_lo, v1, s10
	v_cmp_ge_i64_e64 s0, s[6:7], s[4:5]
	v_cmp_lt_u64_e64 s9, 0xffff, s[6:7]
	v_add_co_ci_u32_e32 v2, vcc_lo, 0, v2, vcc_lo
	v_add_co_u32 v3, vcc_lo, v3, s10
	v_add_co_ci_u32_e32 v4, vcc_lo, 0, v4, vcc_lo
	s_delay_alu instid0(VALU_DEP_4) | instskip(NEXT) | instid1(SALU_CYCLE_1)
	s_or_b32 s0, s0, s9
	s_and_b32 vcc_lo, exec_lo, s0
	s_cbranch_vccnz .LBB161_25
.LBB161_9:                              ; =>This Inner Loop Header: Depth=1
	v_add_co_u32 v13, s0, v0, s6
	s_delay_alu instid0(VALU_DEP_1) | instskip(NEXT) | instid1(VALU_DEP_1)
	v_add_co_ci_u32_e64 v14, null, 0, s7, s0
	v_cmp_gt_i64_e32 vcc_lo, s[4:5], v[13:14]
	v_cmp_gt_u64_e64 s0, 0x10000, v[13:14]
	s_delay_alu instid0(VALU_DEP_1) | instskip(NEXT) | instid1(SALU_CYCLE_1)
	s_and_b32 s9, vcc_lo, s0
	s_and_saveexec_b32 s0, s9
	s_cbranch_execz .LBB161_11
; %bb.10:                               ;   in Loop: Header=BB161_9 Depth=1
	global_load_b64 v[7:8], v[1:2], off
.LBB161_11:                             ;   in Loop: Header=BB161_9 Depth=1
	s_or_b32 exec_lo, exec_lo, s0
	v_add_co_u32 v15, vcc_lo, v27, s6
	v_add_co_ci_u32_e32 v16, vcc_lo, s7, v30, vcc_lo
	s_delay_alu instid0(VALU_DEP_1) | instskip(SKIP_1) | instid1(VALU_DEP_1)
	v_cmp_gt_i64_e32 vcc_lo, s[4:5], v[15:16]
	v_cmp_gt_u64_e64 s0, 0x10000, v[15:16]
	s_and_b32 s9, vcc_lo, s0
	s_delay_alu instid0(SALU_CYCLE_1)
	s_and_saveexec_b32 s0, s9
	s_cbranch_execz .LBB161_13
; %bb.12:                               ;   in Loop: Header=BB161_9 Depth=1
	global_load_b64 v[5:6], v[3:4], off
.LBB161_13:                             ;   in Loop: Header=BB161_9 Depth=1
	s_or_b32 exec_lo, exec_lo, s0
	v_add_co_u32 v17, vcc_lo, v31, s6
	v_add_co_ci_u32_e32 v18, vcc_lo, s7, v32, vcc_lo
	s_delay_alu instid0(VALU_DEP_1) | instskip(SKIP_1) | instid1(VALU_DEP_1)
	v_cmp_gt_i64_e32 vcc_lo, s[4:5], v[17:18]
	v_cmp_gt_u64_e64 s0, 0x10000, v[17:18]
	s_and_b32 s9, vcc_lo, s0
	s_delay_alu instid0(SALU_CYCLE_1)
	s_and_saveexec_b32 s0, s9
	s_cbranch_execz .LBB161_15
; %bb.14:                               ;   in Loop: Header=BB161_9 Depth=1
	s_waitcnt vmcnt(0)
	v_add_co_u32 v11, vcc_lo, v1, s11
	v_add_co_ci_u32_e32 v12, vcc_lo, 0, v2, vcc_lo
	global_load_b64 v[11:12], v[11:12], off
.LBB161_15:                             ;   in Loop: Header=BB161_9 Depth=1
	s_or_b32 exec_lo, exec_lo, s0
	v_add_co_u32 v19, vcc_lo, v25, s6
	v_add_co_ci_u32_e32 v20, vcc_lo, s7, v26, vcc_lo
	s_delay_alu instid0(VALU_DEP_1) | instskip(SKIP_1) | instid1(VALU_DEP_1)
	v_cmp_gt_i64_e32 vcc_lo, s[4:5], v[19:20]
	v_cmp_gt_u64_e64 s0, 0x10000, v[19:20]
	s_and_b32 s9, vcc_lo, s0
	s_delay_alu instid0(SALU_CYCLE_1)
	s_and_saveexec_b32 s0, s9
	s_cbranch_execnz .LBB161_20
; %bb.16:                               ;   in Loop: Header=BB161_9 Depth=1
	s_or_b32 exec_lo, exec_lo, s0
	s_delay_alu instid0(SALU_CYCLE_1)
	s_mov_b32 s0, exec_lo
	v_cmpx_gt_u64_e64 s[2:3], v[13:14]
	s_cbranch_execnz .LBB161_21
.LBB161_17:                             ;   in Loop: Header=BB161_9 Depth=1
	s_or_b32 exec_lo, exec_lo, s0
	s_delay_alu instid0(SALU_CYCLE_1)
	s_mov_b32 s0, exec_lo
	v_cmpx_gt_u64_e64 s[2:3], v[15:16]
	s_cbranch_execnz .LBB161_22
.LBB161_18:                             ;   in Loop: Header=BB161_9 Depth=1
	s_or_b32 exec_lo, exec_lo, s0
	s_delay_alu instid0(SALU_CYCLE_1)
	s_mov_b32 s0, exec_lo
	v_cmpx_gt_u64_e64 s[2:3], v[17:18]
	s_cbranch_execnz .LBB161_23
.LBB161_19:                             ;   in Loop: Header=BB161_9 Depth=1
	s_or_b32 exec_lo, exec_lo, s0
	s_delay_alu instid0(SALU_CYCLE_1)
	s_mov_b32 s0, exec_lo
	v_cmpx_gt_u64_e64 s[2:3], v[19:20]
	s_cbranch_execz .LBB161_8
	s_branch .LBB161_24
.LBB161_20:                             ;   in Loop: Header=BB161_9 Depth=1
	s_waitcnt vmcnt(0)
	v_add_co_u32 v9, vcc_lo, v1, s8
	v_add_co_ci_u32_e32 v10, vcc_lo, 0, v2, vcc_lo
	global_load_b64 v[9:10], v[9:10], off
	s_or_b32 exec_lo, exec_lo, s0
	s_delay_alu instid0(SALU_CYCLE_1)
	s_mov_b32 s0, exec_lo
	v_cmpx_gt_u64_e64 s[2:3], v[13:14]
	s_cbranch_execz .LBB161_17
.LBB161_21:                             ;   in Loop: Header=BB161_9 Depth=1
	s_waitcnt vmcnt(0)
	v_cvt_i32_f64_e32 v35, v[7:8]
	v_add_co_u32 v13, vcc_lo, v21, s6
	v_add_co_ci_u32_e32 v14, vcc_lo, s7, v22, vcc_lo
	global_store_b8 v[13:14], v35, off
	s_or_b32 exec_lo, exec_lo, s0
	s_delay_alu instid0(SALU_CYCLE_1)
	s_mov_b32 s0, exec_lo
	v_cmpx_gt_u64_e64 s[2:3], v[15:16]
	s_cbranch_execz .LBB161_18
.LBB161_22:                             ;   in Loop: Header=BB161_9 Depth=1
	s_waitcnt vmcnt(0)
	v_cvt_i32_f64_e32 v15, v[5:6]
	v_add_co_u32 v13, vcc_lo, v33, s6
	v_add_co_ci_u32_e32 v14, vcc_lo, s7, v34, vcc_lo
	global_store_b8 v[13:14], v15, off
	s_or_b32 exec_lo, exec_lo, s0
	s_delay_alu instid0(SALU_CYCLE_1)
	s_mov_b32 s0, exec_lo
	v_cmpx_gt_u64_e64 s[2:3], v[17:18]
	s_cbranch_execz .LBB161_19
.LBB161_23:                             ;   in Loop: Header=BB161_9 Depth=1
	s_waitcnt vmcnt(0)
	v_cvt_i32_f64_e32 v15, v[11:12]
	v_add_co_u32 v13, vcc_lo, v28, s6
	v_add_co_ci_u32_e32 v14, vcc_lo, s7, v29, vcc_lo
	global_store_b8 v[13:14], v15, off
	s_or_b32 exec_lo, exec_lo, s0
	s_delay_alu instid0(SALU_CYCLE_1)
	s_mov_b32 s0, exec_lo
	v_cmpx_gt_u64_e64 s[2:3], v[19:20]
	s_cbranch_execz .LBB161_8
.LBB161_24:                             ;   in Loop: Header=BB161_9 Depth=1
	s_waitcnt vmcnt(0)
	v_cvt_i32_f64_e32 v15, v[9:10]
	v_add_co_u32 v13, vcc_lo, v23, s6
	v_add_co_ci_u32_e32 v14, vcc_lo, s7, v24, vcc_lo
	global_store_b8 v[13:14], v15, off
	s_branch .LBB161_8
.LBB161_25:
	s_nop 0
	s_sendmsg sendmsg(MSG_DEALLOC_VGPRS)
	s_endpgm
	.section	.rodata,"a",@progbits
	.p2align	6, 0x0
	.amdhsa_kernel _ZN2at6native12_GLOBAL__N_125multi_tensor_apply_kernelINS1_18TensorListMetadataILi2EEENS1_11CopyFunctorIhdLi2ELi1ELi1EEEJNS0_4CopyIhdEEEEEvT_T0_DpT1_
		.amdhsa_group_segment_fixed_size 0
		.amdhsa_private_segment_fixed_size 0
		.amdhsa_kernarg_size 3408
		.amdhsa_user_sgpr_count 15
		.amdhsa_user_sgpr_dispatch_ptr 0
		.amdhsa_user_sgpr_queue_ptr 0
		.amdhsa_user_sgpr_kernarg_segment_ptr 1
		.amdhsa_user_sgpr_dispatch_id 0
		.amdhsa_user_sgpr_private_segment_size 0
		.amdhsa_wavefront_size32 1
		.amdhsa_uses_dynamic_stack 0
		.amdhsa_enable_private_segment 0
		.amdhsa_system_sgpr_workgroup_id_x 1
		.amdhsa_system_sgpr_workgroup_id_y 0
		.amdhsa_system_sgpr_workgroup_id_z 0
		.amdhsa_system_sgpr_workgroup_info 0
		.amdhsa_system_vgpr_workitem_id 0
		.amdhsa_next_free_vgpr 36
		.amdhsa_next_free_sgpr 20
		.amdhsa_reserve_vcc 1
		.amdhsa_float_round_mode_32 0
		.amdhsa_float_round_mode_16_64 0
		.amdhsa_float_denorm_mode_32 3
		.amdhsa_float_denorm_mode_16_64 3
		.amdhsa_dx10_clamp 1
		.amdhsa_ieee_mode 1
		.amdhsa_fp16_overflow 0
		.amdhsa_workgroup_processor_mode 1
		.amdhsa_memory_ordered 1
		.amdhsa_forward_progress 0
		.amdhsa_shared_vgpr_count 0
		.amdhsa_exception_fp_ieee_invalid_op 0
		.amdhsa_exception_fp_denorm_src 0
		.amdhsa_exception_fp_ieee_div_zero 0
		.amdhsa_exception_fp_ieee_overflow 0
		.amdhsa_exception_fp_ieee_underflow 0
		.amdhsa_exception_fp_ieee_inexact 0
		.amdhsa_exception_int_div_zero 0
	.end_amdhsa_kernel
	.section	.text._ZN2at6native12_GLOBAL__N_125multi_tensor_apply_kernelINS1_18TensorListMetadataILi2EEENS1_11CopyFunctorIhdLi2ELi1ELi1EEEJNS0_4CopyIhdEEEEEvT_T0_DpT1_,"axG",@progbits,_ZN2at6native12_GLOBAL__N_125multi_tensor_apply_kernelINS1_18TensorListMetadataILi2EEENS1_11CopyFunctorIhdLi2ELi1ELi1EEEJNS0_4CopyIhdEEEEEvT_T0_DpT1_,comdat
.Lfunc_end161:
	.size	_ZN2at6native12_GLOBAL__N_125multi_tensor_apply_kernelINS1_18TensorListMetadataILi2EEENS1_11CopyFunctorIhdLi2ELi1ELi1EEEJNS0_4CopyIhdEEEEEvT_T0_DpT1_, .Lfunc_end161-_ZN2at6native12_GLOBAL__N_125multi_tensor_apply_kernelINS1_18TensorListMetadataILi2EEENS1_11CopyFunctorIhdLi2ELi1ELi1EEEJNS0_4CopyIhdEEEEEvT_T0_DpT1_
                                        ; -- End function
	.section	.AMDGPU.csdata,"",@progbits
; Kernel info:
; codeLenInByte = 1464
; NumSgprs: 22
; NumVgprs: 36
; ScratchSize: 0
; MemoryBound: 0
; FloatMode: 240
; IeeeMode: 1
; LDSByteSize: 0 bytes/workgroup (compile time only)
; SGPRBlocks: 2
; VGPRBlocks: 4
; NumSGPRsForWavesPerEU: 22
; NumVGPRsForWavesPerEU: 36
; Occupancy: 16
; WaveLimiterHint : 0
; COMPUTE_PGM_RSRC2:SCRATCH_EN: 0
; COMPUTE_PGM_RSRC2:USER_SGPR: 15
; COMPUTE_PGM_RSRC2:TRAP_HANDLER: 0
; COMPUTE_PGM_RSRC2:TGID_X_EN: 1
; COMPUTE_PGM_RSRC2:TGID_Y_EN: 0
; COMPUTE_PGM_RSRC2:TGID_Z_EN: 0
; COMPUTE_PGM_RSRC2:TIDIG_COMP_CNT: 0
	.section	.text._ZN2at6native12_GLOBAL__N_125multi_tensor_apply_kernelINS1_18TensorListMetadataILi2EEENS1_11CopyFunctorIhfLi2ELi1ELi1EEEJNS0_4CopyIhfEEEEEvT_T0_DpT1_,"axG",@progbits,_ZN2at6native12_GLOBAL__N_125multi_tensor_apply_kernelINS1_18TensorListMetadataILi2EEENS1_11CopyFunctorIhfLi2ELi1ELi1EEEJNS0_4CopyIhfEEEEEvT_T0_DpT1_,comdat
	.globl	_ZN2at6native12_GLOBAL__N_125multi_tensor_apply_kernelINS1_18TensorListMetadataILi2EEENS1_11CopyFunctorIhfLi2ELi1ELi1EEEJNS0_4CopyIhfEEEEEvT_T0_DpT1_ ; -- Begin function _ZN2at6native12_GLOBAL__N_125multi_tensor_apply_kernelINS1_18TensorListMetadataILi2EEENS1_11CopyFunctorIhfLi2ELi1ELi1EEEJNS0_4CopyIhfEEEEEvT_T0_DpT1_
	.p2align	8
	.type	_ZN2at6native12_GLOBAL__N_125multi_tensor_apply_kernelINS1_18TensorListMetadataILi2EEENS1_11CopyFunctorIhfLi2ELi1ELi1EEEJNS0_4CopyIhfEEEEEvT_T0_DpT1_,@function
_ZN2at6native12_GLOBAL__N_125multi_tensor_apply_kernelINS1_18TensorListMetadataILi2EEENS1_11CopyFunctorIhfLi2ELi1ELi1EEEJNS0_4CopyIhfEEEEEvT_T0_DpT1_: ; @_ZN2at6native12_GLOBAL__N_125multi_tensor_apply_kernelINS1_18TensorListMetadataILi2EEENS1_11CopyFunctorIhfLi2ELi1ELi1EEEJNS0_4CopyIhfEEEEEvT_T0_DpT1_
; %bb.0:
	v_mov_b32_e32 v1, s15
	s_add_u32 s2, s0, s15
	s_mul_i32 s4, s15, 3
	s_addc_u32 s3, s1, 0
	s_mul_hi_u32 s5, s15, 3
	global_load_u8 v1, v1, s[0:1] offset:1536
	s_add_u32 s2, s2, s4
	s_addc_u32 s3, s3, s5
	s_mov_b32 s17, 0
	s_load_b32 s10, s[2:3], 0x740
	s_waitcnt lgkmcnt(0)
	s_ashr_i32 s11, s10, 31
	s_delay_alu instid0(SALU_CYCLE_1) | instskip(SKIP_2) | instid1(VALU_DEP_1)
	s_lshl_b64 s[8:9], s[10:11], 16
	s_waitcnt vmcnt(0)
	v_readfirstlane_b32 s4, v1
	s_lshl_b32 s4, s4, 3
	s_clause 0x2
	s_load_b64 s[6:7], s[0:1], s4 offset:0x200
	s_load_b64 s[2:3], s[0:1], s4 offset:0x400
	;; [unrolled: 1-line block ×3, first 2 shown]
	s_waitcnt lgkmcnt(0)
	s_add_u32 s14, s6, s8
	s_addc_u32 s15, s7, s9
	s_delay_alu instid0(SALU_CYCLE_1) | instskip(SKIP_2) | instid1(SALU_CYCLE_1)
	s_or_b64 s[4:5], s[2:3], s[14:15]
	s_and_b32 s5, s12, 15
	s_and_b32 s4, s4, 3
	s_or_b32 s16, s4, s5
	s_sub_u32 s4, s2, s8
	s_subb_u32 s5, s3, s9
	s_cmp_eq_u64 s[16:17], 0
	s_mov_b32 s2, -1
	s_cbranch_scc0 .LBB162_5
; %bb.1:
	v_dual_mov_b32 v2, 0 :: v_dual_lshlrev_b32 v1, 2, v0
	s_mov_b32 s16, exec_lo
	s_delay_alu instid0(VALU_DEP_1)
	v_cmpx_gt_i64_e64 s[4:5], v[1:2]
	s_cbranch_execz .LBB162_4
; %bb.2:
	s_load_b32 s17, s[0:1], 0xc5c
	v_lshlrev_b32_e32 v3, 4, v0
	s_lshl_b64 s[2:3], s[10:11], 18
	s_mov_b32 s18, 0
	s_waitcnt lgkmcnt(0)
	s_and_b32 s19, s17, 0xffff
	s_delay_alu instid0(SALU_CYCLE_1) | instskip(SKIP_3) | instid1(VALU_DEP_1)
	s_lshl_b32 s17, s19, 2
	s_add_u32 s2, s12, s2
	s_addc_u32 s3, s13, s3
	v_add_co_u32 v3, s2, s2, v3
	v_add_co_ci_u32_e64 v4, null, s3, 0, s2
	s_lshl_b32 s19, s19, 4
	s_set_inst_prefetch_distance 0x1
	.p2align	6
.LBB162_3:                              ; =>This Inner Loop Header: Depth=1
	global_load_b128 v[5:8], v[3:4], off
	v_add_co_u32 v9, vcc_lo, s14, v1
	v_add_co_ci_u32_e32 v10, vcc_lo, s15, v2, vcc_lo
	v_add_co_u32 v1, vcc_lo, s17, v1
	v_add_co_ci_u32_e32 v2, vcc_lo, 0, v2, vcc_lo
	v_add_co_u32 v3, s3, v3, s19
	s_delay_alu instid0(VALU_DEP_1) | instskip(NEXT) | instid1(VALU_DEP_3)
	v_add_co_ci_u32_e64 v4, s3, 0, v4, s3
	v_cmp_le_i64_e32 vcc_lo, s[4:5], v[1:2]
	v_cmp_lt_u64_e64 s2, 0xffff, v[1:2]
	s_delay_alu instid0(VALU_DEP_1) | instskip(NEXT) | instid1(SALU_CYCLE_1)
	s_or_b32 s2, vcc_lo, s2
	s_and_b32 s2, exec_lo, s2
	s_delay_alu instid0(SALU_CYCLE_1)
	s_or_b32 s18, s2, s18
	s_waitcnt vmcnt(0)
	v_cvt_i32_f32_e32 v6, v6
	v_cvt_i32_f32_e32 v8, v8
	v_cvt_i32_f32_e32 v5, v5
	v_cvt_i32_f32_e32 v7, v7
	s_delay_alu instid0(VALU_DEP_4) | instskip(NEXT) | instid1(VALU_DEP_4)
	v_lshlrev_b16 v6, 8, v6
	v_lshlrev_b16 v8, 8, v8
	s_delay_alu instid0(VALU_DEP_2) | instskip(NEXT) | instid1(VALU_DEP_2)
	v_or_b32_e32 v5, v5, v6
	v_or_b32_e32 v6, v7, v8
	s_delay_alu instid0(VALU_DEP_2) | instskip(NEXT) | instid1(VALU_DEP_2)
	v_and_b32_e32 v5, 0xffff, v5
	v_lshlrev_b32_e32 v6, 16, v6
	s_delay_alu instid0(VALU_DEP_1)
	v_or_b32_e32 v5, v5, v6
	global_store_b32 v[9:10], v5, off
	s_and_not1_b32 exec_lo, exec_lo, s18
	s_cbranch_execnz .LBB162_3
.LBB162_4:
	s_set_inst_prefetch_distance 0x2
	s_or_b32 exec_lo, exec_lo, s16
	s_mov_b32 s2, 0
.LBB162_5:
	s_delay_alu instid0(SALU_CYCLE_1)
	s_and_not1_b32 vcc_lo, exec_lo, s2
	s_cbranch_vccnz .LBB162_25
; %bb.6:
	v_cmp_lt_i64_e64 s2, s[4:5], 1
	s_delay_alu instid0(VALU_DEP_1)
	s_and_b32 vcc_lo, exec_lo, s2
	s_cbranch_vccnz .LBB162_25
; %bb.7:
	s_load_b32 s0, s[0:1], 0xc5c
	v_cmp_gt_u64_e64 s1, 0x10000, s[4:5]
	v_add_co_u32 v5, s2, s8, v0
	v_lshlrev_b32_e32 v1, 2, v0
	v_add_co_ci_u32_e64 v6, null, s9, 0, s2
	s_delay_alu instid0(VALU_DEP_3) | instskip(NEXT) | instid1(VALU_DEP_2)
	v_add_co_u32 v13, vcc_lo, s6, v5
                                        ; implicit-def: $vgpr29
                                        ; implicit-def: $vgpr30
                                        ; implicit-def: $vgpr27
                                        ; implicit-def: $vgpr28
	v_add_co_ci_u32_e32 v14, vcc_lo, s7, v6, vcc_lo
	s_waitcnt lgkmcnt(0)
	s_and_b32 s0, s0, 0xffff
	s_and_b32 s1, s1, exec_lo
	s_cselect_b32 s3, s5, 0
	s_cselect_b32 s2, s4, 0x10000
	s_lshl_b64 s[10:11], s[10:11], 18
	s_lshl_b32 s14, s0, 1
	s_lshl_b32 s1, s0, 2
	s_add_u32 s12, s12, s10
	s_mul_i32 s15, s0, 3
	s_addc_u32 s13, s13, s11
	s_lshl_b32 s10, s0, 4
	v_add_co_u32 v1, s16, s12, v1
	s_add_u32 s11, s8, s15
	v_add_co_ci_u32_e64 v2, null, s13, 0, s16
	s_addc_u32 s16, s9, 0
	s_add_u32 s11, s6, s11
	s_addc_u32 s16, s7, s16
	v_add_co_u32 v15, s11, s11, v0
	s_delay_alu instid0(VALU_DEP_1)
	v_add_co_ci_u32_e64 v16, null, s16, 0, s11
	v_add_co_u32 v17, s11, s15, v0
	v_add_co_u32 v19, s15, v0, s0
	v_add_co_ci_u32_e64 v18, null, 0, 0, s11
	s_lshl_b32 s11, s0, 3
	s_add_u32 s8, s8, s14
	s_addc_u32 s9, s9, 0
	s_add_u32 s8, s6, s8
	v_lshlrev_b32_e32 v3, 2, v19
	s_addc_u32 s9, s7, s9
	v_add_co_u32 v20, s8, s8, v0
	s_delay_alu instid0(VALU_DEP_1)
	v_add_co_ci_u32_e64 v21, null, s9, 0, s8
	v_add_co_u32 v23, s8, s14, v0
	s_add_u32 s6, s6, s0
	v_add_co_ci_u32_e64 v24, null, 0, 0, s8
	v_add_co_u32 v3, s8, s12, v3
	s_addc_u32 s7, s7, 0
	v_add_co_u32 v25, vcc_lo, s6, v5
	v_add_co_ci_u32_e64 v22, null, 0, 0, s15
	v_add_co_ci_u32_e64 v4, null, s13, 0, s8
	v_add_co_ci_u32_e32 v26, vcc_lo, s7, v6, vcc_lo
	s_mul_i32 s8, s0, 12
	s_mov_b64 s[6:7], 0
	s_branch .LBB162_9
.LBB162_8:                              ;   in Loop: Header=BB162_9 Depth=1
	s_or_b32 exec_lo, exec_lo, s0
	s_add_u32 s6, s6, s1
	s_addc_u32 s7, s7, 0
	v_add_co_u32 v1, vcc_lo, v1, s10
	v_cmp_ge_i64_e64 s0, s[6:7], s[4:5]
	v_cmp_lt_u64_e64 s9, 0xffff, s[6:7]
	v_add_co_ci_u32_e32 v2, vcc_lo, 0, v2, vcc_lo
	v_add_co_u32 v3, vcc_lo, v3, s10
	v_add_co_ci_u32_e32 v4, vcc_lo, 0, v4, vcc_lo
	s_delay_alu instid0(VALU_DEP_4) | instskip(NEXT) | instid1(SALU_CYCLE_1)
	s_or_b32 s0, s0, s9
	s_and_b32 vcc_lo, exec_lo, s0
	s_cbranch_vccnz .LBB162_25
.LBB162_9:                              ; =>This Inner Loop Header: Depth=1
	v_add_co_u32 v5, s0, v0, s6
	s_delay_alu instid0(VALU_DEP_1) | instskip(NEXT) | instid1(VALU_DEP_1)
	v_add_co_ci_u32_e64 v6, null, 0, s7, s0
	v_cmp_gt_i64_e32 vcc_lo, s[4:5], v[5:6]
	v_cmp_gt_u64_e64 s0, 0x10000, v[5:6]
	s_delay_alu instid0(VALU_DEP_1) | instskip(NEXT) | instid1(SALU_CYCLE_1)
	s_and_b32 s9, vcc_lo, s0
	s_and_saveexec_b32 s0, s9
	s_cbranch_execz .LBB162_11
; %bb.10:                               ;   in Loop: Header=BB162_9 Depth=1
	global_load_b32 v28, v[1:2], off
.LBB162_11:                             ;   in Loop: Header=BB162_9 Depth=1
	s_or_b32 exec_lo, exec_lo, s0
	v_add_co_u32 v7, vcc_lo, v19, s6
	v_add_co_ci_u32_e32 v8, vcc_lo, s7, v22, vcc_lo
	s_delay_alu instid0(VALU_DEP_1) | instskip(SKIP_1) | instid1(VALU_DEP_1)
	v_cmp_gt_i64_e32 vcc_lo, s[4:5], v[7:8]
	v_cmp_gt_u64_e64 s0, 0x10000, v[7:8]
	s_and_b32 s9, vcc_lo, s0
	s_delay_alu instid0(SALU_CYCLE_1)
	s_and_saveexec_b32 s0, s9
	s_cbranch_execz .LBB162_13
; %bb.12:                               ;   in Loop: Header=BB162_9 Depth=1
	global_load_b32 v27, v[3:4], off
.LBB162_13:                             ;   in Loop: Header=BB162_9 Depth=1
	s_or_b32 exec_lo, exec_lo, s0
	v_add_co_u32 v9, vcc_lo, v23, s6
	v_add_co_ci_u32_e32 v10, vcc_lo, s7, v24, vcc_lo
	s_delay_alu instid0(VALU_DEP_1) | instskip(SKIP_1) | instid1(VALU_DEP_1)
	v_cmp_gt_i64_e32 vcc_lo, s[4:5], v[9:10]
	v_cmp_gt_u64_e64 s0, 0x10000, v[9:10]
	s_and_b32 s9, vcc_lo, s0
	s_delay_alu instid0(SALU_CYCLE_1)
	s_and_saveexec_b32 s0, s9
	s_cbranch_execz .LBB162_15
; %bb.14:                               ;   in Loop: Header=BB162_9 Depth=1
	v_add_co_u32 v11, vcc_lo, v1, s11
	v_add_co_ci_u32_e32 v12, vcc_lo, 0, v2, vcc_lo
	global_load_b32 v30, v[11:12], off
.LBB162_15:                             ;   in Loop: Header=BB162_9 Depth=1
	s_or_b32 exec_lo, exec_lo, s0
	v_add_co_u32 v11, vcc_lo, v17, s6
	v_add_co_ci_u32_e32 v12, vcc_lo, s7, v18, vcc_lo
	s_delay_alu instid0(VALU_DEP_1) | instskip(SKIP_1) | instid1(VALU_DEP_1)
	v_cmp_gt_i64_e32 vcc_lo, s[4:5], v[11:12]
	v_cmp_gt_u64_e64 s0, 0x10000, v[11:12]
	s_and_b32 s9, vcc_lo, s0
	s_delay_alu instid0(SALU_CYCLE_1)
	s_and_saveexec_b32 s0, s9
	s_cbranch_execnz .LBB162_20
; %bb.16:                               ;   in Loop: Header=BB162_9 Depth=1
	s_or_b32 exec_lo, exec_lo, s0
	s_delay_alu instid0(SALU_CYCLE_1)
	s_mov_b32 s0, exec_lo
	v_cmpx_gt_u64_e64 s[2:3], v[5:6]
	s_cbranch_execnz .LBB162_21
.LBB162_17:                             ;   in Loop: Header=BB162_9 Depth=1
	s_or_b32 exec_lo, exec_lo, s0
	s_delay_alu instid0(SALU_CYCLE_1)
	s_mov_b32 s0, exec_lo
	v_cmpx_gt_u64_e64 s[2:3], v[7:8]
	s_cbranch_execnz .LBB162_22
.LBB162_18:                             ;   in Loop: Header=BB162_9 Depth=1
	s_or_b32 exec_lo, exec_lo, s0
	s_delay_alu instid0(SALU_CYCLE_1)
	s_mov_b32 s0, exec_lo
	v_cmpx_gt_u64_e64 s[2:3], v[9:10]
	s_cbranch_execnz .LBB162_23
.LBB162_19:                             ;   in Loop: Header=BB162_9 Depth=1
	s_or_b32 exec_lo, exec_lo, s0
	s_delay_alu instid0(SALU_CYCLE_1)
	s_mov_b32 s0, exec_lo
	v_cmpx_gt_u64_e64 s[2:3], v[11:12]
	s_cbranch_execz .LBB162_8
	s_branch .LBB162_24
.LBB162_20:                             ;   in Loop: Header=BB162_9 Depth=1
	v_add_co_u32 v31, vcc_lo, v1, s8
	v_add_co_ci_u32_e32 v32, vcc_lo, 0, v2, vcc_lo
	global_load_b32 v29, v[31:32], off
	s_or_b32 exec_lo, exec_lo, s0
	s_delay_alu instid0(SALU_CYCLE_1)
	s_mov_b32 s0, exec_lo
	v_cmpx_gt_u64_e64 s[2:3], v[5:6]
	s_cbranch_execz .LBB162_17
.LBB162_21:                             ;   in Loop: Header=BB162_9 Depth=1
	v_add_co_u32 v5, vcc_lo, v13, s6
	v_add_co_ci_u32_e32 v6, vcc_lo, s7, v14, vcc_lo
	s_waitcnt vmcnt(0)
	v_cvt_i32_f32_e32 v31, v28
	global_store_b8 v[5:6], v31, off
	s_or_b32 exec_lo, exec_lo, s0
	s_delay_alu instid0(SALU_CYCLE_1)
	s_mov_b32 s0, exec_lo
	v_cmpx_gt_u64_e64 s[2:3], v[7:8]
	s_cbranch_execz .LBB162_18
.LBB162_22:                             ;   in Loop: Header=BB162_9 Depth=1
	v_add_co_u32 v5, vcc_lo, v25, s6
	s_waitcnt vmcnt(0)
	v_cvt_i32_f32_e32 v7, v27
	v_add_co_ci_u32_e32 v6, vcc_lo, s7, v26, vcc_lo
	global_store_b8 v[5:6], v7, off
	s_or_b32 exec_lo, exec_lo, s0
	s_delay_alu instid0(SALU_CYCLE_1)
	s_mov_b32 s0, exec_lo
	v_cmpx_gt_u64_e64 s[2:3], v[9:10]
	s_cbranch_execz .LBB162_19
.LBB162_23:                             ;   in Loop: Header=BB162_9 Depth=1
	v_add_co_u32 v5, vcc_lo, v20, s6
	s_waitcnt vmcnt(0)
	v_cvt_i32_f32_e32 v7, v30
	v_add_co_ci_u32_e32 v6, vcc_lo, s7, v21, vcc_lo
	global_store_b8 v[5:6], v7, off
	s_or_b32 exec_lo, exec_lo, s0
	s_delay_alu instid0(SALU_CYCLE_1)
	s_mov_b32 s0, exec_lo
	v_cmpx_gt_u64_e64 s[2:3], v[11:12]
	s_cbranch_execz .LBB162_8
.LBB162_24:                             ;   in Loop: Header=BB162_9 Depth=1
	v_add_co_u32 v5, vcc_lo, v15, s6
	s_waitcnt vmcnt(0)
	v_cvt_i32_f32_e32 v7, v29
	v_add_co_ci_u32_e32 v6, vcc_lo, s7, v16, vcc_lo
	global_store_b8 v[5:6], v7, off
	s_branch .LBB162_8
.LBB162_25:
	s_nop 0
	s_sendmsg sendmsg(MSG_DEALLOC_VGPRS)
	s_endpgm
	.section	.rodata,"a",@progbits
	.p2align	6, 0x0
	.amdhsa_kernel _ZN2at6native12_GLOBAL__N_125multi_tensor_apply_kernelINS1_18TensorListMetadataILi2EEENS1_11CopyFunctorIhfLi2ELi1ELi1EEEJNS0_4CopyIhfEEEEEvT_T0_DpT1_
		.amdhsa_group_segment_fixed_size 0
		.amdhsa_private_segment_fixed_size 0
		.amdhsa_kernarg_size 3408
		.amdhsa_user_sgpr_count 15
		.amdhsa_user_sgpr_dispatch_ptr 0
		.amdhsa_user_sgpr_queue_ptr 0
		.amdhsa_user_sgpr_kernarg_segment_ptr 1
		.amdhsa_user_sgpr_dispatch_id 0
		.amdhsa_user_sgpr_private_segment_size 0
		.amdhsa_wavefront_size32 1
		.amdhsa_uses_dynamic_stack 0
		.amdhsa_enable_private_segment 0
		.amdhsa_system_sgpr_workgroup_id_x 1
		.amdhsa_system_sgpr_workgroup_id_y 0
		.amdhsa_system_sgpr_workgroup_id_z 0
		.amdhsa_system_sgpr_workgroup_info 0
		.amdhsa_system_vgpr_workitem_id 0
		.amdhsa_next_free_vgpr 33
		.amdhsa_next_free_sgpr 20
		.amdhsa_reserve_vcc 1
		.amdhsa_float_round_mode_32 0
		.amdhsa_float_round_mode_16_64 0
		.amdhsa_float_denorm_mode_32 3
		.amdhsa_float_denorm_mode_16_64 3
		.amdhsa_dx10_clamp 1
		.amdhsa_ieee_mode 1
		.amdhsa_fp16_overflow 0
		.amdhsa_workgroup_processor_mode 1
		.amdhsa_memory_ordered 1
		.amdhsa_forward_progress 0
		.amdhsa_shared_vgpr_count 0
		.amdhsa_exception_fp_ieee_invalid_op 0
		.amdhsa_exception_fp_denorm_src 0
		.amdhsa_exception_fp_ieee_div_zero 0
		.amdhsa_exception_fp_ieee_overflow 0
		.amdhsa_exception_fp_ieee_underflow 0
		.amdhsa_exception_fp_ieee_inexact 0
		.amdhsa_exception_int_div_zero 0
	.end_amdhsa_kernel
	.section	.text._ZN2at6native12_GLOBAL__N_125multi_tensor_apply_kernelINS1_18TensorListMetadataILi2EEENS1_11CopyFunctorIhfLi2ELi1ELi1EEEJNS0_4CopyIhfEEEEEvT_T0_DpT1_,"axG",@progbits,_ZN2at6native12_GLOBAL__N_125multi_tensor_apply_kernelINS1_18TensorListMetadataILi2EEENS1_11CopyFunctorIhfLi2ELi1ELi1EEEJNS0_4CopyIhfEEEEEvT_T0_DpT1_,comdat
.Lfunc_end162:
	.size	_ZN2at6native12_GLOBAL__N_125multi_tensor_apply_kernelINS1_18TensorListMetadataILi2EEENS1_11CopyFunctorIhfLi2ELi1ELi1EEEJNS0_4CopyIhfEEEEEvT_T0_DpT1_, .Lfunc_end162-_ZN2at6native12_GLOBAL__N_125multi_tensor_apply_kernelINS1_18TensorListMetadataILi2EEENS1_11CopyFunctorIhfLi2ELi1ELi1EEEJNS0_4CopyIhfEEEEEvT_T0_DpT1_
                                        ; -- End function
	.section	.AMDGPU.csdata,"",@progbits
; Kernel info:
; codeLenInByte = 1444
; NumSgprs: 22
; NumVgprs: 33
; ScratchSize: 0
; MemoryBound: 0
; FloatMode: 240
; IeeeMode: 1
; LDSByteSize: 0 bytes/workgroup (compile time only)
; SGPRBlocks: 2
; VGPRBlocks: 4
; NumSGPRsForWavesPerEU: 22
; NumVGPRsForWavesPerEU: 33
; Occupancy: 16
; WaveLimiterHint : 0
; COMPUTE_PGM_RSRC2:SCRATCH_EN: 0
; COMPUTE_PGM_RSRC2:USER_SGPR: 15
; COMPUTE_PGM_RSRC2:TRAP_HANDLER: 0
; COMPUTE_PGM_RSRC2:TGID_X_EN: 1
; COMPUTE_PGM_RSRC2:TGID_Y_EN: 0
; COMPUTE_PGM_RSRC2:TGID_Z_EN: 0
; COMPUTE_PGM_RSRC2:TIDIG_COMP_CNT: 0
	.section	.text._ZN2at6native12_GLOBAL__N_125multi_tensor_apply_kernelINS1_18TensorListMetadataILi2EEENS1_11CopyFunctorIhN3c107complexIdEELi2ELi1ELi1EEEJNS0_4CopyIhS8_EEEEEvT_T0_DpT1_,"axG",@progbits,_ZN2at6native12_GLOBAL__N_125multi_tensor_apply_kernelINS1_18TensorListMetadataILi2EEENS1_11CopyFunctorIhN3c107complexIdEELi2ELi1ELi1EEEJNS0_4CopyIhS8_EEEEEvT_T0_DpT1_,comdat
	.globl	_ZN2at6native12_GLOBAL__N_125multi_tensor_apply_kernelINS1_18TensorListMetadataILi2EEENS1_11CopyFunctorIhN3c107complexIdEELi2ELi1ELi1EEEJNS0_4CopyIhS8_EEEEEvT_T0_DpT1_ ; -- Begin function _ZN2at6native12_GLOBAL__N_125multi_tensor_apply_kernelINS1_18TensorListMetadataILi2EEENS1_11CopyFunctorIhN3c107complexIdEELi2ELi1ELi1EEEJNS0_4CopyIhS8_EEEEEvT_T0_DpT1_
	.p2align	8
	.type	_ZN2at6native12_GLOBAL__N_125multi_tensor_apply_kernelINS1_18TensorListMetadataILi2EEENS1_11CopyFunctorIhN3c107complexIdEELi2ELi1ELi1EEEJNS0_4CopyIhS8_EEEEEvT_T0_DpT1_,@function
_ZN2at6native12_GLOBAL__N_125multi_tensor_apply_kernelINS1_18TensorListMetadataILi2EEENS1_11CopyFunctorIhN3c107complexIdEELi2ELi1ELi1EEEJNS0_4CopyIhS8_EEEEEvT_T0_DpT1_: ; @_ZN2at6native12_GLOBAL__N_125multi_tensor_apply_kernelINS1_18TensorListMetadataILi2EEENS1_11CopyFunctorIhN3c107complexIdEELi2ELi1ELi1EEEJNS0_4CopyIhS8_EEEEEvT_T0_DpT1_
; %bb.0:
	v_mov_b32_e32 v1, s15
	s_add_u32 s2, s0, s15
	s_mul_i32 s4, s15, 3
	s_addc_u32 s3, s1, 0
	s_mul_hi_u32 s5, s15, 3
	global_load_u8 v1, v1, s[0:1] offset:1536
	s_add_u32 s2, s2, s4
	s_addc_u32 s3, s3, s5
	s_mov_b32 s17, 0
	s_load_b32 s10, s[2:3], 0x740
	s_waitcnt lgkmcnt(0)
	s_ashr_i32 s11, s10, 31
	s_delay_alu instid0(SALU_CYCLE_1) | instskip(SKIP_2) | instid1(VALU_DEP_1)
	s_lshl_b64 s[8:9], s[10:11], 16
	s_waitcnt vmcnt(0)
	v_readfirstlane_b32 s4, v1
	s_lshl_b32 s4, s4, 3
	s_clause 0x2
	s_load_b64 s[6:7], s[0:1], s4 offset:0x200
	s_load_b64 s[2:3], s[0:1], s4 offset:0x400
	;; [unrolled: 1-line block ×3, first 2 shown]
	s_waitcnt lgkmcnt(0)
	s_add_u32 s14, s6, s8
	s_addc_u32 s15, s7, s9
	s_delay_alu instid0(SALU_CYCLE_1) | instskip(SKIP_2) | instid1(SALU_CYCLE_1)
	s_or_b64 s[4:5], s[2:3], s[14:15]
	s_and_b32 s5, s12, 63
	s_and_b32 s4, s4, 3
	s_or_b32 s16, s4, s5
	s_sub_u32 s4, s2, s8
	s_subb_u32 s5, s3, s9
	s_cmp_eq_u64 s[16:17], 0
	s_mov_b32 s2, -1
	s_cbranch_scc0 .LBB163_5
; %bb.1:
	v_dual_mov_b32 v2, 0 :: v_dual_lshlrev_b32 v1, 2, v0
	s_mov_b32 s16, exec_lo
	s_delay_alu instid0(VALU_DEP_1)
	v_cmpx_gt_i64_e64 s[4:5], v[1:2]
	s_cbranch_execz .LBB163_4
; %bb.2:
	s_load_b32 s17, s[0:1], 0xc5c
	v_lshlrev_b32_e32 v3, 6, v0
	s_lshl_b64 s[2:3], s[10:11], 20
	s_mov_b32 s18, 0
	s_waitcnt lgkmcnt(0)
	s_and_b32 s19, s17, 0xffff
	s_delay_alu instid0(SALU_CYCLE_1) | instskip(SKIP_3) | instid1(VALU_DEP_1)
	s_lshl_b32 s17, s19, 2
	s_add_u32 s2, s12, s2
	s_addc_u32 s3, s13, s3
	v_add_co_u32 v3, s2, s2, v3
	v_add_co_ci_u32_e64 v4, null, s3, 0, s2
	s_lshl_b32 s19, s19, 6
	s_set_inst_prefetch_distance 0x1
	.p2align	6
.LBB163_3:                              ; =>This Inner Loop Header: Depth=1
	s_clause 0x3
	global_load_b64 v[5:6], v[3:4], off offset:16
	global_load_b64 v[7:8], v[3:4], off offset:48
	global_load_b64 v[9:10], v[3:4], off
	global_load_b64 v[11:12], v[3:4], off offset:32
	v_add_co_u32 v3, s3, v3, s19
	s_delay_alu instid0(VALU_DEP_1)
	v_add_co_ci_u32_e64 v4, s3, 0, v4, s3
	s_waitcnt vmcnt(3)
	v_cvt_i32_f64_e32 v13, v[5:6]
	s_waitcnt vmcnt(2)
	v_cvt_i32_f64_e32 v7, v[7:8]
	;; [unrolled: 2-line block ×4, first 2 shown]
	v_add_co_u32 v5, vcc_lo, s14, v1
	v_add_co_ci_u32_e32 v6, vcc_lo, s15, v2, vcc_lo
	v_add_co_u32 v1, vcc_lo, s17, v1
	v_add_co_ci_u32_e32 v2, vcc_lo, 0, v2, vcc_lo
	s_delay_alu instid0(VALU_DEP_1) | instskip(SKIP_1) | instid1(VALU_DEP_1)
	v_cmp_le_i64_e32 vcc_lo, s[4:5], v[1:2]
	v_cmp_lt_u64_e64 s2, 0xffff, v[1:2]
	s_or_b32 s2, vcc_lo, s2
	s_delay_alu instid0(SALU_CYCLE_1) | instskip(NEXT) | instid1(SALU_CYCLE_1)
	s_and_b32 s2, exec_lo, s2
	s_or_b32 s18, s2, s18
	v_lshlrev_b16 v10, 8, v13
	v_lshlrev_b16 v7, 8, v7
	s_delay_alu instid0(VALU_DEP_2) | instskip(NEXT) | instid1(VALU_DEP_2)
	v_or_b32_e32 v8, v8, v10
	v_or_b32_e32 v7, v9, v7
	s_delay_alu instid0(VALU_DEP_2) | instskip(NEXT) | instid1(VALU_DEP_2)
	v_and_b32_e32 v8, 0xffff, v8
	v_lshlrev_b32_e32 v7, 16, v7
	s_delay_alu instid0(VALU_DEP_1)
	v_or_b32_e32 v7, v8, v7
	global_store_b32 v[5:6], v7, off
	s_and_not1_b32 exec_lo, exec_lo, s18
	s_cbranch_execnz .LBB163_3
.LBB163_4:
	s_set_inst_prefetch_distance 0x2
	s_or_b32 exec_lo, exec_lo, s16
	s_mov_b32 s2, 0
.LBB163_5:
	s_delay_alu instid0(SALU_CYCLE_1)
	s_and_not1_b32 vcc_lo, exec_lo, s2
	s_cbranch_vccnz .LBB163_25
; %bb.6:
	v_cmp_lt_i64_e64 s2, s[4:5], 1
	s_delay_alu instid0(VALU_DEP_1)
	s_and_b32 vcc_lo, exec_lo, s2
	s_cbranch_vccnz .LBB163_25
; %bb.7:
	s_load_b32 s0, s[0:1], 0xc5c
	v_cmp_gt_u64_e64 s1, 0x10000, s[4:5]
	v_add_co_u32 v7, s2, s8, v0
	v_lshlrev_b32_e32 v1, 4, v0
	v_add_co_ci_u32_e64 v8, null, s9, 0, s2
	v_mov_b32_e32 v5, 0
	v_mov_b32_e32 v6, 0
	v_add_co_u32 v21, vcc_lo, s6, v7
	s_delay_alu instid0(VALU_DEP_4) | instskip(NEXT) | instid1(VALU_DEP_3)
	v_add_co_ci_u32_e32 v22, vcc_lo, s7, v8, vcc_lo
	v_dual_mov_b32 v12, v6 :: v_dual_mov_b32 v11, v5
	v_dual_mov_b32 v10, v6 :: v_dual_mov_b32 v9, v5
	s_waitcnt lgkmcnt(0)
	s_and_b32 s0, s0, 0xffff
	s_and_b32 s1, s1, exec_lo
	s_cselect_b32 s3, s5, 0
	s_cselect_b32 s2, s4, 0x10000
	s_lshl_b64 s[10:11], s[10:11], 20
	s_lshl_b32 s14, s0, 1
	s_lshl_b32 s1, s0, 2
	s_add_u32 s12, s12, s10
	s_mul_i32 s15, s0, 3
	s_addc_u32 s13, s13, s11
	s_lshl_b32 s10, s0, 6
	v_add_co_u32 v1, s16, s12, v1
	s_add_u32 s11, s8, s15
	v_add_co_ci_u32_e64 v2, null, s13, 0, s16
	s_addc_u32 s16, s9, 0
	s_add_u32 s11, s6, s11
	s_addc_u32 s16, s7, s16
	v_add_co_u32 v23, s11, s11, v0
	s_delay_alu instid0(VALU_DEP_1)
	v_add_co_ci_u32_e64 v24, null, s16, 0, s11
	v_add_co_u32 v25, s11, s15, v0
	v_add_co_u32 v27, s15, v0, s0
	v_add_co_ci_u32_e64 v26, null, 0, 0, s11
	s_lshl_b32 s11, s0, 5
	s_add_u32 s8, s8, s14
	s_addc_u32 s9, s9, 0
	s_add_u32 s8, s6, s8
	s_addc_u32 s9, s7, s9
	v_lshlrev_b32_e32 v3, 4, v27
	v_add_co_u32 v28, s8, s8, v0
	s_add_u32 s6, s6, s0
	v_add_co_ci_u32_e64 v29, null, s9, 0, s8
	v_add_co_u32 v31, s8, s14, v0
	s_addc_u32 s7, s7, 0
	v_add_co_u32 v33, vcc_lo, s6, v7
	v_add_co_ci_u32_e64 v32, null, 0, 0, s8
	v_add_co_u32 v3, s8, s12, v3
	v_add_co_ci_u32_e32 v34, vcc_lo, s7, v8, vcc_lo
	v_dual_mov_b32 v8, v6 :: v_dual_mov_b32 v7, v5
	v_add_co_ci_u32_e64 v30, null, 0, 0, s15
	v_add_co_ci_u32_e64 v4, null, s13, 0, s8
	s_mul_i32 s8, s0, 48
	s_mov_b64 s[6:7], 0
	s_branch .LBB163_9
.LBB163_8:                              ;   in Loop: Header=BB163_9 Depth=1
	s_or_b32 exec_lo, exec_lo, s0
	s_add_u32 s6, s6, s1
	s_addc_u32 s7, s7, 0
	v_add_co_u32 v1, vcc_lo, v1, s10
	v_cmp_ge_i64_e64 s0, s[6:7], s[4:5]
	v_cmp_lt_u64_e64 s9, 0xffff, s[6:7]
	v_add_co_ci_u32_e32 v2, vcc_lo, 0, v2, vcc_lo
	v_add_co_u32 v3, vcc_lo, v3, s10
	v_add_co_ci_u32_e32 v4, vcc_lo, 0, v4, vcc_lo
	s_delay_alu instid0(VALU_DEP_4) | instskip(NEXT) | instid1(SALU_CYCLE_1)
	s_or_b32 s0, s0, s9
	s_and_b32 vcc_lo, exec_lo, s0
	s_cbranch_vccnz .LBB163_25
.LBB163_9:                              ; =>This Inner Loop Header: Depth=1
	v_add_co_u32 v13, s0, v0, s6
	s_delay_alu instid0(VALU_DEP_1) | instskip(NEXT) | instid1(VALU_DEP_1)
	v_add_co_ci_u32_e64 v14, null, 0, s7, s0
	v_cmp_gt_i64_e32 vcc_lo, s[4:5], v[13:14]
	v_cmp_gt_u64_e64 s0, 0x10000, v[13:14]
	s_delay_alu instid0(VALU_DEP_1) | instskip(NEXT) | instid1(SALU_CYCLE_1)
	s_and_b32 s9, vcc_lo, s0
	s_and_saveexec_b32 s0, s9
	s_cbranch_execz .LBB163_11
; %bb.10:                               ;   in Loop: Header=BB163_9 Depth=1
	global_load_b64 v[9:10], v[1:2], off
.LBB163_11:                             ;   in Loop: Header=BB163_9 Depth=1
	s_or_b32 exec_lo, exec_lo, s0
	v_add_co_u32 v15, vcc_lo, v27, s6
	v_add_co_ci_u32_e32 v16, vcc_lo, s7, v30, vcc_lo
	s_delay_alu instid0(VALU_DEP_1) | instskip(SKIP_1) | instid1(VALU_DEP_1)
	v_cmp_gt_i64_e32 vcc_lo, s[4:5], v[15:16]
	v_cmp_gt_u64_e64 s0, 0x10000, v[15:16]
	s_and_b32 s9, vcc_lo, s0
	s_delay_alu instid0(SALU_CYCLE_1)
	s_and_saveexec_b32 s0, s9
	s_cbranch_execz .LBB163_13
; %bb.12:                               ;   in Loop: Header=BB163_9 Depth=1
	global_load_b64 v[7:8], v[3:4], off
.LBB163_13:                             ;   in Loop: Header=BB163_9 Depth=1
	s_or_b32 exec_lo, exec_lo, s0
	v_add_co_u32 v17, vcc_lo, v31, s6
	v_add_co_ci_u32_e32 v18, vcc_lo, s7, v32, vcc_lo
	s_delay_alu instid0(VALU_DEP_1) | instskip(SKIP_1) | instid1(VALU_DEP_1)
	v_cmp_gt_i64_e32 vcc_lo, s[4:5], v[17:18]
	v_cmp_gt_u64_e64 s0, 0x10000, v[17:18]
	s_and_b32 s9, vcc_lo, s0
	s_delay_alu instid0(SALU_CYCLE_1)
	s_and_saveexec_b32 s0, s9
	s_cbranch_execz .LBB163_15
; %bb.14:                               ;   in Loop: Header=BB163_9 Depth=1
	s_waitcnt vmcnt(0)
	v_add_co_u32 v11, vcc_lo, v1, s11
	v_add_co_ci_u32_e32 v12, vcc_lo, 0, v2, vcc_lo
	global_load_b64 v[11:12], v[11:12], off
.LBB163_15:                             ;   in Loop: Header=BB163_9 Depth=1
	s_or_b32 exec_lo, exec_lo, s0
	v_add_co_u32 v19, vcc_lo, v25, s6
	v_add_co_ci_u32_e32 v20, vcc_lo, s7, v26, vcc_lo
	s_delay_alu instid0(VALU_DEP_1) | instskip(SKIP_1) | instid1(VALU_DEP_1)
	v_cmp_gt_i64_e32 vcc_lo, s[4:5], v[19:20]
	v_cmp_gt_u64_e64 s0, 0x10000, v[19:20]
	s_and_b32 s9, vcc_lo, s0
	s_delay_alu instid0(SALU_CYCLE_1)
	s_and_saveexec_b32 s0, s9
	s_cbranch_execnz .LBB163_20
; %bb.16:                               ;   in Loop: Header=BB163_9 Depth=1
	s_or_b32 exec_lo, exec_lo, s0
	s_delay_alu instid0(SALU_CYCLE_1)
	s_mov_b32 s0, exec_lo
	v_cmpx_gt_u64_e64 s[2:3], v[13:14]
	s_cbranch_execnz .LBB163_21
.LBB163_17:                             ;   in Loop: Header=BB163_9 Depth=1
	s_or_b32 exec_lo, exec_lo, s0
	s_delay_alu instid0(SALU_CYCLE_1)
	s_mov_b32 s0, exec_lo
	v_cmpx_gt_u64_e64 s[2:3], v[15:16]
	s_cbranch_execnz .LBB163_22
.LBB163_18:                             ;   in Loop: Header=BB163_9 Depth=1
	s_or_b32 exec_lo, exec_lo, s0
	s_delay_alu instid0(SALU_CYCLE_1)
	s_mov_b32 s0, exec_lo
	v_cmpx_gt_u64_e64 s[2:3], v[17:18]
	s_cbranch_execnz .LBB163_23
.LBB163_19:                             ;   in Loop: Header=BB163_9 Depth=1
	s_or_b32 exec_lo, exec_lo, s0
	s_delay_alu instid0(SALU_CYCLE_1)
	s_mov_b32 s0, exec_lo
	v_cmpx_gt_u64_e64 s[2:3], v[19:20]
	s_cbranch_execz .LBB163_8
	s_branch .LBB163_24
.LBB163_20:                             ;   in Loop: Header=BB163_9 Depth=1
	s_waitcnt vmcnt(0)
	v_add_co_u32 v5, vcc_lo, v1, s8
	v_add_co_ci_u32_e32 v6, vcc_lo, 0, v2, vcc_lo
	global_load_b64 v[5:6], v[5:6], off
	s_or_b32 exec_lo, exec_lo, s0
	s_delay_alu instid0(SALU_CYCLE_1)
	s_mov_b32 s0, exec_lo
	v_cmpx_gt_u64_e64 s[2:3], v[13:14]
	s_cbranch_execz .LBB163_17
.LBB163_21:                             ;   in Loop: Header=BB163_9 Depth=1
	s_waitcnt vmcnt(0)
	v_cvt_i32_f64_e32 v35, v[9:10]
	v_add_co_u32 v13, vcc_lo, v21, s6
	v_add_co_ci_u32_e32 v14, vcc_lo, s7, v22, vcc_lo
	global_store_b8 v[13:14], v35, off
	s_or_b32 exec_lo, exec_lo, s0
	s_delay_alu instid0(SALU_CYCLE_1)
	s_mov_b32 s0, exec_lo
	v_cmpx_gt_u64_e64 s[2:3], v[15:16]
	s_cbranch_execz .LBB163_18
.LBB163_22:                             ;   in Loop: Header=BB163_9 Depth=1
	s_waitcnt vmcnt(0)
	v_cvt_i32_f64_e32 v15, v[7:8]
	v_add_co_u32 v13, vcc_lo, v33, s6
	v_add_co_ci_u32_e32 v14, vcc_lo, s7, v34, vcc_lo
	global_store_b8 v[13:14], v15, off
	s_or_b32 exec_lo, exec_lo, s0
	s_delay_alu instid0(SALU_CYCLE_1)
	s_mov_b32 s0, exec_lo
	v_cmpx_gt_u64_e64 s[2:3], v[17:18]
	s_cbranch_execz .LBB163_19
.LBB163_23:                             ;   in Loop: Header=BB163_9 Depth=1
	s_waitcnt vmcnt(0)
	v_cvt_i32_f64_e32 v15, v[11:12]
	v_add_co_u32 v13, vcc_lo, v28, s6
	v_add_co_ci_u32_e32 v14, vcc_lo, s7, v29, vcc_lo
	global_store_b8 v[13:14], v15, off
	s_or_b32 exec_lo, exec_lo, s0
	s_delay_alu instid0(SALU_CYCLE_1)
	s_mov_b32 s0, exec_lo
	v_cmpx_gt_u64_e64 s[2:3], v[19:20]
	s_cbranch_execz .LBB163_8
.LBB163_24:                             ;   in Loop: Header=BB163_9 Depth=1
	s_waitcnt vmcnt(0)
	v_cvt_i32_f64_e32 v15, v[5:6]
	v_add_co_u32 v13, vcc_lo, v23, s6
	v_add_co_ci_u32_e32 v14, vcc_lo, s7, v24, vcc_lo
	global_store_b8 v[13:14], v15, off
	s_branch .LBB163_8
.LBB163_25:
	s_nop 0
	s_sendmsg sendmsg(MSG_DEALLOC_VGPRS)
	s_endpgm
	.section	.rodata,"a",@progbits
	.p2align	6, 0x0
	.amdhsa_kernel _ZN2at6native12_GLOBAL__N_125multi_tensor_apply_kernelINS1_18TensorListMetadataILi2EEENS1_11CopyFunctorIhN3c107complexIdEELi2ELi1ELi1EEEJNS0_4CopyIhS8_EEEEEvT_T0_DpT1_
		.amdhsa_group_segment_fixed_size 0
		.amdhsa_private_segment_fixed_size 0
		.amdhsa_kernarg_size 3408
		.amdhsa_user_sgpr_count 15
		.amdhsa_user_sgpr_dispatch_ptr 0
		.amdhsa_user_sgpr_queue_ptr 0
		.amdhsa_user_sgpr_kernarg_segment_ptr 1
		.amdhsa_user_sgpr_dispatch_id 0
		.amdhsa_user_sgpr_private_segment_size 0
		.amdhsa_wavefront_size32 1
		.amdhsa_uses_dynamic_stack 0
		.amdhsa_enable_private_segment 0
		.amdhsa_system_sgpr_workgroup_id_x 1
		.amdhsa_system_sgpr_workgroup_id_y 0
		.amdhsa_system_sgpr_workgroup_id_z 0
		.amdhsa_system_sgpr_workgroup_info 0
		.amdhsa_system_vgpr_workitem_id 0
		.amdhsa_next_free_vgpr 36
		.amdhsa_next_free_sgpr 20
		.amdhsa_reserve_vcc 1
		.amdhsa_float_round_mode_32 0
		.amdhsa_float_round_mode_16_64 0
		.amdhsa_float_denorm_mode_32 3
		.amdhsa_float_denorm_mode_16_64 3
		.amdhsa_dx10_clamp 1
		.amdhsa_ieee_mode 1
		.amdhsa_fp16_overflow 0
		.amdhsa_workgroup_processor_mode 1
		.amdhsa_memory_ordered 1
		.amdhsa_forward_progress 0
		.amdhsa_shared_vgpr_count 0
		.amdhsa_exception_fp_ieee_invalid_op 0
		.amdhsa_exception_fp_denorm_src 0
		.amdhsa_exception_fp_ieee_div_zero 0
		.amdhsa_exception_fp_ieee_overflow 0
		.amdhsa_exception_fp_ieee_underflow 0
		.amdhsa_exception_fp_ieee_inexact 0
		.amdhsa_exception_int_div_zero 0
	.end_amdhsa_kernel
	.section	.text._ZN2at6native12_GLOBAL__N_125multi_tensor_apply_kernelINS1_18TensorListMetadataILi2EEENS1_11CopyFunctorIhN3c107complexIdEELi2ELi1ELi1EEEJNS0_4CopyIhS8_EEEEEvT_T0_DpT1_,"axG",@progbits,_ZN2at6native12_GLOBAL__N_125multi_tensor_apply_kernelINS1_18TensorListMetadataILi2EEENS1_11CopyFunctorIhN3c107complexIdEELi2ELi1ELi1EEEJNS0_4CopyIhS8_EEEEEvT_T0_DpT1_,comdat
.Lfunc_end163:
	.size	_ZN2at6native12_GLOBAL__N_125multi_tensor_apply_kernelINS1_18TensorListMetadataILi2EEENS1_11CopyFunctorIhN3c107complexIdEELi2ELi1ELi1EEEJNS0_4CopyIhS8_EEEEEvT_T0_DpT1_, .Lfunc_end163-_ZN2at6native12_GLOBAL__N_125multi_tensor_apply_kernelINS1_18TensorListMetadataILi2EEENS1_11CopyFunctorIhN3c107complexIdEELi2ELi1ELi1EEEJNS0_4CopyIhS8_EEEEEvT_T0_DpT1_
                                        ; -- End function
	.section	.AMDGPU.csdata,"",@progbits
; Kernel info:
; codeLenInByte = 1516
; NumSgprs: 22
; NumVgprs: 36
; ScratchSize: 0
; MemoryBound: 0
; FloatMode: 240
; IeeeMode: 1
; LDSByteSize: 0 bytes/workgroup (compile time only)
; SGPRBlocks: 2
; VGPRBlocks: 4
; NumSGPRsForWavesPerEU: 22
; NumVGPRsForWavesPerEU: 36
; Occupancy: 16
; WaveLimiterHint : 0
; COMPUTE_PGM_RSRC2:SCRATCH_EN: 0
; COMPUTE_PGM_RSRC2:USER_SGPR: 15
; COMPUTE_PGM_RSRC2:TRAP_HANDLER: 0
; COMPUTE_PGM_RSRC2:TGID_X_EN: 1
; COMPUTE_PGM_RSRC2:TGID_Y_EN: 0
; COMPUTE_PGM_RSRC2:TGID_Z_EN: 0
; COMPUTE_PGM_RSRC2:TIDIG_COMP_CNT: 0
	.section	.text._ZN2at6native12_GLOBAL__N_125multi_tensor_apply_kernelINS1_18TensorListMetadataILi2EEENS1_11CopyFunctorIhN3c107complexIfEELi2ELi1ELi1EEEJNS0_4CopyIhS8_EEEEEvT_T0_DpT1_,"axG",@progbits,_ZN2at6native12_GLOBAL__N_125multi_tensor_apply_kernelINS1_18TensorListMetadataILi2EEENS1_11CopyFunctorIhN3c107complexIfEELi2ELi1ELi1EEEJNS0_4CopyIhS8_EEEEEvT_T0_DpT1_,comdat
	.globl	_ZN2at6native12_GLOBAL__N_125multi_tensor_apply_kernelINS1_18TensorListMetadataILi2EEENS1_11CopyFunctorIhN3c107complexIfEELi2ELi1ELi1EEEJNS0_4CopyIhS8_EEEEEvT_T0_DpT1_ ; -- Begin function _ZN2at6native12_GLOBAL__N_125multi_tensor_apply_kernelINS1_18TensorListMetadataILi2EEENS1_11CopyFunctorIhN3c107complexIfEELi2ELi1ELi1EEEJNS0_4CopyIhS8_EEEEEvT_T0_DpT1_
	.p2align	8
	.type	_ZN2at6native12_GLOBAL__N_125multi_tensor_apply_kernelINS1_18TensorListMetadataILi2EEENS1_11CopyFunctorIhN3c107complexIfEELi2ELi1ELi1EEEJNS0_4CopyIhS8_EEEEEvT_T0_DpT1_,@function
_ZN2at6native12_GLOBAL__N_125multi_tensor_apply_kernelINS1_18TensorListMetadataILi2EEENS1_11CopyFunctorIhN3c107complexIfEELi2ELi1ELi1EEEJNS0_4CopyIhS8_EEEEEvT_T0_DpT1_: ; @_ZN2at6native12_GLOBAL__N_125multi_tensor_apply_kernelINS1_18TensorListMetadataILi2EEENS1_11CopyFunctorIhN3c107complexIfEELi2ELi1ELi1EEEJNS0_4CopyIhS8_EEEEEvT_T0_DpT1_
; %bb.0:
	v_mov_b32_e32 v1, s15
	s_add_u32 s2, s0, s15
	s_mul_i32 s4, s15, 3
	s_addc_u32 s3, s1, 0
	s_mul_hi_u32 s5, s15, 3
	global_load_u8 v1, v1, s[0:1] offset:1536
	s_add_u32 s2, s2, s4
	s_addc_u32 s3, s3, s5
	s_mov_b32 s17, 0
	s_load_b32 s10, s[2:3], 0x740
	s_waitcnt lgkmcnt(0)
	s_ashr_i32 s11, s10, 31
	s_delay_alu instid0(SALU_CYCLE_1) | instskip(SKIP_2) | instid1(VALU_DEP_1)
	s_lshl_b64 s[8:9], s[10:11], 16
	s_waitcnt vmcnt(0)
	v_readfirstlane_b32 s4, v1
	s_lshl_b32 s4, s4, 3
	s_clause 0x2
	s_load_b64 s[6:7], s[0:1], s4 offset:0x200
	s_load_b64 s[2:3], s[0:1], s4 offset:0x400
	;; [unrolled: 1-line block ×3, first 2 shown]
	s_waitcnt lgkmcnt(0)
	s_add_u32 s14, s6, s8
	s_addc_u32 s15, s7, s9
	s_delay_alu instid0(SALU_CYCLE_1) | instskip(SKIP_2) | instid1(SALU_CYCLE_1)
	s_or_b64 s[4:5], s[2:3], s[14:15]
	s_and_b32 s5, s12, 31
	s_and_b32 s4, s4, 3
	s_or_b32 s16, s4, s5
	s_sub_u32 s4, s2, s8
	s_subb_u32 s5, s3, s9
	s_cmp_eq_u64 s[16:17], 0
	s_mov_b32 s2, -1
	s_cbranch_scc0 .LBB164_5
; %bb.1:
	v_dual_mov_b32 v2, 0 :: v_dual_lshlrev_b32 v1, 2, v0
	s_mov_b32 s16, exec_lo
	s_delay_alu instid0(VALU_DEP_1)
	v_cmpx_gt_i64_e64 s[4:5], v[1:2]
	s_cbranch_execz .LBB164_4
; %bb.2:
	s_load_b32 s17, s[0:1], 0xc5c
	v_lshlrev_b32_e32 v3, 5, v0
	s_lshl_b64 s[2:3], s[10:11], 19
	s_mov_b32 s18, 0
	s_waitcnt lgkmcnt(0)
	s_and_b32 s19, s17, 0xffff
	s_delay_alu instid0(SALU_CYCLE_1) | instskip(SKIP_3) | instid1(VALU_DEP_1)
	s_lshl_b32 s17, s19, 2
	s_add_u32 s2, s12, s2
	s_addc_u32 s3, s13, s3
	v_add_co_u32 v3, s2, s2, v3
	v_add_co_ci_u32_e64 v4, null, s3, 0, s2
	s_lshl_b32 s19, s19, 5
	s_set_inst_prefetch_distance 0x1
	.p2align	6
.LBB164_3:                              ; =>This Inner Loop Header: Depth=1
	s_clause 0x3
	global_load_b32 v7, v[3:4], off offset:8
	global_load_b32 v8, v[3:4], off offset:24
	global_load_b32 v9, v[3:4], off
	global_load_b32 v10, v[3:4], off offset:16
	v_add_co_u32 v5, vcc_lo, s14, v1
	v_add_co_ci_u32_e32 v6, vcc_lo, s15, v2, vcc_lo
	v_add_co_u32 v1, vcc_lo, s17, v1
	v_add_co_ci_u32_e32 v2, vcc_lo, 0, v2, vcc_lo
	v_add_co_u32 v3, s3, v3, s19
	s_delay_alu instid0(VALU_DEP_1) | instskip(NEXT) | instid1(VALU_DEP_3)
	v_add_co_ci_u32_e64 v4, s3, 0, v4, s3
	v_cmp_le_i64_e32 vcc_lo, s[4:5], v[1:2]
	v_cmp_lt_u64_e64 s2, 0xffff, v[1:2]
	s_delay_alu instid0(VALU_DEP_1) | instskip(NEXT) | instid1(SALU_CYCLE_1)
	s_or_b32 s2, vcc_lo, s2
	s_and_b32 s2, exec_lo, s2
	s_delay_alu instid0(SALU_CYCLE_1)
	s_or_b32 s18, s2, s18
	s_waitcnt vmcnt(3)
	v_cvt_i32_f32_e32 v7, v7
	s_waitcnt vmcnt(2)
	v_cvt_i32_f32_e32 v8, v8
	;; [unrolled: 2-line block ×4, first 2 shown]
	v_lshlrev_b16 v7, 8, v7
	v_lshlrev_b16 v8, 8, v8
	s_delay_alu instid0(VALU_DEP_2) | instskip(NEXT) | instid1(VALU_DEP_2)
	v_or_b32_e32 v7, v9, v7
	v_or_b32_e32 v8, v10, v8
	s_delay_alu instid0(VALU_DEP_2) | instskip(NEXT) | instid1(VALU_DEP_2)
	v_and_b32_e32 v7, 0xffff, v7
	v_lshlrev_b32_e32 v8, 16, v8
	s_delay_alu instid0(VALU_DEP_1)
	v_or_b32_e32 v7, v7, v8
	global_store_b32 v[5:6], v7, off
	s_and_not1_b32 exec_lo, exec_lo, s18
	s_cbranch_execnz .LBB164_3
.LBB164_4:
	s_set_inst_prefetch_distance 0x2
	s_or_b32 exec_lo, exec_lo, s16
	s_mov_b32 s2, 0
.LBB164_5:
	s_delay_alu instid0(SALU_CYCLE_1)
	s_and_not1_b32 vcc_lo, exec_lo, s2
	s_cbranch_vccnz .LBB164_25
; %bb.6:
	v_cmp_lt_i64_e64 s2, s[4:5], 1
	s_delay_alu instid0(VALU_DEP_1)
	s_and_b32 vcc_lo, exec_lo, s2
	s_cbranch_vccnz .LBB164_25
; %bb.7:
	s_load_b32 s0, s[0:1], 0xc5c
	v_cmp_gt_u64_e64 s1, 0x10000, s[4:5]
	v_add_co_u32 v5, s2, s8, v0
	v_dual_mov_b32 v28, 0 :: v_dual_lshlrev_b32 v1, 3, v0
	v_add_co_ci_u32_e64 v6, null, s9, 0, s2
	s_delay_alu instid0(VALU_DEP_3) | instskip(SKIP_1) | instid1(VALU_DEP_3)
	v_add_co_u32 v14, vcc_lo, s6, v5
	v_dual_mov_b32 v13, 0 :: v_dual_mov_b32 v30, 0
	v_add_co_ci_u32_e32 v15, vcc_lo, s7, v6, vcc_lo
	v_mov_b32_e32 v29, 0
	s_waitcnt lgkmcnt(0)
	s_and_b32 s0, s0, 0xffff
	s_and_b32 s1, s1, exec_lo
	s_cselect_b32 s3, s5, 0
	s_cselect_b32 s2, s4, 0x10000
	s_lshl_b64 s[10:11], s[10:11], 19
	s_lshl_b32 s14, s0, 1
	s_lshl_b32 s1, s0, 2
	s_add_u32 s12, s12, s10
	s_mul_i32 s15, s0, 3
	s_addc_u32 s13, s13, s11
	s_lshl_b32 s10, s0, 5
	v_add_co_u32 v1, s16, s12, v1
	s_add_u32 s11, s8, s15
	v_add_co_ci_u32_e64 v2, null, s13, 0, s16
	s_addc_u32 s16, s9, 0
	s_add_u32 s11, s6, s11
	s_addc_u32 s16, s7, s16
	v_add_co_u32 v16, s11, s11, v0
	s_delay_alu instid0(VALU_DEP_1)
	v_add_co_ci_u32_e64 v17, null, s16, 0, s11
	v_add_co_u32 v18, s11, s15, v0
	v_add_co_u32 v20, s15, v0, s0
	v_add_co_ci_u32_e64 v19, null, 0, 0, s11
	s_lshl_b32 s11, s0, 4
	s_add_u32 s8, s8, s14
	s_addc_u32 s9, s9, 0
	s_add_u32 s8, s6, s8
	v_lshlrev_b32_e32 v3, 3, v20
	s_addc_u32 s9, s7, s9
	v_add_co_u32 v21, s8, s8, v0
	s_delay_alu instid0(VALU_DEP_1)
	v_add_co_ci_u32_e64 v22, null, s9, 0, s8
	v_add_co_u32 v24, s8, s14, v0
	s_add_u32 s6, s6, s0
	v_add_co_ci_u32_e64 v25, null, 0, 0, s8
	v_add_co_u32 v3, s8, s12, v3
	s_addc_u32 s7, s7, 0
	v_add_co_u32 v26, vcc_lo, s6, v5
	v_add_co_ci_u32_e64 v23, null, 0, 0, s15
	v_add_co_ci_u32_e64 v4, null, s13, 0, s8
	v_add_co_ci_u32_e32 v27, vcc_lo, s7, v6, vcc_lo
	s_mul_i32 s8, s0, 24
	s_mov_b64 s[6:7], 0
	s_branch .LBB164_9
.LBB164_8:                              ;   in Loop: Header=BB164_9 Depth=1
	s_or_b32 exec_lo, exec_lo, s0
	s_add_u32 s6, s6, s1
	s_addc_u32 s7, s7, 0
	v_add_co_u32 v1, vcc_lo, v1, s10
	v_cmp_ge_i64_e64 s0, s[6:7], s[4:5]
	v_cmp_lt_u64_e64 s9, 0xffff, s[6:7]
	v_add_co_ci_u32_e32 v2, vcc_lo, 0, v2, vcc_lo
	v_add_co_u32 v3, vcc_lo, v3, s10
	v_add_co_ci_u32_e32 v4, vcc_lo, 0, v4, vcc_lo
	s_delay_alu instid0(VALU_DEP_4) | instskip(NEXT) | instid1(SALU_CYCLE_1)
	s_or_b32 s0, s0, s9
	s_and_b32 vcc_lo, exec_lo, s0
	s_cbranch_vccnz .LBB164_25
.LBB164_9:                              ; =>This Inner Loop Header: Depth=1
	v_add_co_u32 v5, s0, v0, s6
	s_delay_alu instid0(VALU_DEP_1) | instskip(NEXT) | instid1(VALU_DEP_1)
	v_add_co_ci_u32_e64 v6, null, 0, s7, s0
	v_cmp_gt_i64_e32 vcc_lo, s[4:5], v[5:6]
	v_cmp_gt_u64_e64 s0, 0x10000, v[5:6]
	s_delay_alu instid0(VALU_DEP_1) | instskip(NEXT) | instid1(SALU_CYCLE_1)
	s_and_b32 s9, vcc_lo, s0
	s_and_saveexec_b32 s0, s9
	s_cbranch_execz .LBB164_11
; %bb.10:                               ;   in Loop: Header=BB164_9 Depth=1
	global_load_b32 v29, v[1:2], off
.LBB164_11:                             ;   in Loop: Header=BB164_9 Depth=1
	s_or_b32 exec_lo, exec_lo, s0
	v_add_co_u32 v7, vcc_lo, v20, s6
	v_add_co_ci_u32_e32 v8, vcc_lo, s7, v23, vcc_lo
	s_delay_alu instid0(VALU_DEP_1) | instskip(SKIP_1) | instid1(VALU_DEP_1)
	v_cmp_gt_i64_e32 vcc_lo, s[4:5], v[7:8]
	v_cmp_gt_u64_e64 s0, 0x10000, v[7:8]
	s_and_b32 s9, vcc_lo, s0
	s_delay_alu instid0(SALU_CYCLE_1)
	s_and_saveexec_b32 s0, s9
	s_cbranch_execz .LBB164_13
; %bb.12:                               ;   in Loop: Header=BB164_9 Depth=1
	global_load_b32 v28, v[3:4], off
.LBB164_13:                             ;   in Loop: Header=BB164_9 Depth=1
	s_or_b32 exec_lo, exec_lo, s0
	v_add_co_u32 v9, vcc_lo, v24, s6
	v_add_co_ci_u32_e32 v10, vcc_lo, s7, v25, vcc_lo
	s_delay_alu instid0(VALU_DEP_1) | instskip(SKIP_1) | instid1(VALU_DEP_1)
	v_cmp_gt_i64_e32 vcc_lo, s[4:5], v[9:10]
	v_cmp_gt_u64_e64 s0, 0x10000, v[9:10]
	s_and_b32 s9, vcc_lo, s0
	s_delay_alu instid0(SALU_CYCLE_1)
	s_and_saveexec_b32 s0, s9
	s_cbranch_execz .LBB164_15
; %bb.14:                               ;   in Loop: Header=BB164_9 Depth=1
	v_add_co_u32 v11, vcc_lo, v1, s11
	v_add_co_ci_u32_e32 v12, vcc_lo, 0, v2, vcc_lo
	global_load_b32 v30, v[11:12], off
.LBB164_15:                             ;   in Loop: Header=BB164_9 Depth=1
	s_or_b32 exec_lo, exec_lo, s0
	v_add_co_u32 v11, vcc_lo, v18, s6
	v_add_co_ci_u32_e32 v12, vcc_lo, s7, v19, vcc_lo
	s_delay_alu instid0(VALU_DEP_1) | instskip(SKIP_1) | instid1(VALU_DEP_1)
	v_cmp_gt_i64_e32 vcc_lo, s[4:5], v[11:12]
	v_cmp_gt_u64_e64 s0, 0x10000, v[11:12]
	s_and_b32 s9, vcc_lo, s0
	s_delay_alu instid0(SALU_CYCLE_1)
	s_and_saveexec_b32 s0, s9
	s_cbranch_execnz .LBB164_20
; %bb.16:                               ;   in Loop: Header=BB164_9 Depth=1
	s_or_b32 exec_lo, exec_lo, s0
	s_delay_alu instid0(SALU_CYCLE_1)
	s_mov_b32 s0, exec_lo
	v_cmpx_gt_u64_e64 s[2:3], v[5:6]
	s_cbranch_execnz .LBB164_21
.LBB164_17:                             ;   in Loop: Header=BB164_9 Depth=1
	s_or_b32 exec_lo, exec_lo, s0
	s_delay_alu instid0(SALU_CYCLE_1)
	s_mov_b32 s0, exec_lo
	v_cmpx_gt_u64_e64 s[2:3], v[7:8]
	s_cbranch_execnz .LBB164_22
.LBB164_18:                             ;   in Loop: Header=BB164_9 Depth=1
	s_or_b32 exec_lo, exec_lo, s0
	s_delay_alu instid0(SALU_CYCLE_1)
	s_mov_b32 s0, exec_lo
	v_cmpx_gt_u64_e64 s[2:3], v[9:10]
	s_cbranch_execnz .LBB164_23
.LBB164_19:                             ;   in Loop: Header=BB164_9 Depth=1
	s_or_b32 exec_lo, exec_lo, s0
	s_delay_alu instid0(SALU_CYCLE_1)
	s_mov_b32 s0, exec_lo
	v_cmpx_gt_u64_e64 s[2:3], v[11:12]
	s_cbranch_execz .LBB164_8
	s_branch .LBB164_24
.LBB164_20:                             ;   in Loop: Header=BB164_9 Depth=1
	v_add_co_u32 v31, vcc_lo, v1, s8
	v_add_co_ci_u32_e32 v32, vcc_lo, 0, v2, vcc_lo
	global_load_b32 v13, v[31:32], off
	s_or_b32 exec_lo, exec_lo, s0
	s_delay_alu instid0(SALU_CYCLE_1)
	s_mov_b32 s0, exec_lo
	v_cmpx_gt_u64_e64 s[2:3], v[5:6]
	s_cbranch_execz .LBB164_17
.LBB164_21:                             ;   in Loop: Header=BB164_9 Depth=1
	v_add_co_u32 v5, vcc_lo, v14, s6
	v_add_co_ci_u32_e32 v6, vcc_lo, s7, v15, vcc_lo
	s_waitcnt vmcnt(0)
	v_cvt_i32_f32_e32 v31, v29
	global_store_b8 v[5:6], v31, off
	s_or_b32 exec_lo, exec_lo, s0
	s_delay_alu instid0(SALU_CYCLE_1)
	s_mov_b32 s0, exec_lo
	v_cmpx_gt_u64_e64 s[2:3], v[7:8]
	s_cbranch_execz .LBB164_18
.LBB164_22:                             ;   in Loop: Header=BB164_9 Depth=1
	v_add_co_u32 v5, vcc_lo, v26, s6
	s_waitcnt vmcnt(0)
	v_cvt_i32_f32_e32 v7, v28
	v_add_co_ci_u32_e32 v6, vcc_lo, s7, v27, vcc_lo
	global_store_b8 v[5:6], v7, off
	s_or_b32 exec_lo, exec_lo, s0
	s_delay_alu instid0(SALU_CYCLE_1)
	s_mov_b32 s0, exec_lo
	v_cmpx_gt_u64_e64 s[2:3], v[9:10]
	s_cbranch_execz .LBB164_19
.LBB164_23:                             ;   in Loop: Header=BB164_9 Depth=1
	v_add_co_u32 v5, vcc_lo, v21, s6
	s_waitcnt vmcnt(0)
	v_cvt_i32_f32_e32 v7, v30
	v_add_co_ci_u32_e32 v6, vcc_lo, s7, v22, vcc_lo
	global_store_b8 v[5:6], v7, off
	s_or_b32 exec_lo, exec_lo, s0
	s_delay_alu instid0(SALU_CYCLE_1)
	s_mov_b32 s0, exec_lo
	v_cmpx_gt_u64_e64 s[2:3], v[11:12]
	s_cbranch_execz .LBB164_8
.LBB164_24:                             ;   in Loop: Header=BB164_9 Depth=1
	v_add_co_u32 v5, vcc_lo, v16, s6
	s_waitcnt vmcnt(0)
	v_cvt_i32_f32_e32 v7, v13
	v_add_co_ci_u32_e32 v6, vcc_lo, s7, v17, vcc_lo
	global_store_b8 v[5:6], v7, off
	s_branch .LBB164_8
.LBB164_25:
	s_nop 0
	s_sendmsg sendmsg(MSG_DEALLOC_VGPRS)
	s_endpgm
	.section	.rodata,"a",@progbits
	.p2align	6, 0x0
	.amdhsa_kernel _ZN2at6native12_GLOBAL__N_125multi_tensor_apply_kernelINS1_18TensorListMetadataILi2EEENS1_11CopyFunctorIhN3c107complexIfEELi2ELi1ELi1EEEJNS0_4CopyIhS8_EEEEEvT_T0_DpT1_
		.amdhsa_group_segment_fixed_size 0
		.amdhsa_private_segment_fixed_size 0
		.amdhsa_kernarg_size 3408
		.amdhsa_user_sgpr_count 15
		.amdhsa_user_sgpr_dispatch_ptr 0
		.amdhsa_user_sgpr_queue_ptr 0
		.amdhsa_user_sgpr_kernarg_segment_ptr 1
		.amdhsa_user_sgpr_dispatch_id 0
		.amdhsa_user_sgpr_private_segment_size 0
		.amdhsa_wavefront_size32 1
		.amdhsa_uses_dynamic_stack 0
		.amdhsa_enable_private_segment 0
		.amdhsa_system_sgpr_workgroup_id_x 1
		.amdhsa_system_sgpr_workgroup_id_y 0
		.amdhsa_system_sgpr_workgroup_id_z 0
		.amdhsa_system_sgpr_workgroup_info 0
		.amdhsa_system_vgpr_workitem_id 0
		.amdhsa_next_free_vgpr 33
		.amdhsa_next_free_sgpr 20
		.amdhsa_reserve_vcc 1
		.amdhsa_float_round_mode_32 0
		.amdhsa_float_round_mode_16_64 0
		.amdhsa_float_denorm_mode_32 3
		.amdhsa_float_denorm_mode_16_64 3
		.amdhsa_dx10_clamp 1
		.amdhsa_ieee_mode 1
		.amdhsa_fp16_overflow 0
		.amdhsa_workgroup_processor_mode 1
		.amdhsa_memory_ordered 1
		.amdhsa_forward_progress 0
		.amdhsa_shared_vgpr_count 0
		.amdhsa_exception_fp_ieee_invalid_op 0
		.amdhsa_exception_fp_denorm_src 0
		.amdhsa_exception_fp_ieee_div_zero 0
		.amdhsa_exception_fp_ieee_overflow 0
		.amdhsa_exception_fp_ieee_underflow 0
		.amdhsa_exception_fp_ieee_inexact 0
		.amdhsa_exception_int_div_zero 0
	.end_amdhsa_kernel
	.section	.text._ZN2at6native12_GLOBAL__N_125multi_tensor_apply_kernelINS1_18TensorListMetadataILi2EEENS1_11CopyFunctorIhN3c107complexIfEELi2ELi1ELi1EEEJNS0_4CopyIhS8_EEEEEvT_T0_DpT1_,"axG",@progbits,_ZN2at6native12_GLOBAL__N_125multi_tensor_apply_kernelINS1_18TensorListMetadataILi2EEENS1_11CopyFunctorIhN3c107complexIfEELi2ELi1ELi1EEEJNS0_4CopyIhS8_EEEEEvT_T0_DpT1_,comdat
.Lfunc_end164:
	.size	_ZN2at6native12_GLOBAL__N_125multi_tensor_apply_kernelINS1_18TensorListMetadataILi2EEENS1_11CopyFunctorIhN3c107complexIfEELi2ELi1ELi1EEEJNS0_4CopyIhS8_EEEEEvT_T0_DpT1_, .Lfunc_end164-_ZN2at6native12_GLOBAL__N_125multi_tensor_apply_kernelINS1_18TensorListMetadataILi2EEENS1_11CopyFunctorIhN3c107complexIfEELi2ELi1ELi1EEEJNS0_4CopyIhS8_EEEEEvT_T0_DpT1_
                                        ; -- End function
	.section	.AMDGPU.csdata,"",@progbits
; Kernel info:
; codeLenInByte = 1496
; NumSgprs: 22
; NumVgprs: 33
; ScratchSize: 0
; MemoryBound: 0
; FloatMode: 240
; IeeeMode: 1
; LDSByteSize: 0 bytes/workgroup (compile time only)
; SGPRBlocks: 2
; VGPRBlocks: 4
; NumSGPRsForWavesPerEU: 22
; NumVGPRsForWavesPerEU: 33
; Occupancy: 16
; WaveLimiterHint : 0
; COMPUTE_PGM_RSRC2:SCRATCH_EN: 0
; COMPUTE_PGM_RSRC2:USER_SGPR: 15
; COMPUTE_PGM_RSRC2:TRAP_HANDLER: 0
; COMPUTE_PGM_RSRC2:TGID_X_EN: 1
; COMPUTE_PGM_RSRC2:TGID_Y_EN: 0
; COMPUTE_PGM_RSRC2:TGID_Z_EN: 0
; COMPUTE_PGM_RSRC2:TIDIG_COMP_CNT: 0
	.section	.text._ZN2at6native12_GLOBAL__N_125multi_tensor_apply_kernelINS1_18TensorListMetadataILi2EEENS1_11CopyFunctorIhN3c104HalfELi2ELi1ELi1EEEJNS0_4CopyIhS7_EEEEEvT_T0_DpT1_,"axG",@progbits,_ZN2at6native12_GLOBAL__N_125multi_tensor_apply_kernelINS1_18TensorListMetadataILi2EEENS1_11CopyFunctorIhN3c104HalfELi2ELi1ELi1EEEJNS0_4CopyIhS7_EEEEEvT_T0_DpT1_,comdat
	.globl	_ZN2at6native12_GLOBAL__N_125multi_tensor_apply_kernelINS1_18TensorListMetadataILi2EEENS1_11CopyFunctorIhN3c104HalfELi2ELi1ELi1EEEJNS0_4CopyIhS7_EEEEEvT_T0_DpT1_ ; -- Begin function _ZN2at6native12_GLOBAL__N_125multi_tensor_apply_kernelINS1_18TensorListMetadataILi2EEENS1_11CopyFunctorIhN3c104HalfELi2ELi1ELi1EEEJNS0_4CopyIhS7_EEEEEvT_T0_DpT1_
	.p2align	8
	.type	_ZN2at6native12_GLOBAL__N_125multi_tensor_apply_kernelINS1_18TensorListMetadataILi2EEENS1_11CopyFunctorIhN3c104HalfELi2ELi1ELi1EEEJNS0_4CopyIhS7_EEEEEvT_T0_DpT1_,@function
_ZN2at6native12_GLOBAL__N_125multi_tensor_apply_kernelINS1_18TensorListMetadataILi2EEENS1_11CopyFunctorIhN3c104HalfELi2ELi1ELi1EEEJNS0_4CopyIhS7_EEEEEvT_T0_DpT1_: ; @_ZN2at6native12_GLOBAL__N_125multi_tensor_apply_kernelINS1_18TensorListMetadataILi2EEENS1_11CopyFunctorIhN3c104HalfELi2ELi1ELi1EEEJNS0_4CopyIhS7_EEEEEvT_T0_DpT1_
; %bb.0:
	v_mov_b32_e32 v1, s15
	s_add_u32 s2, s0, s15
	s_mul_i32 s4, s15, 3
	s_addc_u32 s3, s1, 0
	s_mul_hi_u32 s5, s15, 3
	global_load_u8 v1, v1, s[0:1] offset:1536
	s_add_u32 s2, s2, s4
	s_addc_u32 s3, s3, s5
	s_mov_b32 s17, 0
	s_load_b32 s10, s[2:3], 0x740
	s_waitcnt lgkmcnt(0)
	s_ashr_i32 s11, s10, 31
	s_delay_alu instid0(SALU_CYCLE_1) | instskip(SKIP_2) | instid1(VALU_DEP_1)
	s_lshl_b64 s[8:9], s[10:11], 16
	s_waitcnt vmcnt(0)
	v_readfirstlane_b32 s4, v1
	s_lshl_b32 s4, s4, 3
	s_clause 0x2
	s_load_b64 s[6:7], s[0:1], s4 offset:0x200
	s_load_b64 s[2:3], s[0:1], s4 offset:0x400
	s_load_b64 s[12:13], s[0:1], s4 offset:0x0
	s_waitcnt lgkmcnt(0)
	s_add_u32 s14, s6, s8
	s_addc_u32 s15, s7, s9
	s_delay_alu instid0(SALU_CYCLE_1) | instskip(SKIP_2) | instid1(SALU_CYCLE_1)
	s_or_b64 s[4:5], s[2:3], s[14:15]
	s_and_b32 s5, s12, 7
	s_and_b32 s4, s4, 3
	s_or_b32 s16, s4, s5
	s_sub_u32 s4, s2, s8
	s_subb_u32 s5, s3, s9
	s_cmp_eq_u64 s[16:17], 0
	s_mov_b32 s2, -1
	s_cbranch_scc0 .LBB165_5
; %bb.1:
	v_dual_mov_b32 v2, 0 :: v_dual_lshlrev_b32 v1, 2, v0
	s_mov_b32 s16, exec_lo
	s_delay_alu instid0(VALU_DEP_1)
	v_cmpx_gt_i64_e64 s[4:5], v[1:2]
	s_cbranch_execz .LBB165_4
; %bb.2:
	s_load_b32 s17, s[0:1], 0xc5c
	v_lshlrev_b32_e32 v3, 3, v0
	s_lshl_b64 s[2:3], s[10:11], 17
	s_mov_b32 s18, 0
	s_waitcnt lgkmcnt(0)
	s_and_b32 s19, s17, 0xffff
	s_delay_alu instid0(SALU_CYCLE_1) | instskip(SKIP_3) | instid1(VALU_DEP_1)
	s_lshl_b32 s17, s19, 2
	s_add_u32 s2, s12, s2
	s_addc_u32 s3, s13, s3
	v_add_co_u32 v3, s2, s2, v3
	v_add_co_ci_u32_e64 v4, null, s3, 0, s2
	s_lshl_b32 s19, s19, 3
	s_set_inst_prefetch_distance 0x1
	.p2align	6
.LBB165_3:                              ; =>This Inner Loop Header: Depth=1
	global_load_b64 v[5:6], v[3:4], off
	v_add_co_u32 v7, vcc_lo, s14, v1
	v_add_co_ci_u32_e32 v8, vcc_lo, s15, v2, vcc_lo
	v_add_co_u32 v1, vcc_lo, s17, v1
	v_add_co_ci_u32_e32 v2, vcc_lo, 0, v2, vcc_lo
	v_add_co_u32 v3, s3, v3, s19
	s_delay_alu instid0(VALU_DEP_1) | instskip(NEXT) | instid1(VALU_DEP_3)
	v_add_co_ci_u32_e64 v4, s3, 0, v4, s3
	v_cmp_le_i64_e32 vcc_lo, s[4:5], v[1:2]
	v_cmp_lt_u64_e64 s2, 0xffff, v[1:2]
	s_delay_alu instid0(VALU_DEP_1) | instskip(NEXT) | instid1(SALU_CYCLE_1)
	s_or_b32 s2, vcc_lo, s2
	s_and_b32 s2, exec_lo, s2
	s_delay_alu instid0(SALU_CYCLE_1)
	s_or_b32 s18, s2, s18
	s_waitcnt vmcnt(0)
	v_lshrrev_b32_e32 v9, 16, v5
	v_lshrrev_b32_e32 v10, 16, v6
	v_cvt_i16_f16_e32 v5, v5
	v_cvt_i16_f16_e32 v6, v6
	s_delay_alu instid0(VALU_DEP_4) | instskip(NEXT) | instid1(VALU_DEP_4)
	v_cvt_i16_f16_e32 v9, v9
	v_cvt_i16_f16_e32 v10, v10
	s_delay_alu instid0(VALU_DEP_2) | instskip(NEXT) | instid1(VALU_DEP_2)
	v_lshlrev_b16 v9, 8, v9
	v_lshlrev_b16 v10, 8, v10
	s_delay_alu instid0(VALU_DEP_2) | instskip(NEXT) | instid1(VALU_DEP_2)
	v_or_b32_e32 v5, v5, v9
	v_or_b32_e32 v6, v6, v10
	s_delay_alu instid0(VALU_DEP_2) | instskip(NEXT) | instid1(VALU_DEP_2)
	v_and_b32_e32 v5, 0xffff, v5
	v_lshlrev_b32_e32 v6, 16, v6
	s_delay_alu instid0(VALU_DEP_1)
	v_or_b32_e32 v5, v5, v6
	global_store_b32 v[7:8], v5, off
	s_and_not1_b32 exec_lo, exec_lo, s18
	s_cbranch_execnz .LBB165_3
.LBB165_4:
	s_set_inst_prefetch_distance 0x2
	s_or_b32 exec_lo, exec_lo, s16
	s_mov_b32 s2, 0
.LBB165_5:
	s_delay_alu instid0(SALU_CYCLE_1)
	s_and_not1_b32 vcc_lo, exec_lo, s2
	s_cbranch_vccnz .LBB165_25
; %bb.6:
	v_cmp_lt_i64_e64 s2, s[4:5], 1
	s_delay_alu instid0(VALU_DEP_1)
	s_and_b32 vcc_lo, exec_lo, s2
	s_cbranch_vccnz .LBB165_25
; %bb.7:
	s_load_b32 s0, s[0:1], 0xc5c
	v_cmp_gt_u64_e64 s1, 0x10000, s[4:5]
	v_add_co_u32 v5, s2, s8, v0
	v_lshlrev_b32_e32 v1, 1, v0
	v_add_co_ci_u32_e64 v6, null, s9, 0, s2
	s_delay_alu instid0(VALU_DEP_3) | instskip(NEXT) | instid1(VALU_DEP_2)
	v_add_co_u32 v13, vcc_lo, s6, v5
                                        ; implicit-def: $vgpr29
                                        ; implicit-def: $vgpr30
                                        ; implicit-def: $vgpr27
                                        ; implicit-def: $vgpr28
	v_add_co_ci_u32_e32 v14, vcc_lo, s7, v6, vcc_lo
	s_waitcnt lgkmcnt(0)
	s_and_b32 s0, s0, 0xffff
	s_and_b32 s1, s1, exec_lo
	s_cselect_b32 s3, s5, 0
	s_cselect_b32 s2, s4, 0x10000
	s_lshl_b64 s[10:11], s[10:11], 17
	s_lshl_b32 s14, s0, 1
	s_lshl_b32 s1, s0, 2
	s_add_u32 s12, s12, s10
	s_mul_i32 s15, s0, 3
	s_addc_u32 s11, s13, s11
	s_lshl_b32 s10, s0, 3
	v_add_co_u32 v1, s16, s12, v1
	s_add_u32 s13, s8, s15
	v_add_co_ci_u32_e64 v2, null, s11, 0, s16
	s_addc_u32 s16, s9, 0
	s_add_u32 s13, s6, s13
	s_addc_u32 s16, s7, s16
	v_add_co_u32 v15, s13, s13, v0
	s_delay_alu instid0(VALU_DEP_1) | instskip(SKIP_1) | instid1(VALU_DEP_1)
	v_add_co_ci_u32_e64 v16, null, s16, 0, s13
	v_add_co_u32 v17, s13, s15, v0
	v_add_co_ci_u32_e64 v18, null, 0, 0, s13
	v_add_co_u32 v19, s13, v0, s0
	s_add_u32 s8, s8, s14
	s_addc_u32 s9, s9, 0
	s_add_u32 s8, s6, s8
	s_delay_alu instid0(VALU_DEP_1) | instskip(SKIP_2) | instid1(VALU_DEP_1)
	v_lshlrev_b32_e32 v3, 1, v19
	s_addc_u32 s9, s7, s9
	v_add_co_u32 v20, s8, s8, v0
	v_add_co_ci_u32_e64 v21, null, s9, 0, s8
	v_add_co_u32 v23, s8, s14, v0
	s_add_u32 s6, s6, s0
	v_add_co_ci_u32_e64 v24, null, 0, 0, s8
	v_add_co_u32 v3, s8, s12, v3
	s_addc_u32 s7, s7, 0
	v_add_co_u32 v25, vcc_lo, s6, v5
	v_add_co_ci_u32_e64 v22, null, 0, 0, s13
	v_add_co_ci_u32_e64 v4, null, s11, 0, s8
	v_add_co_ci_u32_e32 v26, vcc_lo, s7, v6, vcc_lo
	s_mul_i32 s8, s0, 6
	s_mov_b64 s[6:7], 0
	s_branch .LBB165_9
.LBB165_8:                              ;   in Loop: Header=BB165_9 Depth=1
	s_or_b32 exec_lo, exec_lo, s0
	s_add_u32 s6, s6, s1
	s_addc_u32 s7, s7, 0
	v_add_co_u32 v1, vcc_lo, v1, s10
	v_cmp_ge_i64_e64 s0, s[6:7], s[4:5]
	v_cmp_lt_u64_e64 s9, 0xffff, s[6:7]
	v_add_co_ci_u32_e32 v2, vcc_lo, 0, v2, vcc_lo
	v_add_co_u32 v3, vcc_lo, v3, s10
	v_add_co_ci_u32_e32 v4, vcc_lo, 0, v4, vcc_lo
	s_delay_alu instid0(VALU_DEP_4) | instskip(NEXT) | instid1(SALU_CYCLE_1)
	s_or_b32 s0, s0, s9
	s_and_b32 vcc_lo, exec_lo, s0
	s_cbranch_vccnz .LBB165_25
.LBB165_9:                              ; =>This Inner Loop Header: Depth=1
	v_add_co_u32 v5, s0, v0, s6
	s_delay_alu instid0(VALU_DEP_1) | instskip(NEXT) | instid1(VALU_DEP_1)
	v_add_co_ci_u32_e64 v6, null, 0, s7, s0
	v_cmp_gt_i64_e32 vcc_lo, s[4:5], v[5:6]
	v_cmp_gt_u64_e64 s0, 0x10000, v[5:6]
	s_delay_alu instid0(VALU_DEP_1) | instskip(NEXT) | instid1(SALU_CYCLE_1)
	s_and_b32 s9, vcc_lo, s0
	s_and_saveexec_b32 s0, s9
	s_cbranch_execz .LBB165_11
; %bb.10:                               ;   in Loop: Header=BB165_9 Depth=1
	global_load_u16 v28, v[1:2], off
.LBB165_11:                             ;   in Loop: Header=BB165_9 Depth=1
	s_or_b32 exec_lo, exec_lo, s0
	v_add_co_u32 v7, vcc_lo, v19, s6
	v_add_co_ci_u32_e32 v8, vcc_lo, s7, v22, vcc_lo
	s_delay_alu instid0(VALU_DEP_1) | instskip(SKIP_1) | instid1(VALU_DEP_1)
	v_cmp_gt_i64_e32 vcc_lo, s[4:5], v[7:8]
	v_cmp_gt_u64_e64 s0, 0x10000, v[7:8]
	s_and_b32 s9, vcc_lo, s0
	s_delay_alu instid0(SALU_CYCLE_1)
	s_and_saveexec_b32 s0, s9
	s_cbranch_execz .LBB165_13
; %bb.12:                               ;   in Loop: Header=BB165_9 Depth=1
	global_load_u16 v27, v[3:4], off
.LBB165_13:                             ;   in Loop: Header=BB165_9 Depth=1
	s_or_b32 exec_lo, exec_lo, s0
	v_add_co_u32 v9, vcc_lo, v23, s6
	v_add_co_ci_u32_e32 v10, vcc_lo, s7, v24, vcc_lo
	s_delay_alu instid0(VALU_DEP_1) | instskip(SKIP_1) | instid1(VALU_DEP_1)
	v_cmp_gt_i64_e32 vcc_lo, s[4:5], v[9:10]
	v_cmp_gt_u64_e64 s0, 0x10000, v[9:10]
	s_and_b32 s9, vcc_lo, s0
	s_delay_alu instid0(SALU_CYCLE_1)
	s_and_saveexec_b32 s0, s9
	s_cbranch_execz .LBB165_15
; %bb.14:                               ;   in Loop: Header=BB165_9 Depth=1
	v_add_co_u32 v11, vcc_lo, v1, s1
	v_add_co_ci_u32_e32 v12, vcc_lo, 0, v2, vcc_lo
	global_load_u16 v30, v[11:12], off
.LBB165_15:                             ;   in Loop: Header=BB165_9 Depth=1
	s_or_b32 exec_lo, exec_lo, s0
	v_add_co_u32 v11, vcc_lo, v17, s6
	v_add_co_ci_u32_e32 v12, vcc_lo, s7, v18, vcc_lo
	s_delay_alu instid0(VALU_DEP_1) | instskip(SKIP_1) | instid1(VALU_DEP_1)
	v_cmp_gt_i64_e32 vcc_lo, s[4:5], v[11:12]
	v_cmp_gt_u64_e64 s0, 0x10000, v[11:12]
	s_and_b32 s9, vcc_lo, s0
	s_delay_alu instid0(SALU_CYCLE_1)
	s_and_saveexec_b32 s0, s9
	s_cbranch_execnz .LBB165_20
; %bb.16:                               ;   in Loop: Header=BB165_9 Depth=1
	s_or_b32 exec_lo, exec_lo, s0
	s_delay_alu instid0(SALU_CYCLE_1)
	s_mov_b32 s0, exec_lo
	v_cmpx_gt_u64_e64 s[2:3], v[5:6]
	s_cbranch_execnz .LBB165_21
.LBB165_17:                             ;   in Loop: Header=BB165_9 Depth=1
	s_or_b32 exec_lo, exec_lo, s0
	s_delay_alu instid0(SALU_CYCLE_1)
	s_mov_b32 s0, exec_lo
	v_cmpx_gt_u64_e64 s[2:3], v[7:8]
	s_cbranch_execnz .LBB165_22
.LBB165_18:                             ;   in Loop: Header=BB165_9 Depth=1
	s_or_b32 exec_lo, exec_lo, s0
	s_delay_alu instid0(SALU_CYCLE_1)
	s_mov_b32 s0, exec_lo
	v_cmpx_gt_u64_e64 s[2:3], v[9:10]
	s_cbranch_execnz .LBB165_23
.LBB165_19:                             ;   in Loop: Header=BB165_9 Depth=1
	s_or_b32 exec_lo, exec_lo, s0
	s_delay_alu instid0(SALU_CYCLE_1)
	s_mov_b32 s0, exec_lo
	v_cmpx_gt_u64_e64 s[2:3], v[11:12]
	s_cbranch_execz .LBB165_8
	s_branch .LBB165_24
.LBB165_20:                             ;   in Loop: Header=BB165_9 Depth=1
	v_add_co_u32 v31, vcc_lo, v1, s8
	v_add_co_ci_u32_e32 v32, vcc_lo, 0, v2, vcc_lo
	global_load_u16 v29, v[31:32], off
	s_or_b32 exec_lo, exec_lo, s0
	s_delay_alu instid0(SALU_CYCLE_1)
	s_mov_b32 s0, exec_lo
	v_cmpx_gt_u64_e64 s[2:3], v[5:6]
	s_cbranch_execz .LBB165_17
.LBB165_21:                             ;   in Loop: Header=BB165_9 Depth=1
	v_add_co_u32 v5, vcc_lo, v13, s6
	v_add_co_ci_u32_e32 v6, vcc_lo, s7, v14, vcc_lo
	s_waitcnt vmcnt(0)
	v_cvt_i16_f16_e32 v31, v28
	global_store_b8 v[5:6], v31, off
	s_or_b32 exec_lo, exec_lo, s0
	s_delay_alu instid0(SALU_CYCLE_1)
	s_mov_b32 s0, exec_lo
	v_cmpx_gt_u64_e64 s[2:3], v[7:8]
	s_cbranch_execz .LBB165_18
.LBB165_22:                             ;   in Loop: Header=BB165_9 Depth=1
	v_add_co_u32 v5, vcc_lo, v25, s6
	s_waitcnt vmcnt(0)
	v_cvt_i16_f16_e32 v7, v27
	v_add_co_ci_u32_e32 v6, vcc_lo, s7, v26, vcc_lo
	global_store_b8 v[5:6], v7, off
	s_or_b32 exec_lo, exec_lo, s0
	s_delay_alu instid0(SALU_CYCLE_1)
	s_mov_b32 s0, exec_lo
	v_cmpx_gt_u64_e64 s[2:3], v[9:10]
	s_cbranch_execz .LBB165_19
.LBB165_23:                             ;   in Loop: Header=BB165_9 Depth=1
	v_add_co_u32 v5, vcc_lo, v20, s6
	s_waitcnt vmcnt(0)
	v_cvt_i16_f16_e32 v7, v30
	v_add_co_ci_u32_e32 v6, vcc_lo, s7, v21, vcc_lo
	global_store_b8 v[5:6], v7, off
	s_or_b32 exec_lo, exec_lo, s0
	s_delay_alu instid0(SALU_CYCLE_1)
	s_mov_b32 s0, exec_lo
	v_cmpx_gt_u64_e64 s[2:3], v[11:12]
	s_cbranch_execz .LBB165_8
.LBB165_24:                             ;   in Loop: Header=BB165_9 Depth=1
	v_add_co_u32 v5, vcc_lo, v15, s6
	s_waitcnt vmcnt(0)
	v_cvt_i16_f16_e32 v7, v29
	v_add_co_ci_u32_e32 v6, vcc_lo, s7, v16, vcc_lo
	global_store_b8 v[5:6], v7, off
	s_branch .LBB165_8
.LBB165_25:
	s_nop 0
	s_sendmsg sendmsg(MSG_DEALLOC_VGPRS)
	s_endpgm
	.section	.rodata,"a",@progbits
	.p2align	6, 0x0
	.amdhsa_kernel _ZN2at6native12_GLOBAL__N_125multi_tensor_apply_kernelINS1_18TensorListMetadataILi2EEENS1_11CopyFunctorIhN3c104HalfELi2ELi1ELi1EEEJNS0_4CopyIhS7_EEEEEvT_T0_DpT1_
		.amdhsa_group_segment_fixed_size 0
		.amdhsa_private_segment_fixed_size 0
		.amdhsa_kernarg_size 3408
		.amdhsa_user_sgpr_count 15
		.amdhsa_user_sgpr_dispatch_ptr 0
		.amdhsa_user_sgpr_queue_ptr 0
		.amdhsa_user_sgpr_kernarg_segment_ptr 1
		.amdhsa_user_sgpr_dispatch_id 0
		.amdhsa_user_sgpr_private_segment_size 0
		.amdhsa_wavefront_size32 1
		.amdhsa_uses_dynamic_stack 0
		.amdhsa_enable_private_segment 0
		.amdhsa_system_sgpr_workgroup_id_x 1
		.amdhsa_system_sgpr_workgroup_id_y 0
		.amdhsa_system_sgpr_workgroup_id_z 0
		.amdhsa_system_sgpr_workgroup_info 0
		.amdhsa_system_vgpr_workitem_id 0
		.amdhsa_next_free_vgpr 33
		.amdhsa_next_free_sgpr 20
		.amdhsa_reserve_vcc 1
		.amdhsa_float_round_mode_32 0
		.amdhsa_float_round_mode_16_64 0
		.amdhsa_float_denorm_mode_32 3
		.amdhsa_float_denorm_mode_16_64 3
		.amdhsa_dx10_clamp 1
		.amdhsa_ieee_mode 1
		.amdhsa_fp16_overflow 0
		.amdhsa_workgroup_processor_mode 1
		.amdhsa_memory_ordered 1
		.amdhsa_forward_progress 0
		.amdhsa_shared_vgpr_count 0
		.amdhsa_exception_fp_ieee_invalid_op 0
		.amdhsa_exception_fp_denorm_src 0
		.amdhsa_exception_fp_ieee_div_zero 0
		.amdhsa_exception_fp_ieee_overflow 0
		.amdhsa_exception_fp_ieee_underflow 0
		.amdhsa_exception_fp_ieee_inexact 0
		.amdhsa_exception_int_div_zero 0
	.end_amdhsa_kernel
	.section	.text._ZN2at6native12_GLOBAL__N_125multi_tensor_apply_kernelINS1_18TensorListMetadataILi2EEENS1_11CopyFunctorIhN3c104HalfELi2ELi1ELi1EEEJNS0_4CopyIhS7_EEEEEvT_T0_DpT1_,"axG",@progbits,_ZN2at6native12_GLOBAL__N_125multi_tensor_apply_kernelINS1_18TensorListMetadataILi2EEENS1_11CopyFunctorIhN3c104HalfELi2ELi1ELi1EEEJNS0_4CopyIhS7_EEEEEvT_T0_DpT1_,comdat
.Lfunc_end165:
	.size	_ZN2at6native12_GLOBAL__N_125multi_tensor_apply_kernelINS1_18TensorListMetadataILi2EEENS1_11CopyFunctorIhN3c104HalfELi2ELi1ELi1EEEJNS0_4CopyIhS7_EEEEEvT_T0_DpT1_, .Lfunc_end165-_ZN2at6native12_GLOBAL__N_125multi_tensor_apply_kernelINS1_18TensorListMetadataILi2EEENS1_11CopyFunctorIhN3c104HalfELi2ELi1ELi1EEEJNS0_4CopyIhS7_EEEEEvT_T0_DpT1_
                                        ; -- End function
	.section	.AMDGPU.csdata,"",@progbits
; Kernel info:
; codeLenInByte = 1452
; NumSgprs: 22
; NumVgprs: 33
; ScratchSize: 0
; MemoryBound: 0
; FloatMode: 240
; IeeeMode: 1
; LDSByteSize: 0 bytes/workgroup (compile time only)
; SGPRBlocks: 2
; VGPRBlocks: 4
; NumSGPRsForWavesPerEU: 22
; NumVGPRsForWavesPerEU: 33
; Occupancy: 16
; WaveLimiterHint : 0
; COMPUTE_PGM_RSRC2:SCRATCH_EN: 0
; COMPUTE_PGM_RSRC2:USER_SGPR: 15
; COMPUTE_PGM_RSRC2:TRAP_HANDLER: 0
; COMPUTE_PGM_RSRC2:TGID_X_EN: 1
; COMPUTE_PGM_RSRC2:TGID_Y_EN: 0
; COMPUTE_PGM_RSRC2:TGID_Z_EN: 0
; COMPUTE_PGM_RSRC2:TIDIG_COMP_CNT: 0
	.section	.text._ZN2at6native12_GLOBAL__N_125multi_tensor_apply_kernelINS1_18TensorListMetadataILi2EEENS1_11CopyFunctorIhN3c108BFloat16ELi2ELi1ELi1EEEJNS0_4CopyIhS7_EEEEEvT_T0_DpT1_,"axG",@progbits,_ZN2at6native12_GLOBAL__N_125multi_tensor_apply_kernelINS1_18TensorListMetadataILi2EEENS1_11CopyFunctorIhN3c108BFloat16ELi2ELi1ELi1EEEJNS0_4CopyIhS7_EEEEEvT_T0_DpT1_,comdat
	.globl	_ZN2at6native12_GLOBAL__N_125multi_tensor_apply_kernelINS1_18TensorListMetadataILi2EEENS1_11CopyFunctorIhN3c108BFloat16ELi2ELi1ELi1EEEJNS0_4CopyIhS7_EEEEEvT_T0_DpT1_ ; -- Begin function _ZN2at6native12_GLOBAL__N_125multi_tensor_apply_kernelINS1_18TensorListMetadataILi2EEENS1_11CopyFunctorIhN3c108BFloat16ELi2ELi1ELi1EEEJNS0_4CopyIhS7_EEEEEvT_T0_DpT1_
	.p2align	8
	.type	_ZN2at6native12_GLOBAL__N_125multi_tensor_apply_kernelINS1_18TensorListMetadataILi2EEENS1_11CopyFunctorIhN3c108BFloat16ELi2ELi1ELi1EEEJNS0_4CopyIhS7_EEEEEvT_T0_DpT1_,@function
_ZN2at6native12_GLOBAL__N_125multi_tensor_apply_kernelINS1_18TensorListMetadataILi2EEENS1_11CopyFunctorIhN3c108BFloat16ELi2ELi1ELi1EEEJNS0_4CopyIhS7_EEEEEvT_T0_DpT1_: ; @_ZN2at6native12_GLOBAL__N_125multi_tensor_apply_kernelINS1_18TensorListMetadataILi2EEENS1_11CopyFunctorIhN3c108BFloat16ELi2ELi1ELi1EEEJNS0_4CopyIhS7_EEEEEvT_T0_DpT1_
; %bb.0:
	v_mov_b32_e32 v1, s15
	s_add_u32 s2, s0, s15
	s_mul_i32 s4, s15, 3
	s_addc_u32 s3, s1, 0
	s_mul_hi_u32 s5, s15, 3
	global_load_u8 v1, v1, s[0:1] offset:1536
	s_add_u32 s2, s2, s4
	s_addc_u32 s3, s3, s5
	s_mov_b32 s17, 0
	s_load_b32 s10, s[2:3], 0x740
	s_waitcnt lgkmcnt(0)
	s_ashr_i32 s11, s10, 31
	s_delay_alu instid0(SALU_CYCLE_1) | instskip(SKIP_2) | instid1(VALU_DEP_1)
	s_lshl_b64 s[8:9], s[10:11], 16
	s_waitcnt vmcnt(0)
	v_readfirstlane_b32 s4, v1
	s_lshl_b32 s4, s4, 3
	s_clause 0x2
	s_load_b64 s[6:7], s[0:1], s4 offset:0x200
	s_load_b64 s[2:3], s[0:1], s4 offset:0x400
	;; [unrolled: 1-line block ×3, first 2 shown]
	s_waitcnt lgkmcnt(0)
	s_add_u32 s14, s6, s8
	s_addc_u32 s15, s7, s9
	s_delay_alu instid0(SALU_CYCLE_1) | instskip(SKIP_2) | instid1(SALU_CYCLE_1)
	s_or_b64 s[4:5], s[2:3], s[14:15]
	s_and_b32 s5, s12, 7
	s_and_b32 s4, s4, 3
	s_or_b32 s16, s4, s5
	s_sub_u32 s4, s2, s8
	s_subb_u32 s5, s3, s9
	s_cmp_eq_u64 s[16:17], 0
	s_mov_b32 s2, -1
	s_cbranch_scc0 .LBB166_5
; %bb.1:
	v_dual_mov_b32 v2, 0 :: v_dual_lshlrev_b32 v1, 2, v0
	s_mov_b32 s16, exec_lo
	s_delay_alu instid0(VALU_DEP_1)
	v_cmpx_gt_i64_e64 s[4:5], v[1:2]
	s_cbranch_execz .LBB166_4
; %bb.2:
	s_load_b32 s17, s[0:1], 0xc5c
	v_lshlrev_b32_e32 v3, 3, v0
	s_lshl_b64 s[2:3], s[10:11], 17
	s_waitcnt lgkmcnt(0)
	s_and_b32 s19, s17, 0xffff
	s_add_u32 s2, s12, s2
	s_addc_u32 s3, s13, s3
	v_add_co_u32 v3, s2, s2, v3
	s_delay_alu instid0(VALU_DEP_1)
	v_add_co_ci_u32_e64 v4, null, s3, 0, s2
	s_mov_b32 s17, 0
	s_lshl_b32 s18, s19, 3
	s_lshl_b32 s19, s19, 2
	s_set_inst_prefetch_distance 0x1
	.p2align	6
.LBB166_3:                              ; =>This Inner Loop Header: Depth=1
	global_load_b64 v[5:6], v[3:4], off
	v_add_co_u32 v7, vcc_lo, s14, v1
	v_add_co_ci_u32_e32 v8, vcc_lo, s15, v2, vcc_lo
	v_add_co_u32 v1, vcc_lo, s19, v1
	v_add_co_ci_u32_e32 v2, vcc_lo, 0, v2, vcc_lo
	v_add_co_u32 v3, s3, v3, s18
	s_delay_alu instid0(VALU_DEP_1) | instskip(NEXT) | instid1(VALU_DEP_3)
	v_add_co_ci_u32_e64 v4, s3, 0, v4, s3
	v_cmp_le_i64_e32 vcc_lo, s[4:5], v[1:2]
	v_cmp_lt_u64_e64 s2, 0xffff, v[1:2]
	s_delay_alu instid0(VALU_DEP_1) | instskip(NEXT) | instid1(SALU_CYCLE_1)
	s_or_b32 s2, vcc_lo, s2
	s_and_b32 s2, exec_lo, s2
	s_delay_alu instid0(SALU_CYCLE_1)
	s_or_b32 s17, s2, s17
	s_waitcnt vmcnt(0)
	v_alignbit_b32 v9, v6, v5, 16
	v_and_b32_e32 v10, 0xffff0000, v5
	v_and_b32_e32 v6, 0xffff0000, v6
	v_lshlrev_b32_e32 v5, 16, v5
	s_delay_alu instid0(VALU_DEP_4) | instskip(NEXT) | instid1(VALU_DEP_4)
	v_and_b32_e32 v9, 0xffff0000, v9
	v_cvt_i32_f32_e32 v10, v10
	s_delay_alu instid0(VALU_DEP_4) | instskip(NEXT) | instid1(VALU_DEP_4)
	v_cvt_i32_f32_e32 v6, v6
	v_cvt_i32_f32_e32 v5, v5
	s_delay_alu instid0(VALU_DEP_4) | instskip(NEXT) | instid1(VALU_DEP_4)
	v_cvt_i32_f32_e32 v9, v9
	v_lshlrev_b16 v10, 8, v10
	s_delay_alu instid0(VALU_DEP_4) | instskip(NEXT) | instid1(VALU_DEP_2)
	v_lshlrev_b16 v6, 8, v6
	v_or_b32_e32 v5, v5, v10
	s_delay_alu instid0(VALU_DEP_2) | instskip(NEXT) | instid1(VALU_DEP_2)
	v_or_b32_e32 v6, v9, v6
	v_and_b32_e32 v5, 0xffff, v5
	s_delay_alu instid0(VALU_DEP_2) | instskip(NEXT) | instid1(VALU_DEP_1)
	v_lshlrev_b32_e32 v6, 16, v6
	v_or_b32_e32 v5, v5, v6
	global_store_b32 v[7:8], v5, off
	s_and_not1_b32 exec_lo, exec_lo, s17
	s_cbranch_execnz .LBB166_3
.LBB166_4:
	s_set_inst_prefetch_distance 0x2
	s_or_b32 exec_lo, exec_lo, s16
	s_mov_b32 s2, 0
.LBB166_5:
	s_delay_alu instid0(SALU_CYCLE_1)
	s_and_not1_b32 vcc_lo, exec_lo, s2
	s_cbranch_vccnz .LBB166_25
; %bb.6:
	v_cmp_lt_i64_e64 s2, s[4:5], 1
	s_delay_alu instid0(VALU_DEP_1)
	s_and_b32 vcc_lo, exec_lo, s2
	s_cbranch_vccnz .LBB166_25
; %bb.7:
	s_load_b32 s0, s[0:1], 0xc5c
	v_cmp_gt_u64_e64 s1, 0x10000, s[4:5]
	v_add_co_u32 v5, s2, s8, v0
	v_lshlrev_b32_e32 v1, 1, v0
	v_add_co_ci_u32_e64 v6, null, s9, 0, s2
	s_delay_alu instid0(VALU_DEP_3) | instskip(NEXT) | instid1(VALU_DEP_2)
	v_add_co_u32 v13, vcc_lo, s6, v5
                                        ; implicit-def: $vgpr29
                                        ; implicit-def: $vgpr30
                                        ; implicit-def: $vgpr27
                                        ; implicit-def: $vgpr28
	v_add_co_ci_u32_e32 v14, vcc_lo, s7, v6, vcc_lo
	s_waitcnt lgkmcnt(0)
	s_and_b32 s0, s0, 0xffff
	s_and_b32 s1, s1, exec_lo
	s_cselect_b32 s3, s5, 0
	s_cselect_b32 s2, s4, 0x10000
	s_lshl_b64 s[10:11], s[10:11], 17
	s_lshl_b32 s14, s0, 1
	s_lshl_b32 s1, s0, 2
	s_add_u32 s12, s12, s10
	s_mul_i32 s15, s0, 3
	s_addc_u32 s11, s13, s11
	s_lshl_b32 s10, s0, 3
	v_add_co_u32 v1, s16, s12, v1
	s_add_u32 s13, s8, s15
	v_add_co_ci_u32_e64 v2, null, s11, 0, s16
	s_addc_u32 s16, s9, 0
	s_add_u32 s13, s6, s13
	s_addc_u32 s16, s7, s16
	v_add_co_u32 v15, s13, s13, v0
	s_delay_alu instid0(VALU_DEP_1) | instskip(SKIP_1) | instid1(VALU_DEP_1)
	v_add_co_ci_u32_e64 v16, null, s16, 0, s13
	v_add_co_u32 v17, s13, s15, v0
	v_add_co_ci_u32_e64 v18, null, 0, 0, s13
	v_add_co_u32 v19, s13, v0, s0
	s_add_u32 s8, s8, s14
	s_addc_u32 s9, s9, 0
	s_add_u32 s8, s6, s8
	s_delay_alu instid0(VALU_DEP_1) | instskip(SKIP_2) | instid1(VALU_DEP_1)
	v_lshlrev_b32_e32 v3, 1, v19
	s_addc_u32 s9, s7, s9
	v_add_co_u32 v20, s8, s8, v0
	v_add_co_ci_u32_e64 v21, null, s9, 0, s8
	v_add_co_u32 v23, s8, s14, v0
	s_add_u32 s6, s6, s0
	v_add_co_ci_u32_e64 v24, null, 0, 0, s8
	v_add_co_u32 v3, s8, s12, v3
	s_addc_u32 s7, s7, 0
	v_add_co_u32 v25, vcc_lo, s6, v5
	v_add_co_ci_u32_e64 v22, null, 0, 0, s13
	v_add_co_ci_u32_e64 v4, null, s11, 0, s8
	v_add_co_ci_u32_e32 v26, vcc_lo, s7, v6, vcc_lo
	s_mul_i32 s8, s0, 6
	s_mov_b64 s[6:7], 0
	s_branch .LBB166_9
.LBB166_8:                              ;   in Loop: Header=BB166_9 Depth=1
	s_or_b32 exec_lo, exec_lo, s0
	s_add_u32 s6, s6, s1
	s_addc_u32 s7, s7, 0
	v_add_co_u32 v1, vcc_lo, v1, s10
	v_cmp_ge_i64_e64 s0, s[6:7], s[4:5]
	v_cmp_lt_u64_e64 s9, 0xffff, s[6:7]
	v_add_co_ci_u32_e32 v2, vcc_lo, 0, v2, vcc_lo
	v_add_co_u32 v3, vcc_lo, v3, s10
	v_add_co_ci_u32_e32 v4, vcc_lo, 0, v4, vcc_lo
	s_delay_alu instid0(VALU_DEP_4) | instskip(NEXT) | instid1(SALU_CYCLE_1)
	s_or_b32 s0, s0, s9
	s_and_b32 vcc_lo, exec_lo, s0
	s_cbranch_vccnz .LBB166_25
.LBB166_9:                              ; =>This Inner Loop Header: Depth=1
	v_add_co_u32 v5, s0, v0, s6
	s_delay_alu instid0(VALU_DEP_1) | instskip(NEXT) | instid1(VALU_DEP_1)
	v_add_co_ci_u32_e64 v6, null, 0, s7, s0
	v_cmp_gt_i64_e32 vcc_lo, s[4:5], v[5:6]
	v_cmp_gt_u64_e64 s0, 0x10000, v[5:6]
	s_delay_alu instid0(VALU_DEP_1) | instskip(NEXT) | instid1(SALU_CYCLE_1)
	s_and_b32 s9, vcc_lo, s0
	s_and_saveexec_b32 s0, s9
	s_cbranch_execz .LBB166_11
; %bb.10:                               ;   in Loop: Header=BB166_9 Depth=1
	global_load_u16 v28, v[1:2], off
.LBB166_11:                             ;   in Loop: Header=BB166_9 Depth=1
	s_or_b32 exec_lo, exec_lo, s0
	v_add_co_u32 v7, vcc_lo, v19, s6
	v_add_co_ci_u32_e32 v8, vcc_lo, s7, v22, vcc_lo
	s_delay_alu instid0(VALU_DEP_1) | instskip(SKIP_1) | instid1(VALU_DEP_1)
	v_cmp_gt_i64_e32 vcc_lo, s[4:5], v[7:8]
	v_cmp_gt_u64_e64 s0, 0x10000, v[7:8]
	s_and_b32 s9, vcc_lo, s0
	s_delay_alu instid0(SALU_CYCLE_1)
	s_and_saveexec_b32 s0, s9
	s_cbranch_execz .LBB166_13
; %bb.12:                               ;   in Loop: Header=BB166_9 Depth=1
	global_load_u16 v27, v[3:4], off
.LBB166_13:                             ;   in Loop: Header=BB166_9 Depth=1
	s_or_b32 exec_lo, exec_lo, s0
	v_add_co_u32 v9, vcc_lo, v23, s6
	v_add_co_ci_u32_e32 v10, vcc_lo, s7, v24, vcc_lo
	s_delay_alu instid0(VALU_DEP_1) | instskip(SKIP_1) | instid1(VALU_DEP_1)
	v_cmp_gt_i64_e32 vcc_lo, s[4:5], v[9:10]
	v_cmp_gt_u64_e64 s0, 0x10000, v[9:10]
	s_and_b32 s9, vcc_lo, s0
	s_delay_alu instid0(SALU_CYCLE_1)
	s_and_saveexec_b32 s0, s9
	s_cbranch_execz .LBB166_15
; %bb.14:                               ;   in Loop: Header=BB166_9 Depth=1
	v_add_co_u32 v11, vcc_lo, v1, s1
	v_add_co_ci_u32_e32 v12, vcc_lo, 0, v2, vcc_lo
	global_load_u16 v30, v[11:12], off
.LBB166_15:                             ;   in Loop: Header=BB166_9 Depth=1
	s_or_b32 exec_lo, exec_lo, s0
	v_add_co_u32 v11, vcc_lo, v17, s6
	v_add_co_ci_u32_e32 v12, vcc_lo, s7, v18, vcc_lo
	s_delay_alu instid0(VALU_DEP_1) | instskip(SKIP_1) | instid1(VALU_DEP_1)
	v_cmp_gt_i64_e32 vcc_lo, s[4:5], v[11:12]
	v_cmp_gt_u64_e64 s0, 0x10000, v[11:12]
	s_and_b32 s9, vcc_lo, s0
	s_delay_alu instid0(SALU_CYCLE_1)
	s_and_saveexec_b32 s0, s9
	s_cbranch_execnz .LBB166_20
; %bb.16:                               ;   in Loop: Header=BB166_9 Depth=1
	s_or_b32 exec_lo, exec_lo, s0
	s_delay_alu instid0(SALU_CYCLE_1)
	s_mov_b32 s0, exec_lo
	v_cmpx_gt_u64_e64 s[2:3], v[5:6]
	s_cbranch_execnz .LBB166_21
.LBB166_17:                             ;   in Loop: Header=BB166_9 Depth=1
	s_or_b32 exec_lo, exec_lo, s0
	s_delay_alu instid0(SALU_CYCLE_1)
	s_mov_b32 s0, exec_lo
	v_cmpx_gt_u64_e64 s[2:3], v[7:8]
	s_cbranch_execnz .LBB166_22
.LBB166_18:                             ;   in Loop: Header=BB166_9 Depth=1
	s_or_b32 exec_lo, exec_lo, s0
	s_delay_alu instid0(SALU_CYCLE_1)
	s_mov_b32 s0, exec_lo
	v_cmpx_gt_u64_e64 s[2:3], v[9:10]
	s_cbranch_execnz .LBB166_23
.LBB166_19:                             ;   in Loop: Header=BB166_9 Depth=1
	s_or_b32 exec_lo, exec_lo, s0
	s_delay_alu instid0(SALU_CYCLE_1)
	s_mov_b32 s0, exec_lo
	v_cmpx_gt_u64_e64 s[2:3], v[11:12]
	s_cbranch_execz .LBB166_8
	s_branch .LBB166_24
.LBB166_20:                             ;   in Loop: Header=BB166_9 Depth=1
	v_add_co_u32 v31, vcc_lo, v1, s8
	v_add_co_ci_u32_e32 v32, vcc_lo, 0, v2, vcc_lo
	global_load_u16 v29, v[31:32], off
	s_or_b32 exec_lo, exec_lo, s0
	s_delay_alu instid0(SALU_CYCLE_1)
	s_mov_b32 s0, exec_lo
	v_cmpx_gt_u64_e64 s[2:3], v[5:6]
	s_cbranch_execz .LBB166_17
.LBB166_21:                             ;   in Loop: Header=BB166_9 Depth=1
	s_waitcnt vmcnt(0)
	v_lshlrev_b32_e32 v31, 16, v28
	v_add_co_u32 v5, vcc_lo, v13, s6
	v_add_co_ci_u32_e32 v6, vcc_lo, s7, v14, vcc_lo
	s_delay_alu instid0(VALU_DEP_3) | instskip(SKIP_2) | instid1(SALU_CYCLE_1)
	v_cvt_i32_f32_e32 v31, v31
	global_store_b8 v[5:6], v31, off
	s_or_b32 exec_lo, exec_lo, s0
	s_mov_b32 s0, exec_lo
	v_cmpx_gt_u64_e64 s[2:3], v[7:8]
	s_cbranch_execz .LBB166_18
.LBB166_22:                             ;   in Loop: Header=BB166_9 Depth=1
	s_waitcnt vmcnt(0)
	v_lshlrev_b32_e32 v5, 16, v27
	s_delay_alu instid0(VALU_DEP_1) | instskip(SKIP_4) | instid1(SALU_CYCLE_1)
	v_cvt_i32_f32_e32 v7, v5
	v_add_co_u32 v5, vcc_lo, v25, s6
	v_add_co_ci_u32_e32 v6, vcc_lo, s7, v26, vcc_lo
	global_store_b8 v[5:6], v7, off
	s_or_b32 exec_lo, exec_lo, s0
	s_mov_b32 s0, exec_lo
	v_cmpx_gt_u64_e64 s[2:3], v[9:10]
	s_cbranch_execz .LBB166_19
.LBB166_23:                             ;   in Loop: Header=BB166_9 Depth=1
	s_waitcnt vmcnt(0)
	v_lshlrev_b32_e32 v5, 16, v30
	s_delay_alu instid0(VALU_DEP_1) | instskip(SKIP_4) | instid1(SALU_CYCLE_1)
	v_cvt_i32_f32_e32 v7, v5
	v_add_co_u32 v5, vcc_lo, v20, s6
	v_add_co_ci_u32_e32 v6, vcc_lo, s7, v21, vcc_lo
	global_store_b8 v[5:6], v7, off
	s_or_b32 exec_lo, exec_lo, s0
	s_mov_b32 s0, exec_lo
	v_cmpx_gt_u64_e64 s[2:3], v[11:12]
	s_cbranch_execz .LBB166_8
.LBB166_24:                             ;   in Loop: Header=BB166_9 Depth=1
	s_waitcnt vmcnt(0)
	v_lshlrev_b32_e32 v5, 16, v29
	s_delay_alu instid0(VALU_DEP_1)
	v_cvt_i32_f32_e32 v7, v5
	v_add_co_u32 v5, vcc_lo, v15, s6
	v_add_co_ci_u32_e32 v6, vcc_lo, s7, v16, vcc_lo
	global_store_b8 v[5:6], v7, off
	s_branch .LBB166_8
.LBB166_25:
	s_nop 0
	s_sendmsg sendmsg(MSG_DEALLOC_VGPRS)
	s_endpgm
	.section	.rodata,"a",@progbits
	.p2align	6, 0x0
	.amdhsa_kernel _ZN2at6native12_GLOBAL__N_125multi_tensor_apply_kernelINS1_18TensorListMetadataILi2EEENS1_11CopyFunctorIhN3c108BFloat16ELi2ELi1ELi1EEEJNS0_4CopyIhS7_EEEEEvT_T0_DpT1_
		.amdhsa_group_segment_fixed_size 0
		.amdhsa_private_segment_fixed_size 0
		.amdhsa_kernarg_size 3408
		.amdhsa_user_sgpr_count 15
		.amdhsa_user_sgpr_dispatch_ptr 0
		.amdhsa_user_sgpr_queue_ptr 0
		.amdhsa_user_sgpr_kernarg_segment_ptr 1
		.amdhsa_user_sgpr_dispatch_id 0
		.amdhsa_user_sgpr_private_segment_size 0
		.amdhsa_wavefront_size32 1
		.amdhsa_uses_dynamic_stack 0
		.amdhsa_enable_private_segment 0
		.amdhsa_system_sgpr_workgroup_id_x 1
		.amdhsa_system_sgpr_workgroup_id_y 0
		.amdhsa_system_sgpr_workgroup_id_z 0
		.amdhsa_system_sgpr_workgroup_info 0
		.amdhsa_system_vgpr_workitem_id 0
		.amdhsa_next_free_vgpr 33
		.amdhsa_next_free_sgpr 20
		.amdhsa_reserve_vcc 1
		.amdhsa_float_round_mode_32 0
		.amdhsa_float_round_mode_16_64 0
		.amdhsa_float_denorm_mode_32 3
		.amdhsa_float_denorm_mode_16_64 3
		.amdhsa_dx10_clamp 1
		.amdhsa_ieee_mode 1
		.amdhsa_fp16_overflow 0
		.amdhsa_workgroup_processor_mode 1
		.amdhsa_memory_ordered 1
		.amdhsa_forward_progress 0
		.amdhsa_shared_vgpr_count 0
		.amdhsa_exception_fp_ieee_invalid_op 0
		.amdhsa_exception_fp_denorm_src 0
		.amdhsa_exception_fp_ieee_div_zero 0
		.amdhsa_exception_fp_ieee_overflow 0
		.amdhsa_exception_fp_ieee_underflow 0
		.amdhsa_exception_fp_ieee_inexact 0
		.amdhsa_exception_int_div_zero 0
	.end_amdhsa_kernel
	.section	.text._ZN2at6native12_GLOBAL__N_125multi_tensor_apply_kernelINS1_18TensorListMetadataILi2EEENS1_11CopyFunctorIhN3c108BFloat16ELi2ELi1ELi1EEEJNS0_4CopyIhS7_EEEEEvT_T0_DpT1_,"axG",@progbits,_ZN2at6native12_GLOBAL__N_125multi_tensor_apply_kernelINS1_18TensorListMetadataILi2EEENS1_11CopyFunctorIhN3c108BFloat16ELi2ELi1ELi1EEEJNS0_4CopyIhS7_EEEEEvT_T0_DpT1_,comdat
.Lfunc_end166:
	.size	_ZN2at6native12_GLOBAL__N_125multi_tensor_apply_kernelINS1_18TensorListMetadataILi2EEENS1_11CopyFunctorIhN3c108BFloat16ELi2ELi1ELi1EEEJNS0_4CopyIhS7_EEEEEvT_T0_DpT1_, .Lfunc_end166-_ZN2at6native12_GLOBAL__N_125multi_tensor_apply_kernelINS1_18TensorListMetadataILi2EEENS1_11CopyFunctorIhN3c108BFloat16ELi2ELi1ELi1EEEJNS0_4CopyIhS7_EEEEEvT_T0_DpT1_
                                        ; -- End function
	.section	.AMDGPU.csdata,"",@progbits
; Kernel info:
; codeLenInByte = 1504
; NumSgprs: 22
; NumVgprs: 33
; ScratchSize: 0
; MemoryBound: 0
; FloatMode: 240
; IeeeMode: 1
; LDSByteSize: 0 bytes/workgroup (compile time only)
; SGPRBlocks: 2
; VGPRBlocks: 4
; NumSGPRsForWavesPerEU: 22
; NumVGPRsForWavesPerEU: 33
; Occupancy: 16
; WaveLimiterHint : 0
; COMPUTE_PGM_RSRC2:SCRATCH_EN: 0
; COMPUTE_PGM_RSRC2:USER_SGPR: 15
; COMPUTE_PGM_RSRC2:TRAP_HANDLER: 0
; COMPUTE_PGM_RSRC2:TGID_X_EN: 1
; COMPUTE_PGM_RSRC2:TGID_Y_EN: 0
; COMPUTE_PGM_RSRC2:TGID_Z_EN: 0
; COMPUTE_PGM_RSRC2:TIDIG_COMP_CNT: 0
	.section	.text._ZN2at6native12_GLOBAL__N_125multi_tensor_apply_kernelINS1_18TensorListMetadataILi2EEENS1_11CopyFunctorIhbLi2ELi1ELi1EEEJNS0_4CopyIhbEEEEEvT_T0_DpT1_,"axG",@progbits,_ZN2at6native12_GLOBAL__N_125multi_tensor_apply_kernelINS1_18TensorListMetadataILi2EEENS1_11CopyFunctorIhbLi2ELi1ELi1EEEJNS0_4CopyIhbEEEEEvT_T0_DpT1_,comdat
	.globl	_ZN2at6native12_GLOBAL__N_125multi_tensor_apply_kernelINS1_18TensorListMetadataILi2EEENS1_11CopyFunctorIhbLi2ELi1ELi1EEEJNS0_4CopyIhbEEEEEvT_T0_DpT1_ ; -- Begin function _ZN2at6native12_GLOBAL__N_125multi_tensor_apply_kernelINS1_18TensorListMetadataILi2EEENS1_11CopyFunctorIhbLi2ELi1ELi1EEEJNS0_4CopyIhbEEEEEvT_T0_DpT1_
	.p2align	8
	.type	_ZN2at6native12_GLOBAL__N_125multi_tensor_apply_kernelINS1_18TensorListMetadataILi2EEENS1_11CopyFunctorIhbLi2ELi1ELi1EEEJNS0_4CopyIhbEEEEEvT_T0_DpT1_,@function
_ZN2at6native12_GLOBAL__N_125multi_tensor_apply_kernelINS1_18TensorListMetadataILi2EEENS1_11CopyFunctorIhbLi2ELi1ELi1EEEJNS0_4CopyIhbEEEEEvT_T0_DpT1_: ; @_ZN2at6native12_GLOBAL__N_125multi_tensor_apply_kernelINS1_18TensorListMetadataILi2EEENS1_11CopyFunctorIhbLi2ELi1ELi1EEEJNS0_4CopyIhbEEEEEvT_T0_DpT1_
; %bb.0:
	v_mov_b32_e32 v1, s15
	s_add_u32 s2, s0, s15
	s_mul_i32 s4, s15, 3
	s_addc_u32 s3, s1, 0
	s_mul_hi_u32 s5, s15, 3
	global_load_u8 v1, v1, s[0:1] offset:1536
	s_add_u32 s2, s2, s4
	s_addc_u32 s3, s3, s5
	s_load_b32 s2, s[2:3], 0x740
	s_waitcnt vmcnt(0)
	v_readfirstlane_b32 s4, v1
	s_delay_alu instid0(VALU_DEP_1)
	s_lshl_b32 s3, s4, 3
	s_clause 0x2
	s_load_b64 s[6:7], s[0:1], s3 offset:0x0
	s_load_b64 s[8:9], s[0:1], s3 offset:0x200
	;; [unrolled: 1-line block ×3, first 2 shown]
	s_waitcnt lgkmcnt(0)
	s_ashr_i32 s3, s2, 31
	s_delay_alu instid0(SALU_CYCLE_1) | instskip(NEXT) | instid1(SALU_CYCLE_1)
	s_lshl_b64 s[10:11], s[2:3], 16
	s_add_u32 s3, s6, s10
	s_addc_u32 s14, s7, s11
	s_add_u32 s12, s8, s10
	s_addc_u32 s13, s9, s11
	s_delay_alu instid0(SALU_CYCLE_1) | instskip(NEXT) | instid1(SALU_CYCLE_1)
	s_or_b64 s[16:17], s[4:5], s[12:13]
	s_or_b32 s2, s3, s16
	s_delay_alu instid0(SALU_CYCLE_1)
	s_and_b32 s2, s2, 3
	s_sub_u32 s4, s4, s10
	s_subb_u32 s5, s5, s11
	s_cmp_eq_u32 s2, 0
	s_mov_b32 s2, -1
	s_cbranch_scc0 .LBB167_5
; %bb.1:
	v_dual_mov_b32 v2, 0 :: v_dual_lshlrev_b32 v1, 2, v0
	s_mov_b32 s15, exec_lo
	s_delay_alu instid0(VALU_DEP_1)
	v_cmpx_gt_i64_e64 s[4:5], v[1:2]
	s_cbranch_execz .LBB167_4
; %bb.2:
	s_load_b32 s2, s[0:1], 0xc5c
	s_mov_b32 s17, 0
	s_waitcnt lgkmcnt(0)
	s_and_b32 s2, s2, 0xffff
	s_delay_alu instid0(SALU_CYCLE_1)
	s_lshl_b32 s16, s2, 2
	.p2align	6
.LBB167_3:                              ; =>This Inner Loop Header: Depth=1
	v_add_co_u32 v3, vcc_lo, s3, v1
	v_add_co_ci_u32_e32 v4, vcc_lo, s14, v2, vcc_lo
	global_load_b32 v5, v[3:4], off
	v_add_co_u32 v3, vcc_lo, s12, v1
	v_add_co_ci_u32_e32 v4, vcc_lo, s13, v2, vcc_lo
	v_add_co_u32 v1, vcc_lo, s16, v1
	v_add_co_ci_u32_e32 v2, vcc_lo, 0, v2, vcc_lo
	s_delay_alu instid0(VALU_DEP_1) | instskip(SKIP_1) | instid1(VALU_DEP_1)
	v_cmp_le_i64_e32 vcc_lo, s[4:5], v[1:2]
	v_cmp_lt_u64_e64 s2, 0xffff, v[1:2]
	s_or_b32 s2, vcc_lo, s2
	s_delay_alu instid0(SALU_CYCLE_1) | instskip(NEXT) | instid1(SALU_CYCLE_1)
	s_and_b32 s2, exec_lo, s2
	s_or_b32 s17, s2, s17
	s_waitcnt vmcnt(0)
	global_store_b32 v[3:4], v5, off
	s_and_not1_b32 exec_lo, exec_lo, s17
	s_cbranch_execnz .LBB167_3
.LBB167_4:
	s_or_b32 exec_lo, exec_lo, s15
	s_mov_b32 s2, 0
.LBB167_5:
	s_delay_alu instid0(SALU_CYCLE_1)
	s_and_not1_b32 vcc_lo, exec_lo, s2
	s_cbranch_vccnz .LBB167_25
; %bb.6:
	v_cmp_lt_i64_e64 s2, s[4:5], 1
	s_delay_alu instid0(VALU_DEP_1)
	s_and_b32 vcc_lo, exec_lo, s2
	s_cbranch_vccnz .LBB167_25
; %bb.7:
	s_load_b32 s0, s[0:1], 0xc5c
	v_add_co_u32 v1, s1, s10, v0
	s_delay_alu instid0(VALU_DEP_1) | instskip(SKIP_1) | instid1(VALU_DEP_3)
	v_add_co_ci_u32_e64 v2, null, s11, 0, s1
	v_cmp_gt_u64_e64 s1, 0x10000, s[4:5]
	v_add_co_u32 v9, vcc_lo, s6, v1
	s_delay_alu instid0(VALU_DEP_3)
	v_add_co_ci_u32_e32 v10, vcc_lo, s7, v2, vcc_lo
	v_add_co_u32 v11, vcc_lo, s8, v1
	v_add_co_ci_u32_e32 v12, vcc_lo, s9, v2, vcc_lo
                                        ; implicit-def: $vgpr31
                                        ; implicit-def: $vgpr32
                                        ; implicit-def: $vgpr33
                                        ; implicit-def: $vgpr34
	s_waitcnt lgkmcnt(0)
	s_and_b32 s0, s0, 0xffff
	s_and_b32 s1, s1, exec_lo
	s_mul_i32 s13, s0, 3
	s_cselect_b32 s3, s5, 0
	s_cselect_b32 s2, s4, 0x10000
	s_lshl_b32 s12, s0, 1
	s_lshl_b32 s1, s0, 2
	s_add_u32 s14, s10, s13
	s_addc_u32 s15, s11, 0
	v_add_co_u32 v3, s14, s14, v0
	s_delay_alu instid0(VALU_DEP_1) | instskip(SKIP_1) | instid1(VALU_DEP_2)
	v_add_co_ci_u32_e64 v4, null, s15, 0, s14
	s_add_u32 s10, s10, s12
	v_add_co_u32 v13, vcc_lo, s6, v3
	s_delay_alu instid0(VALU_DEP_2)
	v_add_co_ci_u32_e32 v14, vcc_lo, s7, v4, vcc_lo
	v_add_co_u32 v15, vcc_lo, s8, v3
	s_addc_u32 s11, s11, 0
	v_add_co_u32 v3, s10, s10, v0
	v_add_co_ci_u32_e32 v16, vcc_lo, s9, v4, vcc_lo
	v_add_co_ci_u32_e64 v4, null, s11, 0, s10
	s_delay_alu instid0(VALU_DEP_3) | instskip(SKIP_1) | instid1(VALU_DEP_3)
	v_add_co_u32 v19, vcc_lo, s6, v3
	v_add_co_u32 v17, s10, s13, v0
	v_add_co_ci_u32_e32 v20, vcc_lo, s7, v4, vcc_lo
	v_add_co_u32 v21, vcc_lo, s8, v3
	v_add_co_ci_u32_e32 v22, vcc_lo, s9, v4, vcc_lo
	v_add_co_u32 v1, vcc_lo, v1, s0
	v_add_co_ci_u32_e32 v2, vcc_lo, 0, v2, vcc_lo
	v_add_co_ci_u32_e64 v18, null, 0, 0, s10
	s_delay_alu instid0(VALU_DEP_3) | instskip(NEXT) | instid1(VALU_DEP_3)
	v_add_co_u32 v25, vcc_lo, s6, v1
	v_add_co_ci_u32_e32 v26, vcc_lo, s7, v2, vcc_lo
	v_add_co_u32 v23, s10, s12, v0
	v_add_co_u32 v27, vcc_lo, s8, v1
	v_add_co_u32 v29, s0, v0, s0
	v_add_co_ci_u32_e64 v24, null, 0, 0, s10
	v_add_co_ci_u32_e32 v28, vcc_lo, s9, v2, vcc_lo
	v_add_co_ci_u32_e64 v30, null, 0, 0, s0
	s_mov_b64 s[6:7], 0
	s_branch .LBB167_9
.LBB167_8:                              ;   in Loop: Header=BB167_9 Depth=1
	s_or_b32 exec_lo, exec_lo, s0
	s_add_u32 s6, s6, s1
	s_addc_u32 s7, s7, 0
	s_delay_alu instid0(SALU_CYCLE_1) | instskip(SKIP_1) | instid1(VALU_DEP_1)
	v_cmp_ge_i64_e64 s0, s[6:7], s[4:5]
	v_cmp_lt_u64_e64 s8, 0xffff, s[6:7]
	s_or_b32 s0, s0, s8
	s_delay_alu instid0(SALU_CYCLE_1)
	s_and_b32 vcc_lo, exec_lo, s0
	s_cbranch_vccnz .LBB167_25
.LBB167_9:                              ; =>This Inner Loop Header: Depth=1
	v_add_co_u32 v1, s0, v0, s6
	s_delay_alu instid0(VALU_DEP_1) | instskip(NEXT) | instid1(VALU_DEP_1)
	v_add_co_ci_u32_e64 v2, null, 0, s7, s0
	v_cmp_gt_i64_e32 vcc_lo, s[4:5], v[1:2]
	v_cmp_gt_u64_e64 s0, 0x10000, v[1:2]
	s_delay_alu instid0(VALU_DEP_1) | instskip(NEXT) | instid1(SALU_CYCLE_1)
	s_and_b32 s8, vcc_lo, s0
	s_and_saveexec_b32 s0, s8
	s_cbranch_execz .LBB167_11
; %bb.10:                               ;   in Loop: Header=BB167_9 Depth=1
	v_add_co_u32 v3, vcc_lo, v9, s6
	v_add_co_ci_u32_e32 v4, vcc_lo, s7, v10, vcc_lo
	global_load_u8 v31, v[3:4], off
.LBB167_11:                             ;   in Loop: Header=BB167_9 Depth=1
	s_or_b32 exec_lo, exec_lo, s0
	v_add_co_u32 v3, vcc_lo, v29, s6
	v_add_co_ci_u32_e32 v4, vcc_lo, s7, v30, vcc_lo
	s_delay_alu instid0(VALU_DEP_1) | instskip(SKIP_1) | instid1(VALU_DEP_1)
	v_cmp_gt_i64_e32 vcc_lo, s[4:5], v[3:4]
	v_cmp_gt_u64_e64 s0, 0x10000, v[3:4]
	s_and_b32 s8, vcc_lo, s0
	s_delay_alu instid0(SALU_CYCLE_1)
	s_and_saveexec_b32 s0, s8
	s_cbranch_execz .LBB167_13
; %bb.12:                               ;   in Loop: Header=BB167_9 Depth=1
	v_add_co_u32 v5, vcc_lo, v25, s6
	v_add_co_ci_u32_e32 v6, vcc_lo, s7, v26, vcc_lo
	global_load_u8 v32, v[5:6], off
.LBB167_13:                             ;   in Loop: Header=BB167_9 Depth=1
	s_or_b32 exec_lo, exec_lo, s0
	v_add_co_u32 v5, vcc_lo, v23, s6
	v_add_co_ci_u32_e32 v6, vcc_lo, s7, v24, vcc_lo
	s_delay_alu instid0(VALU_DEP_1) | instskip(SKIP_1) | instid1(VALU_DEP_1)
	v_cmp_gt_i64_e32 vcc_lo, s[4:5], v[5:6]
	v_cmp_gt_u64_e64 s0, 0x10000, v[5:6]
	s_and_b32 s8, vcc_lo, s0
	s_delay_alu instid0(SALU_CYCLE_1)
	;; [unrolled: 15-line block ×3, first 2 shown]
	s_and_saveexec_b32 s0, s8
	s_cbranch_execnz .LBB167_20
; %bb.16:                               ;   in Loop: Header=BB167_9 Depth=1
	s_or_b32 exec_lo, exec_lo, s0
	s_delay_alu instid0(SALU_CYCLE_1)
	s_mov_b32 s0, exec_lo
	v_cmpx_gt_u64_e64 s[2:3], v[1:2]
	s_cbranch_execnz .LBB167_21
.LBB167_17:                             ;   in Loop: Header=BB167_9 Depth=1
	s_or_b32 exec_lo, exec_lo, s0
	s_delay_alu instid0(SALU_CYCLE_1)
	s_mov_b32 s0, exec_lo
	v_cmpx_gt_u64_e64 s[2:3], v[3:4]
	s_cbranch_execnz .LBB167_22
.LBB167_18:                             ;   in Loop: Header=BB167_9 Depth=1
	s_or_b32 exec_lo, exec_lo, s0
	s_delay_alu instid0(SALU_CYCLE_1)
	s_mov_b32 s0, exec_lo
	v_cmpx_gt_u64_e64 s[2:3], v[5:6]
	s_cbranch_execnz .LBB167_23
.LBB167_19:                             ;   in Loop: Header=BB167_9 Depth=1
	s_or_b32 exec_lo, exec_lo, s0
	s_delay_alu instid0(SALU_CYCLE_1)
	s_mov_b32 s0, exec_lo
	v_cmpx_gt_u64_e64 s[2:3], v[7:8]
	s_cbranch_execz .LBB167_8
	s_branch .LBB167_24
.LBB167_20:                             ;   in Loop: Header=BB167_9 Depth=1
	s_waitcnt vmcnt(0)
	v_add_co_u32 v34, vcc_lo, v13, s6
	v_add_co_ci_u32_e32 v35, vcc_lo, s7, v14, vcc_lo
	global_load_u8 v34, v[34:35], off
	s_or_b32 exec_lo, exec_lo, s0
	s_delay_alu instid0(SALU_CYCLE_1)
	s_mov_b32 s0, exec_lo
	v_cmpx_gt_u64_e64 s[2:3], v[1:2]
	s_cbranch_execz .LBB167_17
.LBB167_21:                             ;   in Loop: Header=BB167_9 Depth=1
	v_add_co_u32 v1, vcc_lo, v11, s6
	v_add_co_ci_u32_e32 v2, vcc_lo, s7, v12, vcc_lo
	s_waitcnt vmcnt(0)
	global_store_b8 v[1:2], v31, off
	s_or_b32 exec_lo, exec_lo, s0
	s_delay_alu instid0(SALU_CYCLE_1)
	s_mov_b32 s0, exec_lo
	v_cmpx_gt_u64_e64 s[2:3], v[3:4]
	s_cbranch_execz .LBB167_18
.LBB167_22:                             ;   in Loop: Header=BB167_9 Depth=1
	v_add_co_u32 v1, vcc_lo, v27, s6
	v_add_co_ci_u32_e32 v2, vcc_lo, s7, v28, vcc_lo
	s_waitcnt vmcnt(0)
	global_store_b8 v[1:2], v32, off
	s_or_b32 exec_lo, exec_lo, s0
	s_delay_alu instid0(SALU_CYCLE_1)
	s_mov_b32 s0, exec_lo
	v_cmpx_gt_u64_e64 s[2:3], v[5:6]
	s_cbranch_execz .LBB167_19
.LBB167_23:                             ;   in Loop: Header=BB167_9 Depth=1
	v_add_co_u32 v1, vcc_lo, v21, s6
	v_add_co_ci_u32_e32 v2, vcc_lo, s7, v22, vcc_lo
	s_waitcnt vmcnt(0)
	global_store_b8 v[1:2], v33, off
	s_or_b32 exec_lo, exec_lo, s0
	s_delay_alu instid0(SALU_CYCLE_1)
	s_mov_b32 s0, exec_lo
	v_cmpx_gt_u64_e64 s[2:3], v[7:8]
	s_cbranch_execz .LBB167_8
.LBB167_24:                             ;   in Loop: Header=BB167_9 Depth=1
	v_add_co_u32 v1, vcc_lo, v15, s6
	v_add_co_ci_u32_e32 v2, vcc_lo, s7, v16, vcc_lo
	s_waitcnt vmcnt(0)
	global_store_b8 v[1:2], v34, off
	s_branch .LBB167_8
.LBB167_25:
	s_nop 0
	s_sendmsg sendmsg(MSG_DEALLOC_VGPRS)
	s_endpgm
	.section	.rodata,"a",@progbits
	.p2align	6, 0x0
	.amdhsa_kernel _ZN2at6native12_GLOBAL__N_125multi_tensor_apply_kernelINS1_18TensorListMetadataILi2EEENS1_11CopyFunctorIhbLi2ELi1ELi1EEEJNS0_4CopyIhbEEEEEvT_T0_DpT1_
		.amdhsa_group_segment_fixed_size 0
		.amdhsa_private_segment_fixed_size 0
		.amdhsa_kernarg_size 3408
		.amdhsa_user_sgpr_count 15
		.amdhsa_user_sgpr_dispatch_ptr 0
		.amdhsa_user_sgpr_queue_ptr 0
		.amdhsa_user_sgpr_kernarg_segment_ptr 1
		.amdhsa_user_sgpr_dispatch_id 0
		.amdhsa_user_sgpr_private_segment_size 0
		.amdhsa_wavefront_size32 1
		.amdhsa_uses_dynamic_stack 0
		.amdhsa_enable_private_segment 0
		.amdhsa_system_sgpr_workgroup_id_x 1
		.amdhsa_system_sgpr_workgroup_id_y 0
		.amdhsa_system_sgpr_workgroup_id_z 0
		.amdhsa_system_sgpr_workgroup_info 0
		.amdhsa_system_vgpr_workitem_id 0
		.amdhsa_next_free_vgpr 36
		.amdhsa_next_free_sgpr 18
		.amdhsa_reserve_vcc 1
		.amdhsa_float_round_mode_32 0
		.amdhsa_float_round_mode_16_64 0
		.amdhsa_float_denorm_mode_32 3
		.amdhsa_float_denorm_mode_16_64 3
		.amdhsa_dx10_clamp 1
		.amdhsa_ieee_mode 1
		.amdhsa_fp16_overflow 0
		.amdhsa_workgroup_processor_mode 1
		.amdhsa_memory_ordered 1
		.amdhsa_forward_progress 0
		.amdhsa_shared_vgpr_count 0
		.amdhsa_exception_fp_ieee_invalid_op 0
		.amdhsa_exception_fp_denorm_src 0
		.amdhsa_exception_fp_ieee_div_zero 0
		.amdhsa_exception_fp_ieee_overflow 0
		.amdhsa_exception_fp_ieee_underflow 0
		.amdhsa_exception_fp_ieee_inexact 0
		.amdhsa_exception_int_div_zero 0
	.end_amdhsa_kernel
	.section	.text._ZN2at6native12_GLOBAL__N_125multi_tensor_apply_kernelINS1_18TensorListMetadataILi2EEENS1_11CopyFunctorIhbLi2ELi1ELi1EEEJNS0_4CopyIhbEEEEEvT_T0_DpT1_,"axG",@progbits,_ZN2at6native12_GLOBAL__N_125multi_tensor_apply_kernelINS1_18TensorListMetadataILi2EEENS1_11CopyFunctorIhbLi2ELi1ELi1EEEJNS0_4CopyIhbEEEEEvT_T0_DpT1_,comdat
.Lfunc_end167:
	.size	_ZN2at6native12_GLOBAL__N_125multi_tensor_apply_kernelINS1_18TensorListMetadataILi2EEENS1_11CopyFunctorIhbLi2ELi1ELi1EEEJNS0_4CopyIhbEEEEEvT_T0_DpT1_, .Lfunc_end167-_ZN2at6native12_GLOBAL__N_125multi_tensor_apply_kernelINS1_18TensorListMetadataILi2EEENS1_11CopyFunctorIhbLi2ELi1ELi1EEEJNS0_4CopyIhbEEEEEvT_T0_DpT1_
                                        ; -- End function
	.section	.AMDGPU.csdata,"",@progbits
; Kernel info:
; codeLenInByte = 1324
; NumSgprs: 20
; NumVgprs: 36
; ScratchSize: 0
; MemoryBound: 0
; FloatMode: 240
; IeeeMode: 1
; LDSByteSize: 0 bytes/workgroup (compile time only)
; SGPRBlocks: 2
; VGPRBlocks: 4
; NumSGPRsForWavesPerEU: 20
; NumVGPRsForWavesPerEU: 36
; Occupancy: 16
; WaveLimiterHint : 0
; COMPUTE_PGM_RSRC2:SCRATCH_EN: 0
; COMPUTE_PGM_RSRC2:USER_SGPR: 15
; COMPUTE_PGM_RSRC2:TRAP_HANDLER: 0
; COMPUTE_PGM_RSRC2:TGID_X_EN: 1
; COMPUTE_PGM_RSRC2:TGID_Y_EN: 0
; COMPUTE_PGM_RSRC2:TGID_Z_EN: 0
; COMPUTE_PGM_RSRC2:TIDIG_COMP_CNT: 0
	.section	.text._ZN2at6native12_GLOBAL__N_125multi_tensor_apply_kernelINS1_18TensorListMetadataILi2EEENS1_11CopyFunctorIhN3c1013Float8_e4m3fnELi2ELi1ELi1EEEJNS0_4CopyIhS7_EEEEEvT_T0_DpT1_,"axG",@progbits,_ZN2at6native12_GLOBAL__N_125multi_tensor_apply_kernelINS1_18TensorListMetadataILi2EEENS1_11CopyFunctorIhN3c1013Float8_e4m3fnELi2ELi1ELi1EEEJNS0_4CopyIhS7_EEEEEvT_T0_DpT1_,comdat
	.globl	_ZN2at6native12_GLOBAL__N_125multi_tensor_apply_kernelINS1_18TensorListMetadataILi2EEENS1_11CopyFunctorIhN3c1013Float8_e4m3fnELi2ELi1ELi1EEEJNS0_4CopyIhS7_EEEEEvT_T0_DpT1_ ; -- Begin function _ZN2at6native12_GLOBAL__N_125multi_tensor_apply_kernelINS1_18TensorListMetadataILi2EEENS1_11CopyFunctorIhN3c1013Float8_e4m3fnELi2ELi1ELi1EEEJNS0_4CopyIhS7_EEEEEvT_T0_DpT1_
	.p2align	8
	.type	_ZN2at6native12_GLOBAL__N_125multi_tensor_apply_kernelINS1_18TensorListMetadataILi2EEENS1_11CopyFunctorIhN3c1013Float8_e4m3fnELi2ELi1ELi1EEEJNS0_4CopyIhS7_EEEEEvT_T0_DpT1_,@function
_ZN2at6native12_GLOBAL__N_125multi_tensor_apply_kernelINS1_18TensorListMetadataILi2EEENS1_11CopyFunctorIhN3c1013Float8_e4m3fnELi2ELi1ELi1EEEJNS0_4CopyIhS7_EEEEEvT_T0_DpT1_: ; @_ZN2at6native12_GLOBAL__N_125multi_tensor_apply_kernelINS1_18TensorListMetadataILi2EEENS1_11CopyFunctorIhN3c1013Float8_e4m3fnELi2ELi1ELi1EEEJNS0_4CopyIhS7_EEEEEvT_T0_DpT1_
; %bb.0:
	v_mov_b32_e32 v1, s15
	s_add_u32 s2, s0, s15
	s_mul_i32 s4, s15, 3
	s_addc_u32 s3, s1, 0
	s_mul_hi_u32 s5, s15, 3
	global_load_u8 v1, v1, s[0:1] offset:1536
	s_add_u32 s2, s2, s4
	s_addc_u32 s3, s3, s5
	s_load_b32 s2, s[2:3], 0x740
	s_waitcnt vmcnt(0)
	v_readfirstlane_b32 s4, v1
	s_delay_alu instid0(VALU_DEP_1)
	s_lshl_b32 s3, s4, 3
	s_clause 0x2
	s_load_b64 s[6:7], s[0:1], s3 offset:0x0
	s_load_b64 s[8:9], s[0:1], s3 offset:0x200
	s_load_b64 s[4:5], s[0:1], s3 offset:0x400
	s_waitcnt lgkmcnt(0)
	s_ashr_i32 s3, s2, 31
	s_delay_alu instid0(SALU_CYCLE_1) | instskip(NEXT) | instid1(SALU_CYCLE_1)
	s_lshl_b64 s[10:11], s[2:3], 16
	s_add_u32 s14, s6, s10
	s_addc_u32 s15, s7, s11
	s_add_u32 s12, s8, s10
	s_addc_u32 s13, s9, s11
	s_delay_alu instid0(SALU_CYCLE_1) | instskip(NEXT) | instid1(SALU_CYCLE_1)
	s_or_b64 s[2:3], s[4:5], s[12:13]
	s_or_b32 s2, s14, s2
	s_delay_alu instid0(SALU_CYCLE_1)
	s_and_b32 s2, s2, 3
	s_sub_u32 s4, s4, s10
	s_subb_u32 s5, s5, s11
	s_cmp_eq_u32 s2, 0
	s_mov_b32 s2, -1
	s_cbranch_scc0 .LBB168_5
; %bb.1:
	v_dual_mov_b32 v2, 0 :: v_dual_lshlrev_b32 v1, 2, v0
	s_mov_b32 s16, exec_lo
	s_delay_alu instid0(VALU_DEP_1)
	v_cmpx_gt_i64_e64 s[4:5], v[1:2]
	s_cbranch_execz .LBB168_4
; %bb.2:
	s_load_b32 s2, s[0:1], 0xc5c
	s_mov_b32 s18, 0
	s_waitcnt lgkmcnt(0)
	s_and_b32 s2, s2, 0xffff
	s_delay_alu instid0(SALU_CYCLE_1)
	s_lshl_b32 s17, s2, 2
.LBB168_3:                              ; =>This Inner Loop Header: Depth=1
	v_add_co_u32 v3, vcc_lo, s14, v1
	v_add_co_ci_u32_e32 v4, vcc_lo, s15, v2, vcc_lo
	global_load_b32 v5, v[3:4], off
	v_add_co_u32 v3, vcc_lo, s12, v1
	v_add_co_ci_u32_e32 v4, vcc_lo, s13, v2, vcc_lo
	s_waitcnt vmcnt(0)
	v_and_b32_e32 v9, 0x7f000000, v5
	v_lshlrev_b32_e32 v8, 8, v5
	v_lshlrev_b32_e32 v7, 16, v5
	;; [unrolled: 1-line block ×3, first 2 shown]
	s_delay_alu instid0(VALU_DEP_4) | instskip(NEXT) | instid1(VALU_DEP_4)
	v_clz_i32_u32_e32 v13, v9
	v_and_b32_e32 v12, 0x7f000000, v8
	v_add_nc_u32_e32 v14, 0x1000000, v9
	v_cmp_ne_u32_e32 vcc_lo, 0, v9
	v_and_b32_e32 v10, 0x7f000000, v6
	v_min_u32_e32 v13, 32, v13
	v_clz_i32_u32_e32 v19, v12
	v_ashrrev_i32_e32 v14, 8, v14
	v_add_nc_u32_e32 v20, 0x1000000, v12
	v_cmp_ne_u32_e64 s3, 0, v12
	v_sub_nc_u32_e64 v13, v13, 4 clamp
	v_min_u32_e32 v19, 32, v19
	v_clz_i32_u32_e32 v15, v10
	v_add_nc_u32_e32 v16, 0x1000000, v10
	v_ashrrev_i32_e32 v20, 8, v20
	v_lshlrev_b32_e32 v21, v13, v9
	v_lshlrev_b32_e32 v13, 23, v13
	v_sub_nc_u32_e64 v19, v19, 4 clamp
	v_min_u32_e32 v15, 32, v15
	v_ashrrev_i32_e32 v16, 8, v16
	v_lshrrev_b32_e32 v21, 4, v21
	v_cmp_ne_u32_e64 s2, 0, v10
	v_lshlrev_b32_e32 v24, v19, v12
	v_sub_nc_u32_e64 v15, v15, 4 clamp
	v_lshlrev_b32_e32 v19, 23, v19
	v_sub_nc_u32_e32 v13, v21, v13
	s_delay_alu instid0(VALU_DEP_4) | instskip(NEXT) | instid1(VALU_DEP_4)
	v_lshrrev_b32_e32 v24, 4, v24
	v_lshlrev_b32_e32 v22, v15, v10
	v_lshlrev_b32_e32 v15, 23, v15
	s_delay_alu instid0(VALU_DEP_4) | instskip(NEXT) | instid1(VALU_DEP_4)
	v_add_nc_u32_e32 v13, 0x3c000000, v13
	v_sub_nc_u32_e32 v19, v24, v19
	s_delay_alu instid0(VALU_DEP_4) | instskip(NEXT) | instid1(VALU_DEP_3)
	v_lshrrev_b32_e32 v22, 4, v22
	v_and_or_b32 v13, 0x7f800000, v14, v13
	v_and_b32_e32 v11, 0x7f000000, v7
	s_delay_alu instid0(VALU_DEP_4) | instskip(NEXT) | instid1(VALU_DEP_4)
	v_add_nc_u32_e32 v19, 0x3c000000, v19
	v_sub_nc_u32_e32 v15, v22, v15
	s_delay_alu instid0(VALU_DEP_4) | instskip(NEXT) | instid1(VALU_DEP_4)
	v_cndmask_b32_e32 v12, 0, v13, vcc_lo
	v_clz_i32_u32_e32 v17, v11
	v_add_nc_u32_e32 v18, 0x1000000, v11
	s_delay_alu instid0(VALU_DEP_4)
	v_add_nc_u32_e32 v15, 0x3c000000, v15
	v_cmp_ne_u32_e32 vcc_lo, 0, v11
	v_and_or_b32 v14, 0x7f800000, v20, v19
	v_min_u32_e32 v17, 32, v17
	v_ashrrev_i32_e32 v18, 8, v18
	v_and_or_b32 v9, 0x7f800000, v16, v15
	v_and_or_b32 v5, 0x80000000, v5, v12
	s_delay_alu instid0(VALU_DEP_4) | instskip(NEXT) | instid1(VALU_DEP_3)
	v_sub_nc_u32_e64 v17, v17, 4 clamp
	v_cndmask_b32_e64 v9, 0, v9, s2
	s_delay_alu instid0(VALU_DEP_3) | instskip(NEXT) | instid1(VALU_DEP_3)
	v_cvt_i32_f32_e32 v5, v5
	v_lshlrev_b32_e32 v23, v17, v11
	v_lshlrev_b32_e32 v17, 23, v17
	v_cndmask_b32_e64 v11, 0, v14, s3
	v_and_or_b32 v6, 0x80000000, v6, v9
	v_lshlrev_b16 v5, 8, v5
	v_lshrrev_b32_e32 v23, 4, v23
	s_delay_alu instid0(VALU_DEP_4) | instskip(NEXT) | instid1(VALU_DEP_4)
	v_and_or_b32 v8, 0x80000000, v8, v11
	v_cvt_i32_f32_e32 v6, v6
	s_delay_alu instid0(VALU_DEP_3) | instskip(NEXT) | instid1(VALU_DEP_3)
	v_sub_nc_u32_e32 v17, v23, v17
	v_cvt_i32_f32_e32 v8, v8
	s_delay_alu instid0(VALU_DEP_2) | instskip(NEXT) | instid1(VALU_DEP_2)
	v_add_nc_u32_e32 v17, 0x3c000000, v17
	v_or_b32_e32 v5, v8, v5
	s_delay_alu instid0(VALU_DEP_2) | instskip(NEXT) | instid1(VALU_DEP_1)
	v_and_or_b32 v10, 0x7f800000, v18, v17
	v_dual_cndmask_b32 v10, 0, v10 :: v_dual_lshlrev_b32 v5, 16, v5
	v_add_co_u32 v1, vcc_lo, s17, v1
	v_add_co_ci_u32_e32 v2, vcc_lo, 0, v2, vcc_lo
	s_delay_alu instid0(VALU_DEP_3) | instskip(NEXT) | instid1(VALU_DEP_2)
	v_and_or_b32 v7, 0x80000000, v7, v10
	v_cmp_le_i64_e32 vcc_lo, s[4:5], v[1:2]
	v_cmp_lt_u64_e64 s2, 0xffff, v[1:2]
	s_delay_alu instid0(VALU_DEP_3) | instskip(NEXT) | instid1(VALU_DEP_2)
	v_cvt_i32_f32_e32 v7, v7
	s_or_b32 s2, vcc_lo, s2
	s_delay_alu instid0(VALU_DEP_1) | instskip(SKIP_1) | instid1(SALU_CYCLE_1)
	v_lshlrev_b16 v7, 8, v7
	s_and_b32 s2, exec_lo, s2
	s_or_b32 s18, s2, s18
	s_delay_alu instid0(VALU_DEP_1) | instskip(NEXT) | instid1(VALU_DEP_1)
	v_or_b32_e32 v6, v6, v7
	v_and_b32_e32 v6, 0xffff, v6
	s_delay_alu instid0(VALU_DEP_1)
	v_or_b32_e32 v5, v6, v5
	global_store_b32 v[3:4], v5, off
	s_and_not1_b32 exec_lo, exec_lo, s18
	s_cbranch_execnz .LBB168_3
.LBB168_4:
	s_or_b32 exec_lo, exec_lo, s16
	s_mov_b32 s2, 0
.LBB168_5:
	s_delay_alu instid0(SALU_CYCLE_1)
	s_and_not1_b32 vcc_lo, exec_lo, s2
	s_cbranch_vccnz .LBB168_25
; %bb.6:
	v_cmp_lt_i64_e64 s2, s[4:5], 1
	s_delay_alu instid0(VALU_DEP_1)
	s_and_b32 vcc_lo, exec_lo, s2
	s_cbranch_vccnz .LBB168_25
; %bb.7:
	s_load_b32 s0, s[0:1], 0xc5c
	v_add_co_u32 v1, s1, s10, v0
	s_delay_alu instid0(VALU_DEP_1) | instskip(SKIP_1) | instid1(VALU_DEP_3)
	v_add_co_ci_u32_e64 v2, null, s11, 0, s1
	v_cmp_gt_u64_e64 s1, 0x10000, s[4:5]
	v_add_co_u32 v9, vcc_lo, s6, v1
	s_delay_alu instid0(VALU_DEP_3)
	v_add_co_ci_u32_e32 v10, vcc_lo, s7, v2, vcc_lo
	v_add_co_u32 v11, vcc_lo, s8, v1
	v_add_co_ci_u32_e32 v12, vcc_lo, s9, v2, vcc_lo
                                        ; implicit-def: $vgpr31
                                        ; implicit-def: $vgpr32
                                        ; implicit-def: $vgpr33
                                        ; implicit-def: $vgpr34
	s_waitcnt lgkmcnt(0)
	s_and_b32 s0, s0, 0xffff
	s_and_b32 s1, s1, exec_lo
	s_mul_i32 s13, s0, 3
	s_cselect_b32 s3, s5, 0
	s_cselect_b32 s2, s4, 0x10000
	s_lshl_b32 s12, s0, 1
	s_lshl_b32 s1, s0, 2
	s_add_u32 s14, s10, s13
	s_addc_u32 s15, s11, 0
	v_add_co_u32 v3, s14, s14, v0
	s_delay_alu instid0(VALU_DEP_1) | instskip(SKIP_1) | instid1(VALU_DEP_2)
	v_add_co_ci_u32_e64 v4, null, s15, 0, s14
	s_add_u32 s10, s10, s12
	v_add_co_u32 v13, vcc_lo, s6, v3
	s_delay_alu instid0(VALU_DEP_2)
	v_add_co_ci_u32_e32 v14, vcc_lo, s7, v4, vcc_lo
	v_add_co_u32 v15, vcc_lo, s8, v3
	s_addc_u32 s11, s11, 0
	v_add_co_u32 v3, s10, s10, v0
	v_add_co_ci_u32_e32 v16, vcc_lo, s9, v4, vcc_lo
	v_add_co_ci_u32_e64 v4, null, s11, 0, s10
	s_delay_alu instid0(VALU_DEP_3) | instskip(SKIP_1) | instid1(VALU_DEP_3)
	v_add_co_u32 v19, vcc_lo, s6, v3
	v_add_co_u32 v17, s10, s13, v0
	v_add_co_ci_u32_e32 v20, vcc_lo, s7, v4, vcc_lo
	v_add_co_u32 v21, vcc_lo, s8, v3
	v_add_co_ci_u32_e32 v22, vcc_lo, s9, v4, vcc_lo
	v_add_co_u32 v1, vcc_lo, v1, s0
	v_add_co_ci_u32_e32 v2, vcc_lo, 0, v2, vcc_lo
	v_add_co_ci_u32_e64 v18, null, 0, 0, s10
	s_delay_alu instid0(VALU_DEP_3) | instskip(NEXT) | instid1(VALU_DEP_3)
	v_add_co_u32 v25, vcc_lo, s6, v1
	v_add_co_ci_u32_e32 v26, vcc_lo, s7, v2, vcc_lo
	v_add_co_u32 v23, s10, s12, v0
	v_add_co_u32 v27, vcc_lo, s8, v1
	v_add_co_u32 v29, s0, v0, s0
	v_add_co_ci_u32_e64 v24, null, 0, 0, s10
	v_add_co_ci_u32_e32 v28, vcc_lo, s9, v2, vcc_lo
	v_add_co_ci_u32_e64 v30, null, 0, 0, s0
	s_mov_b64 s[6:7], 0
	s_branch .LBB168_9
.LBB168_8:                              ;   in Loop: Header=BB168_9 Depth=1
	s_or_b32 exec_lo, exec_lo, s0
	s_add_u32 s6, s6, s1
	s_addc_u32 s7, s7, 0
	s_delay_alu instid0(SALU_CYCLE_1) | instskip(SKIP_1) | instid1(VALU_DEP_1)
	v_cmp_ge_i64_e64 s0, s[6:7], s[4:5]
	v_cmp_lt_u64_e64 s8, 0xffff, s[6:7]
	s_or_b32 s0, s0, s8
	s_delay_alu instid0(SALU_CYCLE_1)
	s_and_b32 vcc_lo, exec_lo, s0
	s_cbranch_vccnz .LBB168_25
.LBB168_9:                              ; =>This Inner Loop Header: Depth=1
	v_add_co_u32 v7, s0, v0, s6
	s_delay_alu instid0(VALU_DEP_1) | instskip(NEXT) | instid1(VALU_DEP_1)
	v_add_co_ci_u32_e64 v8, null, 0, s7, s0
	v_cmp_gt_i64_e32 vcc_lo, s[4:5], v[7:8]
	v_cmp_gt_u64_e64 s0, 0x10000, v[7:8]
	s_delay_alu instid0(VALU_DEP_1) | instskip(NEXT) | instid1(SALU_CYCLE_1)
	s_and_b32 s8, vcc_lo, s0
	s_and_saveexec_b32 s0, s8
	s_cbranch_execz .LBB168_11
; %bb.10:                               ;   in Loop: Header=BB168_9 Depth=1
	v_add_co_u32 v1, vcc_lo, v9, s6
	v_add_co_ci_u32_e32 v2, vcc_lo, s7, v10, vcc_lo
	global_load_u8 v34, v[1:2], off
.LBB168_11:                             ;   in Loop: Header=BB168_9 Depth=1
	s_or_b32 exec_lo, exec_lo, s0
	v_add_co_u32 v5, vcc_lo, v29, s6
	v_add_co_ci_u32_e32 v6, vcc_lo, s7, v30, vcc_lo
	s_delay_alu instid0(VALU_DEP_1) | instskip(SKIP_1) | instid1(VALU_DEP_1)
	v_cmp_gt_i64_e32 vcc_lo, s[4:5], v[5:6]
	v_cmp_gt_u64_e64 s0, 0x10000, v[5:6]
	s_and_b32 s8, vcc_lo, s0
	s_delay_alu instid0(SALU_CYCLE_1)
	s_and_saveexec_b32 s0, s8
	s_cbranch_execz .LBB168_13
; %bb.12:                               ;   in Loop: Header=BB168_9 Depth=1
	v_add_co_u32 v1, vcc_lo, v25, s6
	v_add_co_ci_u32_e32 v2, vcc_lo, s7, v26, vcc_lo
	global_load_u8 v33, v[1:2], off
.LBB168_13:                             ;   in Loop: Header=BB168_9 Depth=1
	s_or_b32 exec_lo, exec_lo, s0
	v_add_co_u32 v3, vcc_lo, v23, s6
	v_add_co_ci_u32_e32 v4, vcc_lo, s7, v24, vcc_lo
	s_delay_alu instid0(VALU_DEP_1) | instskip(SKIP_1) | instid1(VALU_DEP_1)
	v_cmp_gt_i64_e32 vcc_lo, s[4:5], v[3:4]
	v_cmp_gt_u64_e64 s0, 0x10000, v[3:4]
	s_and_b32 s8, vcc_lo, s0
	s_delay_alu instid0(SALU_CYCLE_1)
	;; [unrolled: 15-line block ×3, first 2 shown]
	s_and_saveexec_b32 s0, s8
	s_cbranch_execnz .LBB168_20
; %bb.16:                               ;   in Loop: Header=BB168_9 Depth=1
	s_or_b32 exec_lo, exec_lo, s0
	s_delay_alu instid0(SALU_CYCLE_1)
	s_mov_b32 s0, exec_lo
	v_cmpx_gt_u64_e64 s[2:3], v[7:8]
	s_cbranch_execnz .LBB168_21
.LBB168_17:                             ;   in Loop: Header=BB168_9 Depth=1
	s_or_b32 exec_lo, exec_lo, s0
	s_delay_alu instid0(SALU_CYCLE_1)
	s_mov_b32 s0, exec_lo
	v_cmpx_gt_u64_e64 s[2:3], v[5:6]
	s_cbranch_execnz .LBB168_22
.LBB168_18:                             ;   in Loop: Header=BB168_9 Depth=1
	s_or_b32 exec_lo, exec_lo, s0
	s_delay_alu instid0(SALU_CYCLE_1)
	s_mov_b32 s0, exec_lo
	v_cmpx_gt_u64_e64 s[2:3], v[3:4]
	s_cbranch_execnz .LBB168_23
.LBB168_19:                             ;   in Loop: Header=BB168_9 Depth=1
	s_or_b32 exec_lo, exec_lo, s0
	s_delay_alu instid0(SALU_CYCLE_1)
	s_mov_b32 s0, exec_lo
	v_cmpx_gt_u64_e64 s[2:3], v[1:2]
	s_cbranch_execz .LBB168_8
	s_branch .LBB168_24
.LBB168_20:                             ;   in Loop: Header=BB168_9 Depth=1
	v_add_co_u32 v35, vcc_lo, v13, s6
	v_add_co_ci_u32_e32 v36, vcc_lo, s7, v14, vcc_lo
	global_load_u8 v31, v[35:36], off
	s_or_b32 exec_lo, exec_lo, s0
	s_delay_alu instid0(SALU_CYCLE_1)
	s_mov_b32 s0, exec_lo
	v_cmpx_gt_u64_e64 s[2:3], v[7:8]
	s_cbranch_execz .LBB168_17
.LBB168_21:                             ;   in Loop: Header=BB168_9 Depth=1
	s_waitcnt vmcnt(0)
	v_lshlrev_b32_e32 v7, 24, v34
	s_delay_alu instid0(VALU_DEP_1) | instskip(NEXT) | instid1(VALU_DEP_1)
	v_and_b32_e32 v8, 0x7f000000, v7
	v_clz_i32_u32_e32 v35, v8
	v_add_nc_u32_e32 v37, 0x1000000, v8
	v_cmp_ne_u32_e32 vcc_lo, 0, v8
	s_delay_alu instid0(VALU_DEP_3) | instskip(NEXT) | instid1(VALU_DEP_1)
	v_min_u32_e32 v35, 32, v35
	v_sub_nc_u32_e64 v35, v35, 4 clamp
	s_delay_alu instid0(VALU_DEP_1) | instskip(SKIP_1) | instid1(VALU_DEP_2)
	v_lshlrev_b32_e32 v36, v35, v8
	v_lshlrev_b32_e32 v35, 23, v35
	v_lshrrev_b32_e32 v36, 4, v36
	s_delay_alu instid0(VALU_DEP_1) | instskip(SKIP_1) | instid1(VALU_DEP_2)
	v_sub_nc_u32_e32 v35, v36, v35
	v_ashrrev_i32_e32 v36, 8, v37
	v_add_nc_u32_e32 v35, 0x3c000000, v35
	s_delay_alu instid0(VALU_DEP_1) | instskip(NEXT) | instid1(VALU_DEP_1)
	v_and_or_b32 v35, 0x7f800000, v36, v35
	v_cndmask_b32_e32 v8, 0, v35, vcc_lo
	s_delay_alu instid0(VALU_DEP_1) | instskip(NEXT) | instid1(VALU_DEP_1)
	v_and_or_b32 v7, 0x80000000, v7, v8
	v_cvt_i32_f32_e32 v35, v7
	v_add_co_u32 v7, vcc_lo, v11, s6
	v_add_co_ci_u32_e32 v8, vcc_lo, s7, v12, vcc_lo
	global_store_b8 v[7:8], v35, off
	s_or_b32 exec_lo, exec_lo, s0
	s_delay_alu instid0(SALU_CYCLE_1)
	s_mov_b32 s0, exec_lo
	v_cmpx_gt_u64_e64 s[2:3], v[5:6]
	s_cbranch_execz .LBB168_18
.LBB168_22:                             ;   in Loop: Header=BB168_9 Depth=1
	s_waitcnt vmcnt(0)
	v_lshlrev_b32_e32 v5, 24, v33
	s_delay_alu instid0(VALU_DEP_1) | instskip(NEXT) | instid1(VALU_DEP_1)
	v_and_b32_e32 v6, 0x7f000000, v5
	v_clz_i32_u32_e32 v7, v6
	v_add_nc_u32_e32 v35, 0x1000000, v6
	v_cmp_ne_u32_e32 vcc_lo, 0, v6
	s_delay_alu instid0(VALU_DEP_3) | instskip(NEXT) | instid1(VALU_DEP_1)
	v_min_u32_e32 v7, 32, v7
	v_sub_nc_u32_e64 v7, v7, 4 clamp
	s_delay_alu instid0(VALU_DEP_1) | instskip(SKIP_1) | instid1(VALU_DEP_2)
	v_lshlrev_b32_e32 v8, v7, v6
	v_lshlrev_b32_e32 v7, 23, v7
	v_lshrrev_b32_e32 v8, 4, v8
	s_delay_alu instid0(VALU_DEP_1) | instskip(SKIP_1) | instid1(VALU_DEP_2)
	v_sub_nc_u32_e32 v7, v8, v7
	v_ashrrev_i32_e32 v8, 8, v35
	v_add_nc_u32_e32 v7, 0x3c000000, v7
	s_delay_alu instid0(VALU_DEP_1) | instskip(NEXT) | instid1(VALU_DEP_1)
	v_and_or_b32 v7, 0x7f800000, v8, v7
	v_cndmask_b32_e32 v6, 0, v7, vcc_lo
	s_delay_alu instid0(VALU_DEP_1) | instskip(NEXT) | instid1(VALU_DEP_1)
	v_and_or_b32 v5, 0x80000000, v5, v6
	v_cvt_i32_f32_e32 v7, v5
	v_add_co_u32 v5, vcc_lo, v27, s6
	v_add_co_ci_u32_e32 v6, vcc_lo, s7, v28, vcc_lo
	global_store_b8 v[5:6], v7, off
	s_or_b32 exec_lo, exec_lo, s0
	s_delay_alu instid0(SALU_CYCLE_1)
	s_mov_b32 s0, exec_lo
	v_cmpx_gt_u64_e64 s[2:3], v[3:4]
	s_cbranch_execz .LBB168_19
.LBB168_23:                             ;   in Loop: Header=BB168_9 Depth=1
	s_waitcnt vmcnt(0)
	v_lshlrev_b32_e32 v3, 24, v32
	s_delay_alu instid0(VALU_DEP_1) | instskip(NEXT) | instid1(VALU_DEP_1)
	v_and_b32_e32 v4, 0x7f000000, v3
	v_clz_i32_u32_e32 v5, v4
	v_add_nc_u32_e32 v7, 0x1000000, v4
	v_cmp_ne_u32_e32 vcc_lo, 0, v4
	s_delay_alu instid0(VALU_DEP_3) | instskip(NEXT) | instid1(VALU_DEP_1)
	v_min_u32_e32 v5, 32, v5
	v_sub_nc_u32_e64 v5, v5, 4 clamp
	s_delay_alu instid0(VALU_DEP_1) | instskip(SKIP_1) | instid1(VALU_DEP_2)
	v_lshlrev_b32_e32 v6, v5, v4
	v_lshlrev_b32_e32 v5, 23, v5
	v_lshrrev_b32_e32 v6, 4, v6
	s_delay_alu instid0(VALU_DEP_1) | instskip(SKIP_1) | instid1(VALU_DEP_2)
	v_sub_nc_u32_e32 v5, v6, v5
	v_ashrrev_i32_e32 v6, 8, v7
	v_add_nc_u32_e32 v5, 0x3c000000, v5
	s_delay_alu instid0(VALU_DEP_1) | instskip(NEXT) | instid1(VALU_DEP_1)
	v_and_or_b32 v5, 0x7f800000, v6, v5
	v_cndmask_b32_e32 v4, 0, v5, vcc_lo
	s_delay_alu instid0(VALU_DEP_1) | instskip(NEXT) | instid1(VALU_DEP_1)
	v_and_or_b32 v3, 0x80000000, v3, v4
	v_cvt_i32_f32_e32 v5, v3
	v_add_co_u32 v3, vcc_lo, v21, s6
	v_add_co_ci_u32_e32 v4, vcc_lo, s7, v22, vcc_lo
	global_store_b8 v[3:4], v5, off
	s_or_b32 exec_lo, exec_lo, s0
	s_delay_alu instid0(SALU_CYCLE_1)
	s_mov_b32 s0, exec_lo
	v_cmpx_gt_u64_e64 s[2:3], v[1:2]
	s_cbranch_execz .LBB168_8
.LBB168_24:                             ;   in Loop: Header=BB168_9 Depth=1
	s_waitcnt vmcnt(0)
	v_lshlrev_b32_e32 v1, 24, v31
	s_delay_alu instid0(VALU_DEP_1) | instskip(NEXT) | instid1(VALU_DEP_1)
	v_and_b32_e32 v2, 0x7f000000, v1
	v_clz_i32_u32_e32 v3, v2
	v_cmp_ne_u32_e32 vcc_lo, 0, v2
	v_add_nc_u32_e32 v5, 0x1000000, v2
	s_delay_alu instid0(VALU_DEP_3) | instskip(NEXT) | instid1(VALU_DEP_1)
	v_min_u32_e32 v3, 32, v3
	v_sub_nc_u32_e64 v3, v3, 4 clamp
	s_delay_alu instid0(VALU_DEP_1) | instskip(SKIP_1) | instid1(VALU_DEP_2)
	v_lshlrev_b32_e32 v4, v3, v2
	v_lshlrev_b32_e32 v3, 23, v3
	v_lshrrev_b32_e32 v4, 4, v4
	s_delay_alu instid0(VALU_DEP_1) | instskip(SKIP_1) | instid1(VALU_DEP_2)
	v_sub_nc_u32_e32 v3, v4, v3
	v_ashrrev_i32_e32 v4, 8, v5
	v_add_nc_u32_e32 v3, 0x3c000000, v3
	s_delay_alu instid0(VALU_DEP_1) | instskip(NEXT) | instid1(VALU_DEP_1)
	v_and_or_b32 v3, 0x7f800000, v4, v3
	v_cndmask_b32_e32 v2, 0, v3, vcc_lo
	s_delay_alu instid0(VALU_DEP_1) | instskip(NEXT) | instid1(VALU_DEP_1)
	v_and_or_b32 v1, 0x80000000, v1, v2
	v_cvt_i32_f32_e32 v3, v1
	v_add_co_u32 v1, vcc_lo, v15, s6
	v_add_co_ci_u32_e32 v2, vcc_lo, s7, v16, vcc_lo
	global_store_b8 v[1:2], v3, off
	s_branch .LBB168_8
.LBB168_25:
	s_nop 0
	s_sendmsg sendmsg(MSG_DEALLOC_VGPRS)
	s_endpgm
	.section	.rodata,"a",@progbits
	.p2align	6, 0x0
	.amdhsa_kernel _ZN2at6native12_GLOBAL__N_125multi_tensor_apply_kernelINS1_18TensorListMetadataILi2EEENS1_11CopyFunctorIhN3c1013Float8_e4m3fnELi2ELi1ELi1EEEJNS0_4CopyIhS7_EEEEEvT_T0_DpT1_
		.amdhsa_group_segment_fixed_size 0
		.amdhsa_private_segment_fixed_size 0
		.amdhsa_kernarg_size 3408
		.amdhsa_user_sgpr_count 15
		.amdhsa_user_sgpr_dispatch_ptr 0
		.amdhsa_user_sgpr_queue_ptr 0
		.amdhsa_user_sgpr_kernarg_segment_ptr 1
		.amdhsa_user_sgpr_dispatch_id 0
		.amdhsa_user_sgpr_private_segment_size 0
		.amdhsa_wavefront_size32 1
		.amdhsa_uses_dynamic_stack 0
		.amdhsa_enable_private_segment 0
		.amdhsa_system_sgpr_workgroup_id_x 1
		.amdhsa_system_sgpr_workgroup_id_y 0
		.amdhsa_system_sgpr_workgroup_id_z 0
		.amdhsa_system_sgpr_workgroup_info 0
		.amdhsa_system_vgpr_workitem_id 0
		.amdhsa_next_free_vgpr 38
		.amdhsa_next_free_sgpr 19
		.amdhsa_reserve_vcc 1
		.amdhsa_float_round_mode_32 0
		.amdhsa_float_round_mode_16_64 0
		.amdhsa_float_denorm_mode_32 3
		.amdhsa_float_denorm_mode_16_64 3
		.amdhsa_dx10_clamp 1
		.amdhsa_ieee_mode 1
		.amdhsa_fp16_overflow 0
		.amdhsa_workgroup_processor_mode 1
		.amdhsa_memory_ordered 1
		.amdhsa_forward_progress 0
		.amdhsa_shared_vgpr_count 0
		.amdhsa_exception_fp_ieee_invalid_op 0
		.amdhsa_exception_fp_denorm_src 0
		.amdhsa_exception_fp_ieee_div_zero 0
		.amdhsa_exception_fp_ieee_overflow 0
		.amdhsa_exception_fp_ieee_underflow 0
		.amdhsa_exception_fp_ieee_inexact 0
		.amdhsa_exception_int_div_zero 0
	.end_amdhsa_kernel
	.section	.text._ZN2at6native12_GLOBAL__N_125multi_tensor_apply_kernelINS1_18TensorListMetadataILi2EEENS1_11CopyFunctorIhN3c1013Float8_e4m3fnELi2ELi1ELi1EEEJNS0_4CopyIhS7_EEEEEvT_T0_DpT1_,"axG",@progbits,_ZN2at6native12_GLOBAL__N_125multi_tensor_apply_kernelINS1_18TensorListMetadataILi2EEENS1_11CopyFunctorIhN3c1013Float8_e4m3fnELi2ELi1ELi1EEEJNS0_4CopyIhS7_EEEEEvT_T0_DpT1_,comdat
.Lfunc_end168:
	.size	_ZN2at6native12_GLOBAL__N_125multi_tensor_apply_kernelINS1_18TensorListMetadataILi2EEENS1_11CopyFunctorIhN3c1013Float8_e4m3fnELi2ELi1ELi1EEEJNS0_4CopyIhS7_EEEEEvT_T0_DpT1_, .Lfunc_end168-_ZN2at6native12_GLOBAL__N_125multi_tensor_apply_kernelINS1_18TensorListMetadataILi2EEENS1_11CopyFunctorIhN3c1013Float8_e4m3fnELi2ELi1ELi1EEEJNS0_4CopyIhS7_EEEEEvT_T0_DpT1_
                                        ; -- End function
	.section	.AMDGPU.csdata,"",@progbits
; Kernel info:
; codeLenInByte = 2332
; NumSgprs: 21
; NumVgprs: 38
; ScratchSize: 0
; MemoryBound: 0
; FloatMode: 240
; IeeeMode: 1
; LDSByteSize: 0 bytes/workgroup (compile time only)
; SGPRBlocks: 2
; VGPRBlocks: 4
; NumSGPRsForWavesPerEU: 21
; NumVGPRsForWavesPerEU: 38
; Occupancy: 16
; WaveLimiterHint : 0
; COMPUTE_PGM_RSRC2:SCRATCH_EN: 0
; COMPUTE_PGM_RSRC2:USER_SGPR: 15
; COMPUTE_PGM_RSRC2:TRAP_HANDLER: 0
; COMPUTE_PGM_RSRC2:TGID_X_EN: 1
; COMPUTE_PGM_RSRC2:TGID_Y_EN: 0
; COMPUTE_PGM_RSRC2:TGID_Z_EN: 0
; COMPUTE_PGM_RSRC2:TIDIG_COMP_CNT: 0
	.section	.text._ZN2at6native12_GLOBAL__N_125multi_tensor_apply_kernelINS1_18TensorListMetadataILi2EEENS1_11CopyFunctorIhN3c1015Float8_e4m3fnuzELi2ELi1ELi1EEEJNS0_4CopyIhS7_EEEEEvT_T0_DpT1_,"axG",@progbits,_ZN2at6native12_GLOBAL__N_125multi_tensor_apply_kernelINS1_18TensorListMetadataILi2EEENS1_11CopyFunctorIhN3c1015Float8_e4m3fnuzELi2ELi1ELi1EEEJNS0_4CopyIhS7_EEEEEvT_T0_DpT1_,comdat
	.globl	_ZN2at6native12_GLOBAL__N_125multi_tensor_apply_kernelINS1_18TensorListMetadataILi2EEENS1_11CopyFunctorIhN3c1015Float8_e4m3fnuzELi2ELi1ELi1EEEJNS0_4CopyIhS7_EEEEEvT_T0_DpT1_ ; -- Begin function _ZN2at6native12_GLOBAL__N_125multi_tensor_apply_kernelINS1_18TensorListMetadataILi2EEENS1_11CopyFunctorIhN3c1015Float8_e4m3fnuzELi2ELi1ELi1EEEJNS0_4CopyIhS7_EEEEEvT_T0_DpT1_
	.p2align	8
	.type	_ZN2at6native12_GLOBAL__N_125multi_tensor_apply_kernelINS1_18TensorListMetadataILi2EEENS1_11CopyFunctorIhN3c1015Float8_e4m3fnuzELi2ELi1ELi1EEEJNS0_4CopyIhS7_EEEEEvT_T0_DpT1_,@function
_ZN2at6native12_GLOBAL__N_125multi_tensor_apply_kernelINS1_18TensorListMetadataILi2EEENS1_11CopyFunctorIhN3c1015Float8_e4m3fnuzELi2ELi1ELi1EEEJNS0_4CopyIhS7_EEEEEvT_T0_DpT1_: ; @_ZN2at6native12_GLOBAL__N_125multi_tensor_apply_kernelINS1_18TensorListMetadataILi2EEENS1_11CopyFunctorIhN3c1015Float8_e4m3fnuzELi2ELi1ELi1EEEJNS0_4CopyIhS7_EEEEEvT_T0_DpT1_
; %bb.0:
	v_mov_b32_e32 v1, s15
	s_add_u32 s2, s0, s15
	s_mul_i32 s4, s15, 3
	s_addc_u32 s3, s1, 0
	s_mul_hi_u32 s5, s15, 3
	global_load_u8 v1, v1, s[0:1] offset:1536
	s_add_u32 s2, s2, s4
	s_addc_u32 s3, s3, s5
	s_load_b32 s2, s[2:3], 0x740
	s_waitcnt vmcnt(0)
	v_readfirstlane_b32 s4, v1
	s_delay_alu instid0(VALU_DEP_1)
	s_lshl_b32 s3, s4, 3
	s_clause 0x2
	s_load_b64 s[6:7], s[0:1], s3 offset:0x0
	s_load_b64 s[8:9], s[0:1], s3 offset:0x200
	s_load_b64 s[4:5], s[0:1], s3 offset:0x400
	s_waitcnt lgkmcnt(0)
	s_ashr_i32 s3, s2, 31
	s_delay_alu instid0(SALU_CYCLE_1) | instskip(NEXT) | instid1(SALU_CYCLE_1)
	s_lshl_b64 s[10:11], s[2:3], 16
	s_add_u32 s3, s6, s10
	s_addc_u32 s14, s7, s11
	s_add_u32 s12, s8, s10
	s_addc_u32 s13, s9, s11
	s_delay_alu instid0(SALU_CYCLE_1) | instskip(NEXT) | instid1(SALU_CYCLE_1)
	s_or_b64 s[16:17], s[4:5], s[12:13]
	s_or_b32 s2, s3, s16
	s_delay_alu instid0(SALU_CYCLE_1)
	s_and_b32 s2, s2, 3
	s_sub_u32 s4, s4, s10
	s_subb_u32 s5, s5, s11
	s_cmp_eq_u32 s2, 0
	s_mov_b32 s2, -1
	s_cbranch_scc0 .LBB169_29
; %bb.1:
	v_dual_mov_b32 v2, 0 :: v_dual_lshlrev_b32 v1, 2, v0
	s_mov_b32 s15, exec_lo
	s_delay_alu instid0(VALU_DEP_1)
	v_cmpx_gt_i64_e64 s[4:5], v[1:2]
	s_cbranch_execz .LBB169_28
; %bb.2:
	s_load_b32 s2, s[0:1], 0xc5c
	s_mov_b32 s17, 0
	s_waitcnt lgkmcnt(0)
	s_and_b32 s2, s2, 0xffff
	s_delay_alu instid0(SALU_CYCLE_1)
	s_lshl_b32 s16, s2, 2
	s_branch .LBB169_4
.LBB169_3:                              ;   in Loop: Header=BB169_4 Depth=1
	s_or_b32 exec_lo, exec_lo, s18
	v_add_co_u32 v3, vcc_lo, s12, v1
	v_lshlrev_b16 v5, 8, v5
	v_and_b32_e32 v7, 0xff, v4
	v_lshlrev_b16 v8, 8, v8
	v_and_b32_e32 v6, 0xff, v6
	v_add_co_ci_u32_e32 v4, vcc_lo, s13, v2, vcc_lo
	v_add_co_u32 v1, vcc_lo, s16, v1
	v_add_co_ci_u32_e32 v2, vcc_lo, 0, v2, vcc_lo
	v_or_b32_e32 v5, v7, v5
	v_or_b32_e32 v6, v6, v8
	s_delay_alu instid0(VALU_DEP_3) | instskip(SKIP_1) | instid1(VALU_DEP_4)
	v_cmp_le_i64_e32 vcc_lo, s[4:5], v[1:2]
	v_cmp_lt_u64_e64 s2, 0xffff, v[1:2]
	v_and_b32_e32 v5, 0xffff, v5
	s_delay_alu instid0(VALU_DEP_4) | instskip(NEXT) | instid1(VALU_DEP_3)
	v_lshlrev_b32_e32 v6, 16, v6
	s_or_b32 s2, vcc_lo, s2
	s_delay_alu instid0(VALU_DEP_1) | instskip(SKIP_1) | instid1(SALU_CYCLE_1)
	v_or_b32_e32 v5, v5, v6
	s_and_b32 s2, exec_lo, s2
	s_or_b32 s17, s2, s17
	global_store_b32 v[3:4], v5, off
	s_and_not1_b32 exec_lo, exec_lo, s17
	s_cbranch_execz .LBB169_28
.LBB169_4:                              ; =>This Inner Loop Header: Depth=1
	v_add_co_u32 v3, vcc_lo, s3, v1
	v_add_co_ci_u32_e32 v4, vcc_lo, s14, v2, vcc_lo
	s_mov_b32 s2, 0
	s_mov_b32 s18, exec_lo
                                        ; implicit-def: $sgpr19
	global_load_b32 v3, v[3:4], off
	s_waitcnt vmcnt(0)
	v_and_b32_e32 v5, 0xff, v3
	s_delay_alu instid0(VALU_DEP_1)
	v_cmpx_lt_i16_e32 0x7f, v5
	s_xor_b32 s18, exec_lo, s18
	s_cbranch_execnz .LBB169_19
; %bb.5:                                ;   in Loop: Header=BB169_4 Depth=1
	s_or_saveexec_b32 s18, s18
	v_mov_b32_e32 v4, s19
	s_xor_b32 exec_lo, exec_lo, s18
	s_cbranch_execnz .LBB169_20
.LBB169_6:                              ;   in Loop: Header=BB169_4 Depth=1
	s_or_b32 exec_lo, exec_lo, s18
	s_and_saveexec_b32 s18, s2
	s_cbranch_execz .LBB169_8
.LBB169_7:                              ;   in Loop: Header=BB169_4 Depth=1
	v_bfe_u32 v7, v3, 3, 4
	v_lshlrev_b32_e32 v8, 24, v3
	s_delay_alu instid0(VALU_DEP_2) | instskip(SKIP_1) | instid1(VALU_DEP_1)
	v_cmp_eq_u32_e32 vcc_lo, 0, v7
	v_and_b32_e32 v4, 7, v3
	v_clz_i32_u32_e32 v5, v4
	s_delay_alu instid0(VALU_DEP_1) | instskip(NEXT) | instid1(VALU_DEP_1)
	v_min_u32_e32 v5, 32, v5
	v_subrev_nc_u32_e32 v6, 28, v5
	v_sub_nc_u32_e32 v5, 29, v5
	s_delay_alu instid0(VALU_DEP_1) | instskip(NEXT) | instid1(VALU_DEP_1)
	v_dual_cndmask_b32 v5, v7, v5 :: v_dual_lshlrev_b32 v6, v6, v3
	v_and_b32_e32 v6, 7, v6
	s_delay_alu instid0(VALU_DEP_2) | instskip(NEXT) | instid1(VALU_DEP_2)
	v_lshl_add_u32 v5, v5, 23, 0x3b800000
	v_cndmask_b32_e32 v4, v4, v6, vcc_lo
	v_and_b32_e32 v6, 0x80000000, v8
	s_delay_alu instid0(VALU_DEP_2) | instskip(NEXT) | instid1(VALU_DEP_1)
	v_lshlrev_b32_e32 v4, 20, v4
	v_or3_b32 v4, v6, v5, v4
	s_delay_alu instid0(VALU_DEP_1)
	v_cvt_i32_f32_e32 v4, v4
.LBB169_8:                              ;   in Loop: Header=BB169_4 Depth=1
	s_or_b32 exec_lo, exec_lo, s18
	v_lshrrev_b32_e32 v6, 8, v3
	s_mov_b32 s2, 0
	s_mov_b32 s18, exec_lo
                                        ; implicit-def: $sgpr19
	s_delay_alu instid0(VALU_DEP_1) | instskip(NEXT) | instid1(VALU_DEP_1)
	v_and_b32_e32 v7, 0xff, v6
	v_cmpx_lt_i16_e32 0x7f, v7
	s_xor_b32 s18, exec_lo, s18
	s_cbranch_execnz .LBB169_21
; %bb.9:                                ;   in Loop: Header=BB169_4 Depth=1
	s_or_saveexec_b32 s18, s18
	v_mov_b32_e32 v5, s19
	s_xor_b32 exec_lo, exec_lo, s18
	s_cbranch_execnz .LBB169_22
.LBB169_10:                             ;   in Loop: Header=BB169_4 Depth=1
	s_or_b32 exec_lo, exec_lo, s18
	s_and_saveexec_b32 s18, s2
	s_cbranch_execz .LBB169_12
.LBB169_11:                             ;   in Loop: Header=BB169_4 Depth=1
	v_bfe_u32 v5, v3, 8, 3
	v_bfe_u32 v9, v3, 11, 4
	s_delay_alu instid0(VALU_DEP_2) | instskip(NEXT) | instid1(VALU_DEP_2)
	v_clz_i32_u32_e32 v7, v5
	v_cmp_eq_u32_e32 vcc_lo, 0, v9
	s_delay_alu instid0(VALU_DEP_2) | instskip(NEXT) | instid1(VALU_DEP_1)
	v_min_u32_e32 v7, 32, v7
	v_subrev_nc_u32_e32 v8, 28, v7
	v_sub_nc_u32_e32 v7, 29, v7
	s_delay_alu instid0(VALU_DEP_1) | instskip(NEXT) | instid1(VALU_DEP_1)
	v_dual_cndmask_b32 v7, v9, v7 :: v_dual_lshlrev_b32 v8, v8, v6
	v_and_b32_e32 v8, 7, v8
	v_lshlrev_b32_e32 v6, 24, v6
	s_delay_alu instid0(VALU_DEP_3) | instskip(NEXT) | instid1(VALU_DEP_2)
	v_lshl_add_u32 v7, v7, 23, 0x3b800000
	v_dual_cndmask_b32 v5, v5, v8 :: v_dual_and_b32 v6, 0x80000000, v6
	s_delay_alu instid0(VALU_DEP_1) | instskip(NEXT) | instid1(VALU_DEP_1)
	v_lshlrev_b32_e32 v5, 20, v5
	v_or3_b32 v5, v6, v7, v5
	s_delay_alu instid0(VALU_DEP_1)
	v_cvt_i32_f32_e32 v5, v5
.LBB169_12:                             ;   in Loop: Header=BB169_4 Depth=1
	s_or_b32 exec_lo, exec_lo, s18
	v_lshrrev_b32_e32 v7, 16, v3
	s_mov_b32 s2, 0
	s_mov_b32 s18, exec_lo
                                        ; implicit-def: $sgpr19
	s_delay_alu instid0(VALU_DEP_1) | instskip(NEXT) | instid1(VALU_DEP_1)
	v_and_b32_e32 v8, 0xff, v7
	v_cmpx_lt_i16_e32 0x7f, v8
	s_xor_b32 s18, exec_lo, s18
	s_cbranch_execnz .LBB169_23
; %bb.13:                               ;   in Loop: Header=BB169_4 Depth=1
	s_or_saveexec_b32 s18, s18
	v_mov_b32_e32 v6, s19
	s_xor_b32 exec_lo, exec_lo, s18
	s_cbranch_execnz .LBB169_24
.LBB169_14:                             ;   in Loop: Header=BB169_4 Depth=1
	s_or_b32 exec_lo, exec_lo, s18
	s_and_saveexec_b32 s18, s2
	s_cbranch_execz .LBB169_16
.LBB169_15:                             ;   in Loop: Header=BB169_4 Depth=1
	v_bfe_u32 v6, v3, 16, 3
	v_bfe_u32 v10, v3, 19, 4
	s_delay_alu instid0(VALU_DEP_2) | instskip(NEXT) | instid1(VALU_DEP_2)
	v_clz_i32_u32_e32 v8, v6
	v_cmp_eq_u32_e32 vcc_lo, 0, v10
	s_delay_alu instid0(VALU_DEP_2) | instskip(NEXT) | instid1(VALU_DEP_1)
	v_min_u32_e32 v8, 32, v8
	v_subrev_nc_u32_e32 v9, 28, v8
	v_sub_nc_u32_e32 v8, 29, v8
	s_delay_alu instid0(VALU_DEP_1) | instskip(NEXT) | instid1(VALU_DEP_1)
	v_dual_cndmask_b32 v8, v10, v8 :: v_dual_lshlrev_b32 v9, v9, v7
	v_and_b32_e32 v9, 7, v9
	v_lshlrev_b32_e32 v7, 24, v7
	s_delay_alu instid0(VALU_DEP_3) | instskip(NEXT) | instid1(VALU_DEP_2)
	v_lshl_add_u32 v8, v8, 23, 0x3b800000
	v_dual_cndmask_b32 v6, v6, v9 :: v_dual_and_b32 v7, 0x80000000, v7
	s_delay_alu instid0(VALU_DEP_1) | instskip(NEXT) | instid1(VALU_DEP_1)
	v_lshlrev_b32_e32 v6, 20, v6
	v_or3_b32 v6, v7, v8, v6
	s_delay_alu instid0(VALU_DEP_1)
	v_cvt_i32_f32_e32 v6, v6
.LBB169_16:                             ;   in Loop: Header=BB169_4 Depth=1
	s_or_b32 exec_lo, exec_lo, s18
	v_lshrrev_b32_e32 v7, 24, v3
	s_mov_b32 s2, 0
	s_mov_b32 s18, exec_lo
                                        ; implicit-def: $sgpr19
	s_delay_alu instid0(VALU_DEP_1)
	v_cmpx_lt_i16_e32 0x7f, v7
	s_xor_b32 s18, exec_lo, s18
	s_cbranch_execnz .LBB169_25
; %bb.17:                               ;   in Loop: Header=BB169_4 Depth=1
	s_or_saveexec_b32 s18, s18
	v_mov_b32_e32 v8, s19
	s_xor_b32 exec_lo, exec_lo, s18
	s_cbranch_execnz .LBB169_26
.LBB169_18:                             ;   in Loop: Header=BB169_4 Depth=1
	s_or_b32 exec_lo, exec_lo, s18
	s_and_saveexec_b32 s18, s2
	s_cbranch_execz .LBB169_3
	s_branch .LBB169_27
.LBB169_19:                             ;   in Loop: Header=BB169_4 Depth=1
	v_cmp_ne_u16_e32 vcc_lo, 0x80, v5
	s_mov_b32 s19, 0
                                        ; implicit-def: $vgpr5
	s_and_b32 s2, vcc_lo, exec_lo
	s_or_saveexec_b32 s18, s18
	v_mov_b32_e32 v4, s19
	s_xor_b32 exec_lo, exec_lo, s18
	s_cbranch_execz .LBB169_6
.LBB169_20:                             ;   in Loop: Header=BB169_4 Depth=1
	v_cmp_ne_u16_e32 vcc_lo, 0, v5
	v_mov_b32_e32 v4, 0
	s_and_not1_b32 s2, s2, exec_lo
	s_and_b32 s19, vcc_lo, exec_lo
	s_delay_alu instid0(SALU_CYCLE_1)
	s_or_b32 s2, s2, s19
	s_or_b32 exec_lo, exec_lo, s18
	s_and_saveexec_b32 s18, s2
	s_cbranch_execnz .LBB169_7
	s_branch .LBB169_8
.LBB169_21:                             ;   in Loop: Header=BB169_4 Depth=1
	v_cmp_ne_u16_e32 vcc_lo, 0x80, v7
	s_mov_b32 s19, 0
                                        ; implicit-def: $vgpr7
	s_and_b32 s2, vcc_lo, exec_lo
	s_or_saveexec_b32 s18, s18
	v_mov_b32_e32 v5, s19
	s_xor_b32 exec_lo, exec_lo, s18
	s_cbranch_execz .LBB169_10
.LBB169_22:                             ;   in Loop: Header=BB169_4 Depth=1
	v_cmp_ne_u16_e32 vcc_lo, 0, v7
	v_mov_b32_e32 v5, 0
	s_and_not1_b32 s2, s2, exec_lo
	s_and_b32 s19, vcc_lo, exec_lo
	s_delay_alu instid0(SALU_CYCLE_1)
	s_or_b32 s2, s2, s19
	s_or_b32 exec_lo, exec_lo, s18
	s_and_saveexec_b32 s18, s2
	s_cbranch_execnz .LBB169_11
	s_branch .LBB169_12
.LBB169_23:                             ;   in Loop: Header=BB169_4 Depth=1
	v_cmp_ne_u16_e32 vcc_lo, 0x80, v8
	s_mov_b32 s19, 0
                                        ; implicit-def: $vgpr8
	s_and_b32 s2, vcc_lo, exec_lo
	s_or_saveexec_b32 s18, s18
	v_mov_b32_e32 v6, s19
	s_xor_b32 exec_lo, exec_lo, s18
	s_cbranch_execz .LBB169_14
.LBB169_24:                             ;   in Loop: Header=BB169_4 Depth=1
	v_cmp_ne_u16_e32 vcc_lo, 0, v8
	v_mov_b32_e32 v6, 0
	s_and_not1_b32 s2, s2, exec_lo
	s_and_b32 s19, vcc_lo, exec_lo
	s_delay_alu instid0(SALU_CYCLE_1)
	s_or_b32 s2, s2, s19
	s_or_b32 exec_lo, exec_lo, s18
	s_and_saveexec_b32 s18, s2
	s_cbranch_execnz .LBB169_15
	s_branch .LBB169_16
.LBB169_25:                             ;   in Loop: Header=BB169_4 Depth=1
	v_cmp_ne_u16_e32 vcc_lo, 0x80, v7
	s_mov_b32 s19, 0
	s_and_b32 s2, vcc_lo, exec_lo
	s_or_saveexec_b32 s18, s18
	v_mov_b32_e32 v8, s19
	s_xor_b32 exec_lo, exec_lo, s18
	s_cbranch_execz .LBB169_18
.LBB169_26:                             ;   in Loop: Header=BB169_4 Depth=1
	v_cmp_ne_u16_e32 vcc_lo, 0, v7
	v_mov_b32_e32 v8, 0
	s_and_not1_b32 s2, s2, exec_lo
	s_and_b32 s19, vcc_lo, exec_lo
	s_delay_alu instid0(SALU_CYCLE_1)
	s_or_b32 s2, s2, s19
	s_or_b32 exec_lo, exec_lo, s18
	s_and_saveexec_b32 s18, s2
	s_cbranch_execz .LBB169_3
.LBB169_27:                             ;   in Loop: Header=BB169_4 Depth=1
	v_bfe_u32 v8, v3, 24, 3
	s_delay_alu instid0(VALU_DEP_1) | instskip(NEXT) | instid1(VALU_DEP_1)
	v_clz_i32_u32_e32 v9, v8
	v_min_u32_e32 v9, 32, v9
	s_delay_alu instid0(VALU_DEP_1) | instskip(SKIP_1) | instid1(VALU_DEP_2)
	v_subrev_nc_u32_e32 v10, 28, v9
	v_sub_nc_u32_e32 v9, 29, v9
	v_lshlrev_b32_e32 v7, v10, v7
	v_bfe_u32 v10, v3, 27, 4
	v_and_b32_e32 v3, 0x80000000, v3
	s_delay_alu instid0(VALU_DEP_3) | instskip(NEXT) | instid1(VALU_DEP_3)
	v_and_b32_e32 v7, 7, v7
	v_cmp_eq_u32_e32 vcc_lo, 0, v10
	v_cndmask_b32_e32 v9, v10, v9, vcc_lo
	s_delay_alu instid0(VALU_DEP_3) | instskip(NEXT) | instid1(VALU_DEP_2)
	v_cndmask_b32_e32 v7, v8, v7, vcc_lo
	v_lshl_add_u32 v8, v9, 23, 0x3b800000
	s_delay_alu instid0(VALU_DEP_2) | instskip(NEXT) | instid1(VALU_DEP_1)
	v_lshlrev_b32_e32 v7, 20, v7
	v_or3_b32 v3, v3, v8, v7
	s_delay_alu instid0(VALU_DEP_1)
	v_cvt_i32_f32_e32 v8, v3
	s_branch .LBB169_3
.LBB169_28:
	s_or_b32 exec_lo, exec_lo, s15
	s_mov_b32 s2, 0
.LBB169_29:
	s_delay_alu instid0(SALU_CYCLE_1)
	s_and_not1_b32 vcc_lo, exec_lo, s2
	s_cbranch_vccnz .LBB169_73
; %bb.30:
	v_cmp_lt_i64_e64 s2, s[4:5], 1
	s_delay_alu instid0(VALU_DEP_1)
	s_and_b32 vcc_lo, exec_lo, s2
	s_cbranch_vccnz .LBB169_73
; %bb.31:
	s_load_b32 s0, s[0:1], 0xc5c
	v_add_co_u32 v1, s1, s10, v0
	s_delay_alu instid0(VALU_DEP_1) | instskip(SKIP_1) | instid1(VALU_DEP_3)
	v_add_co_ci_u32_e64 v2, null, s11, 0, s1
	v_cmp_gt_u64_e64 s1, 0x10000, s[4:5]
	v_add_co_u32 v9, vcc_lo, s6, v1
	s_delay_alu instid0(VALU_DEP_3)
	v_add_co_ci_u32_e32 v10, vcc_lo, s7, v2, vcc_lo
	v_add_co_u32 v11, vcc_lo, s8, v1
	v_add_co_ci_u32_e32 v12, vcc_lo, s9, v2, vcc_lo
                                        ; implicit-def: $vgpr31
                                        ; implicit-def: $vgpr32
                                        ; implicit-def: $vgpr33
                                        ; implicit-def: $vgpr34
	s_waitcnt lgkmcnt(0)
	s_and_b32 s0, s0, 0xffff
	s_and_b32 s1, s1, exec_lo
	s_mul_i32 s13, s0, 3
	s_cselect_b32 s3, s5, 0
	s_cselect_b32 s2, s4, 0x10000
	s_lshl_b32 s12, s0, 1
	s_lshl_b32 s1, s0, 2
	s_add_u32 s14, s10, s13
	s_addc_u32 s15, s11, 0
	v_add_co_u32 v3, s14, s14, v0
	s_delay_alu instid0(VALU_DEP_1) | instskip(SKIP_1) | instid1(VALU_DEP_2)
	v_add_co_ci_u32_e64 v4, null, s15, 0, s14
	s_add_u32 s10, s10, s12
	v_add_co_u32 v13, vcc_lo, s6, v3
	s_delay_alu instid0(VALU_DEP_2)
	v_add_co_ci_u32_e32 v14, vcc_lo, s7, v4, vcc_lo
	v_add_co_u32 v15, vcc_lo, s8, v3
	s_addc_u32 s11, s11, 0
	v_add_co_u32 v3, s10, s10, v0
	v_add_co_ci_u32_e32 v16, vcc_lo, s9, v4, vcc_lo
	v_add_co_ci_u32_e64 v4, null, s11, 0, s10
	s_delay_alu instid0(VALU_DEP_3) | instskip(SKIP_1) | instid1(VALU_DEP_3)
	v_add_co_u32 v19, vcc_lo, s6, v3
	v_add_co_u32 v17, s10, s13, v0
	v_add_co_ci_u32_e32 v20, vcc_lo, s7, v4, vcc_lo
	v_add_co_u32 v21, vcc_lo, s8, v3
	v_add_co_ci_u32_e32 v22, vcc_lo, s9, v4, vcc_lo
	v_add_co_u32 v1, vcc_lo, v1, s0
	v_add_co_ci_u32_e32 v2, vcc_lo, 0, v2, vcc_lo
	v_add_co_ci_u32_e64 v18, null, 0, 0, s10
	s_delay_alu instid0(VALU_DEP_3) | instskip(NEXT) | instid1(VALU_DEP_3)
	v_add_co_u32 v25, vcc_lo, s6, v1
	v_add_co_ci_u32_e32 v26, vcc_lo, s7, v2, vcc_lo
	v_add_co_u32 v23, s10, s12, v0
	v_add_co_u32 v27, vcc_lo, s8, v1
	v_add_co_u32 v29, s0, v0, s0
	v_add_co_ci_u32_e64 v24, null, 0, 0, s10
	v_add_co_ci_u32_e32 v28, vcc_lo, s9, v2, vcc_lo
	v_add_co_ci_u32_e64 v30, null, 0, 0, s0
	s_mov_b64 s[6:7], 0
	s_branch .LBB169_33
.LBB169_32:                             ;   in Loop: Header=BB169_33 Depth=1
	s_or_b32 exec_lo, exec_lo, s0
	s_add_u32 s6, s6, s1
	s_addc_u32 s7, s7, 0
	s_delay_alu instid0(SALU_CYCLE_1) | instskip(SKIP_1) | instid1(VALU_DEP_1)
	v_cmp_ge_i64_e64 s0, s[6:7], s[4:5]
	v_cmp_lt_u64_e64 s8, 0xffff, s[6:7]
	s_or_b32 s0, s0, s8
	s_delay_alu instid0(SALU_CYCLE_1)
	s_and_b32 vcc_lo, exec_lo, s0
	s_cbranch_vccnz .LBB169_73
.LBB169_33:                             ; =>This Inner Loop Header: Depth=1
	v_add_co_u32 v1, s0, v0, s6
	s_delay_alu instid0(VALU_DEP_1) | instskip(NEXT) | instid1(VALU_DEP_1)
	v_add_co_ci_u32_e64 v2, null, 0, s7, s0
	v_cmp_gt_i64_e32 vcc_lo, s[4:5], v[1:2]
	v_cmp_gt_u64_e64 s0, 0x10000, v[1:2]
	s_delay_alu instid0(VALU_DEP_1) | instskip(NEXT) | instid1(SALU_CYCLE_1)
	s_and_b32 s8, vcc_lo, s0
	s_and_saveexec_b32 s0, s8
	s_cbranch_execz .LBB169_35
; %bb.34:                               ;   in Loop: Header=BB169_33 Depth=1
	v_add_co_u32 v3, vcc_lo, v9, s6
	v_add_co_ci_u32_e32 v4, vcc_lo, s7, v10, vcc_lo
	global_load_u8 v34, v[3:4], off
.LBB169_35:                             ;   in Loop: Header=BB169_33 Depth=1
	s_or_b32 exec_lo, exec_lo, s0
	v_add_co_u32 v3, vcc_lo, v29, s6
	v_add_co_ci_u32_e32 v4, vcc_lo, s7, v30, vcc_lo
	s_delay_alu instid0(VALU_DEP_1) | instskip(SKIP_1) | instid1(VALU_DEP_1)
	v_cmp_gt_i64_e32 vcc_lo, s[4:5], v[3:4]
	v_cmp_gt_u64_e64 s0, 0x10000, v[3:4]
	s_and_b32 s8, vcc_lo, s0
	s_delay_alu instid0(SALU_CYCLE_1)
	s_and_saveexec_b32 s0, s8
	s_cbranch_execz .LBB169_37
; %bb.36:                               ;   in Loop: Header=BB169_33 Depth=1
	v_add_co_u32 v5, vcc_lo, v25, s6
	v_add_co_ci_u32_e32 v6, vcc_lo, s7, v26, vcc_lo
	global_load_u8 v33, v[5:6], off
.LBB169_37:                             ;   in Loop: Header=BB169_33 Depth=1
	s_or_b32 exec_lo, exec_lo, s0
	v_add_co_u32 v5, vcc_lo, v23, s6
	v_add_co_ci_u32_e32 v6, vcc_lo, s7, v24, vcc_lo
	s_delay_alu instid0(VALU_DEP_1) | instskip(SKIP_1) | instid1(VALU_DEP_1)
	v_cmp_gt_i64_e32 vcc_lo, s[4:5], v[5:6]
	v_cmp_gt_u64_e64 s0, 0x10000, v[5:6]
	s_and_b32 s8, vcc_lo, s0
	s_delay_alu instid0(SALU_CYCLE_1)
	;; [unrolled: 15-line block ×3, first 2 shown]
	s_and_saveexec_b32 s0, s8
	s_cbranch_execz .LBB169_41
; %bb.40:                               ;   in Loop: Header=BB169_33 Depth=1
	v_add_co_u32 v35, vcc_lo, v13, s6
	v_add_co_ci_u32_e32 v36, vcc_lo, s7, v14, vcc_lo
	global_load_u8 v31, v[35:36], off
.LBB169_41:                             ;   in Loop: Header=BB169_33 Depth=1
	s_or_b32 exec_lo, exec_lo, s0
	s_waitcnt vmcnt(0)
	v_and_b32_e32 v36, 0xff, v34
	s_mov_b32 s0, 0
	s_mov_b32 s8, exec_lo
                                        ; implicit-def: $sgpr9
	s_delay_alu instid0(VALU_DEP_1)
	v_cmpx_lt_i16_e32 0x7f, v36
	s_xor_b32 s8, exec_lo, s8
	s_cbranch_execnz .LBB169_61
; %bb.42:                               ;   in Loop: Header=BB169_33 Depth=1
	s_or_saveexec_b32 s8, s8
	v_mov_b32_e32 v35, s9
	s_xor_b32 exec_lo, exec_lo, s8
	s_cbranch_execnz .LBB169_62
.LBB169_43:                             ;   in Loop: Header=BB169_33 Depth=1
	s_or_b32 exec_lo, exec_lo, s8
	s_and_saveexec_b32 s8, s0
	s_cbranch_execz .LBB169_45
.LBB169_44:                             ;   in Loop: Header=BB169_33 Depth=1
	v_lshrrev_b16 v38, 3, v34
	v_lshlrev_b32_e32 v39, 24, v34
	s_delay_alu instid0(VALU_DEP_2) | instskip(NEXT) | instid1(VALU_DEP_1)
	v_and_b32_e32 v38, 15, v38
	v_cmp_eq_u32_e32 vcc_lo, 0, v38
	v_and_b32_e32 v35, 7, v34
	s_delay_alu instid0(VALU_DEP_1) | instskip(NEXT) | instid1(VALU_DEP_1)
	v_clz_i32_u32_e32 v36, v35
	v_min_u32_e32 v36, 32, v36
	s_delay_alu instid0(VALU_DEP_1) | instskip(SKIP_1) | instid1(VALU_DEP_1)
	v_subrev_nc_u32_e32 v37, 28, v36
	v_sub_nc_u32_e32 v36, 29, v36
	v_dual_cndmask_b32 v36, v38, v36 :: v_dual_lshlrev_b32 v37, v37, v34
	s_delay_alu instid0(VALU_DEP_1) | instskip(NEXT) | instid1(VALU_DEP_2)
	v_and_b32_e32 v37, 7, v37
	v_lshl_add_u32 v36, v36, 23, 0x3b800000
	s_delay_alu instid0(VALU_DEP_2) | instskip(SKIP_1) | instid1(VALU_DEP_2)
	v_cndmask_b32_e32 v35, v35, v37, vcc_lo
	v_and_b32_e32 v37, 0x80000000, v39
	v_lshlrev_b32_e32 v35, 20, v35
	s_delay_alu instid0(VALU_DEP_1) | instskip(NEXT) | instid1(VALU_DEP_1)
	v_or3_b32 v35, v37, v36, v35
	v_cvt_i32_f32_e32 v35, v35
.LBB169_45:                             ;   in Loop: Header=BB169_33 Depth=1
	s_or_b32 exec_lo, exec_lo, s8
	v_and_b32_e32 v37, 0xff, v33
	s_mov_b32 s0, 0
	s_mov_b32 s8, exec_lo
                                        ; implicit-def: $sgpr9
	s_delay_alu instid0(VALU_DEP_1)
	v_cmpx_lt_i16_e32 0x7f, v37
	s_xor_b32 s8, exec_lo, s8
	s_cbranch_execnz .LBB169_63
; %bb.46:                               ;   in Loop: Header=BB169_33 Depth=1
	s_or_saveexec_b32 s8, s8
	v_mov_b32_e32 v36, s9
	s_xor_b32 exec_lo, exec_lo, s8
	s_cbranch_execnz .LBB169_64
.LBB169_47:                             ;   in Loop: Header=BB169_33 Depth=1
	s_or_b32 exec_lo, exec_lo, s8
	s_and_saveexec_b32 s8, s0
	s_cbranch_execz .LBB169_49
.LBB169_48:                             ;   in Loop: Header=BB169_33 Depth=1
	v_and_b32_e32 v36, 7, v33
	v_lshrrev_b16 v39, 3, v33
	v_lshlrev_b32_e32 v40, 24, v33
	s_delay_alu instid0(VALU_DEP_3) | instskip(NEXT) | instid1(VALU_DEP_1)
	v_clz_i32_u32_e32 v37, v36
	v_min_u32_e32 v37, 32, v37
	s_delay_alu instid0(VALU_DEP_1) | instskip(SKIP_1) | instid1(VALU_DEP_2)
	v_subrev_nc_u32_e32 v38, 28, v37
	v_sub_nc_u32_e32 v37, 29, v37
	v_lshlrev_b32_e32 v38, v38, v33
	s_delay_alu instid0(VALU_DEP_1) | instskip(SKIP_1) | instid1(VALU_DEP_1)
	v_and_b32_e32 v38, 7, v38
	v_and_b32_e32 v39, 15, v39
	v_cmp_eq_u32_e32 vcc_lo, 0, v39
	s_delay_alu instid0(VALU_DEP_3) | instskip(SKIP_1) | instid1(VALU_DEP_2)
	v_dual_cndmask_b32 v36, v36, v38 :: v_dual_cndmask_b32 v37, v39, v37
	v_and_b32_e32 v38, 0x80000000, v40
	v_lshlrev_b32_e32 v36, 20, v36
	s_delay_alu instid0(VALU_DEP_3) | instskip(NEXT) | instid1(VALU_DEP_1)
	v_lshl_add_u32 v37, v37, 23, 0x3b800000
	v_or3_b32 v36, v38, v37, v36
	s_delay_alu instid0(VALU_DEP_1)
	v_cvt_i32_f32_e32 v36, v36
.LBB169_49:                             ;   in Loop: Header=BB169_33 Depth=1
	s_or_b32 exec_lo, exec_lo, s8
	v_and_b32_e32 v38, 0xff, v32
	s_mov_b32 s0, 0
	s_mov_b32 s8, exec_lo
                                        ; implicit-def: $sgpr9
	s_delay_alu instid0(VALU_DEP_1)
	v_cmpx_lt_i16_e32 0x7f, v38
	s_xor_b32 s8, exec_lo, s8
	s_cbranch_execnz .LBB169_65
; %bb.50:                               ;   in Loop: Header=BB169_33 Depth=1
	s_or_saveexec_b32 s8, s8
	v_mov_b32_e32 v37, s9
	s_xor_b32 exec_lo, exec_lo, s8
	s_cbranch_execnz .LBB169_66
.LBB169_51:                             ;   in Loop: Header=BB169_33 Depth=1
	s_or_b32 exec_lo, exec_lo, s8
	s_and_saveexec_b32 s8, s0
	s_cbranch_execz .LBB169_53
.LBB169_52:                             ;   in Loop: Header=BB169_33 Depth=1
	v_lshrrev_b16 v40, 3, v32
	v_lshlrev_b32_e32 v41, 24, v32
	s_delay_alu instid0(VALU_DEP_2) | instskip(NEXT) | instid1(VALU_DEP_1)
	v_and_b32_e32 v40, 15, v40
	v_cmp_eq_u32_e32 vcc_lo, 0, v40
	v_and_b32_e32 v37, 7, v32
	s_delay_alu instid0(VALU_DEP_1) | instskip(NEXT) | instid1(VALU_DEP_1)
	v_clz_i32_u32_e32 v38, v37
	v_min_u32_e32 v38, 32, v38
	s_delay_alu instid0(VALU_DEP_1) | instskip(SKIP_1) | instid1(VALU_DEP_1)
	v_subrev_nc_u32_e32 v39, 28, v38
	v_sub_nc_u32_e32 v38, 29, v38
	v_dual_cndmask_b32 v38, v40, v38 :: v_dual_lshlrev_b32 v39, v39, v32
	s_delay_alu instid0(VALU_DEP_1) | instskip(NEXT) | instid1(VALU_DEP_2)
	v_and_b32_e32 v39, 7, v39
	v_lshl_add_u32 v38, v38, 23, 0x3b800000
	s_delay_alu instid0(VALU_DEP_2) | instskip(SKIP_1) | instid1(VALU_DEP_2)
	v_cndmask_b32_e32 v37, v37, v39, vcc_lo
	v_and_b32_e32 v39, 0x80000000, v41
	v_lshlrev_b32_e32 v37, 20, v37
	s_delay_alu instid0(VALU_DEP_1) | instskip(NEXT) | instid1(VALU_DEP_1)
	v_or3_b32 v37, v39, v38, v37
	v_cvt_i32_f32_e32 v37, v37
.LBB169_53:                             ;   in Loop: Header=BB169_33 Depth=1
	s_or_b32 exec_lo, exec_lo, s8
	v_and_b32_e32 v39, 0xff, v31
	s_mov_b32 s0, 0
	s_mov_b32 s8, exec_lo
                                        ; implicit-def: $sgpr9
	s_delay_alu instid0(VALU_DEP_1)
	v_cmpx_lt_i16_e32 0x7f, v39
	s_xor_b32 s8, exec_lo, s8
	s_cbranch_execnz .LBB169_67
; %bb.54:                               ;   in Loop: Header=BB169_33 Depth=1
	s_or_saveexec_b32 s8, s8
	v_mov_b32_e32 v38, s9
	s_xor_b32 exec_lo, exec_lo, s8
	s_cbranch_execnz .LBB169_68
.LBB169_55:                             ;   in Loop: Header=BB169_33 Depth=1
	s_or_b32 exec_lo, exec_lo, s8
	s_and_saveexec_b32 s8, s0
	s_cbranch_execz .LBB169_57
.LBB169_56:                             ;   in Loop: Header=BB169_33 Depth=1
	v_and_b32_e32 v38, 7, v31
	v_lshrrev_b16 v41, 3, v31
	v_lshlrev_b32_e32 v42, 24, v31
	s_delay_alu instid0(VALU_DEP_3) | instskip(NEXT) | instid1(VALU_DEP_1)
	v_clz_i32_u32_e32 v39, v38
	v_min_u32_e32 v39, 32, v39
	s_delay_alu instid0(VALU_DEP_1) | instskip(SKIP_1) | instid1(VALU_DEP_2)
	v_subrev_nc_u32_e32 v40, 28, v39
	v_sub_nc_u32_e32 v39, 29, v39
	v_lshlrev_b32_e32 v40, v40, v31
	s_delay_alu instid0(VALU_DEP_1) | instskip(SKIP_1) | instid1(VALU_DEP_1)
	v_and_b32_e32 v40, 7, v40
	v_and_b32_e32 v41, 15, v41
	v_cmp_eq_u32_e32 vcc_lo, 0, v41
	s_delay_alu instid0(VALU_DEP_3) | instskip(SKIP_1) | instid1(VALU_DEP_2)
	v_dual_cndmask_b32 v38, v38, v40 :: v_dual_cndmask_b32 v39, v41, v39
	v_and_b32_e32 v40, 0x80000000, v42
	v_lshlrev_b32_e32 v38, 20, v38
	s_delay_alu instid0(VALU_DEP_3) | instskip(NEXT) | instid1(VALU_DEP_1)
	v_lshl_add_u32 v39, v39, 23, 0x3b800000
	v_or3_b32 v38, v40, v39, v38
	s_delay_alu instid0(VALU_DEP_1)
	v_cvt_i32_f32_e32 v38, v38
.LBB169_57:                             ;   in Loop: Header=BB169_33 Depth=1
	s_or_b32 exec_lo, exec_lo, s8
	s_delay_alu instid0(SALU_CYCLE_1)
	s_mov_b32 s0, exec_lo
	v_cmpx_gt_u64_e64 s[2:3], v[1:2]
	s_xor_b32 s0, exec_lo, s0
	s_cbranch_execnz .LBB169_69
; %bb.58:                               ;   in Loop: Header=BB169_33 Depth=1
	s_or_b32 exec_lo, exec_lo, s0
	s_delay_alu instid0(SALU_CYCLE_1)
	s_mov_b32 s0, exec_lo
	v_cmpx_gt_u64_e64 s[2:3], v[3:4]
	s_cbranch_execnz .LBB169_70
.LBB169_59:                             ;   in Loop: Header=BB169_33 Depth=1
	s_or_b32 exec_lo, exec_lo, s0
	s_delay_alu instid0(SALU_CYCLE_1)
	s_mov_b32 s0, exec_lo
	v_cmpx_gt_u64_e64 s[2:3], v[5:6]
	s_cbranch_execnz .LBB169_71
.LBB169_60:                             ;   in Loop: Header=BB169_33 Depth=1
	s_or_b32 exec_lo, exec_lo, s0
	s_delay_alu instid0(SALU_CYCLE_1)
	s_mov_b32 s0, exec_lo
	v_cmpx_gt_u64_e64 s[2:3], v[7:8]
	s_cbranch_execz .LBB169_32
	s_branch .LBB169_72
.LBB169_61:                             ;   in Loop: Header=BB169_33 Depth=1
	v_cmp_ne_u16_e32 vcc_lo, 0x80, v36
	s_mov_b32 s9, 0
                                        ; implicit-def: $vgpr36
	s_and_b32 s0, vcc_lo, exec_lo
	s_or_saveexec_b32 s8, s8
	v_mov_b32_e32 v35, s9
	s_xor_b32 exec_lo, exec_lo, s8
	s_cbranch_execz .LBB169_43
.LBB169_62:                             ;   in Loop: Header=BB169_33 Depth=1
	v_cmp_ne_u16_e32 vcc_lo, 0, v36
	v_mov_b32_e32 v35, 0
	s_and_not1_b32 s0, s0, exec_lo
	s_and_b32 s9, vcc_lo, exec_lo
	s_delay_alu instid0(SALU_CYCLE_1)
	s_or_b32 s0, s0, s9
	s_or_b32 exec_lo, exec_lo, s8
	s_and_saveexec_b32 s8, s0
	s_cbranch_execnz .LBB169_44
	s_branch .LBB169_45
.LBB169_63:                             ;   in Loop: Header=BB169_33 Depth=1
	v_cmp_ne_u16_e32 vcc_lo, 0x80, v37
	s_mov_b32 s9, 0
                                        ; implicit-def: $vgpr37
	s_and_b32 s0, vcc_lo, exec_lo
	s_or_saveexec_b32 s8, s8
	v_mov_b32_e32 v36, s9
	s_xor_b32 exec_lo, exec_lo, s8
	s_cbranch_execz .LBB169_47
.LBB169_64:                             ;   in Loop: Header=BB169_33 Depth=1
	v_cmp_ne_u16_e32 vcc_lo, 0, v37
	v_mov_b32_e32 v36, 0
	s_and_not1_b32 s0, s0, exec_lo
	s_and_b32 s9, vcc_lo, exec_lo
	s_delay_alu instid0(SALU_CYCLE_1)
	s_or_b32 s0, s0, s9
	s_or_b32 exec_lo, exec_lo, s8
	s_and_saveexec_b32 s8, s0
	s_cbranch_execnz .LBB169_48
	s_branch .LBB169_49
.LBB169_65:                             ;   in Loop: Header=BB169_33 Depth=1
	v_cmp_ne_u16_e32 vcc_lo, 0x80, v38
	s_mov_b32 s9, 0
                                        ; implicit-def: $vgpr38
	s_and_b32 s0, vcc_lo, exec_lo
	s_or_saveexec_b32 s8, s8
	v_mov_b32_e32 v37, s9
	s_xor_b32 exec_lo, exec_lo, s8
	s_cbranch_execz .LBB169_51
.LBB169_66:                             ;   in Loop: Header=BB169_33 Depth=1
	v_cmp_ne_u16_e32 vcc_lo, 0, v38
	v_mov_b32_e32 v37, 0
	s_and_not1_b32 s0, s0, exec_lo
	s_and_b32 s9, vcc_lo, exec_lo
	s_delay_alu instid0(SALU_CYCLE_1)
	s_or_b32 s0, s0, s9
	s_or_b32 exec_lo, exec_lo, s8
	s_and_saveexec_b32 s8, s0
	s_cbranch_execnz .LBB169_52
	s_branch .LBB169_53
.LBB169_67:                             ;   in Loop: Header=BB169_33 Depth=1
	v_cmp_ne_u16_e32 vcc_lo, 0x80, v39
	s_mov_b32 s9, 0
                                        ; implicit-def: $vgpr39
	s_and_b32 s0, vcc_lo, exec_lo
	s_or_saveexec_b32 s8, s8
	v_mov_b32_e32 v38, s9
	s_xor_b32 exec_lo, exec_lo, s8
	s_cbranch_execz .LBB169_55
.LBB169_68:                             ;   in Loop: Header=BB169_33 Depth=1
	v_cmp_ne_u16_e32 vcc_lo, 0, v39
	v_mov_b32_e32 v38, 0
	s_and_not1_b32 s0, s0, exec_lo
	s_and_b32 s9, vcc_lo, exec_lo
	s_delay_alu instid0(SALU_CYCLE_1)
	s_or_b32 s0, s0, s9
	s_or_b32 exec_lo, exec_lo, s8
	s_and_saveexec_b32 s8, s0
	s_cbranch_execnz .LBB169_56
	s_branch .LBB169_57
.LBB169_69:                             ;   in Loop: Header=BB169_33 Depth=1
	v_add_co_u32 v1, vcc_lo, v11, s6
	v_add_co_ci_u32_e32 v2, vcc_lo, s7, v12, vcc_lo
	global_store_b8 v[1:2], v35, off
	s_or_b32 exec_lo, exec_lo, s0
	s_delay_alu instid0(SALU_CYCLE_1)
	s_mov_b32 s0, exec_lo
	v_cmpx_gt_u64_e64 s[2:3], v[3:4]
	s_cbranch_execz .LBB169_59
.LBB169_70:                             ;   in Loop: Header=BB169_33 Depth=1
	v_add_co_u32 v1, vcc_lo, v27, s6
	v_add_co_ci_u32_e32 v2, vcc_lo, s7, v28, vcc_lo
	global_store_b8 v[1:2], v36, off
	s_or_b32 exec_lo, exec_lo, s0
	s_delay_alu instid0(SALU_CYCLE_1)
	s_mov_b32 s0, exec_lo
	v_cmpx_gt_u64_e64 s[2:3], v[5:6]
	s_cbranch_execz .LBB169_60
.LBB169_71:                             ;   in Loop: Header=BB169_33 Depth=1
	v_add_co_u32 v1, vcc_lo, v21, s6
	v_add_co_ci_u32_e32 v2, vcc_lo, s7, v22, vcc_lo
	global_store_b8 v[1:2], v37, off
	s_or_b32 exec_lo, exec_lo, s0
	s_delay_alu instid0(SALU_CYCLE_1)
	s_mov_b32 s0, exec_lo
	v_cmpx_gt_u64_e64 s[2:3], v[7:8]
	s_cbranch_execz .LBB169_32
.LBB169_72:                             ;   in Loop: Header=BB169_33 Depth=1
	v_add_co_u32 v1, vcc_lo, v15, s6
	v_add_co_ci_u32_e32 v2, vcc_lo, s7, v16, vcc_lo
	global_store_b8 v[1:2], v38, off
	s_branch .LBB169_32
.LBB169_73:
	s_nop 0
	s_sendmsg sendmsg(MSG_DEALLOC_VGPRS)
	s_endpgm
	.section	.rodata,"a",@progbits
	.p2align	6, 0x0
	.amdhsa_kernel _ZN2at6native12_GLOBAL__N_125multi_tensor_apply_kernelINS1_18TensorListMetadataILi2EEENS1_11CopyFunctorIhN3c1015Float8_e4m3fnuzELi2ELi1ELi1EEEJNS0_4CopyIhS7_EEEEEvT_T0_DpT1_
		.amdhsa_group_segment_fixed_size 0
		.amdhsa_private_segment_fixed_size 0
		.amdhsa_kernarg_size 3408
		.amdhsa_user_sgpr_count 15
		.amdhsa_user_sgpr_dispatch_ptr 0
		.amdhsa_user_sgpr_queue_ptr 0
		.amdhsa_user_sgpr_kernarg_segment_ptr 1
		.amdhsa_user_sgpr_dispatch_id 0
		.amdhsa_user_sgpr_private_segment_size 0
		.amdhsa_wavefront_size32 1
		.amdhsa_uses_dynamic_stack 0
		.amdhsa_enable_private_segment 0
		.amdhsa_system_sgpr_workgroup_id_x 1
		.amdhsa_system_sgpr_workgroup_id_y 0
		.amdhsa_system_sgpr_workgroup_id_z 0
		.amdhsa_system_sgpr_workgroup_info 0
		.amdhsa_system_vgpr_workitem_id 0
		.amdhsa_next_free_vgpr 43
		.amdhsa_next_free_sgpr 20
		.amdhsa_reserve_vcc 1
		.amdhsa_float_round_mode_32 0
		.amdhsa_float_round_mode_16_64 0
		.amdhsa_float_denorm_mode_32 3
		.amdhsa_float_denorm_mode_16_64 3
		.amdhsa_dx10_clamp 1
		.amdhsa_ieee_mode 1
		.amdhsa_fp16_overflow 0
		.amdhsa_workgroup_processor_mode 1
		.amdhsa_memory_ordered 1
		.amdhsa_forward_progress 0
		.amdhsa_shared_vgpr_count 0
		.amdhsa_exception_fp_ieee_invalid_op 0
		.amdhsa_exception_fp_denorm_src 0
		.amdhsa_exception_fp_ieee_div_zero 0
		.amdhsa_exception_fp_ieee_overflow 0
		.amdhsa_exception_fp_ieee_underflow 0
		.amdhsa_exception_fp_ieee_inexact 0
		.amdhsa_exception_int_div_zero 0
	.end_amdhsa_kernel
	.section	.text._ZN2at6native12_GLOBAL__N_125multi_tensor_apply_kernelINS1_18TensorListMetadataILi2EEENS1_11CopyFunctorIhN3c1015Float8_e4m3fnuzELi2ELi1ELi1EEEJNS0_4CopyIhS7_EEEEEvT_T0_DpT1_,"axG",@progbits,_ZN2at6native12_GLOBAL__N_125multi_tensor_apply_kernelINS1_18TensorListMetadataILi2EEENS1_11CopyFunctorIhN3c1015Float8_e4m3fnuzELi2ELi1ELi1EEEJNS0_4CopyIhS7_EEEEEvT_T0_DpT1_,comdat
.Lfunc_end169:
	.size	_ZN2at6native12_GLOBAL__N_125multi_tensor_apply_kernelINS1_18TensorListMetadataILi2EEENS1_11CopyFunctorIhN3c1015Float8_e4m3fnuzELi2ELi1ELi1EEEJNS0_4CopyIhS7_EEEEEvT_T0_DpT1_, .Lfunc_end169-_ZN2at6native12_GLOBAL__N_125multi_tensor_apply_kernelINS1_18TensorListMetadataILi2EEENS1_11CopyFunctorIhN3c1015Float8_e4m3fnuzELi2ELi1ELi1EEEJNS0_4CopyIhS7_EEEEEvT_T0_DpT1_
                                        ; -- End function
	.section	.AMDGPU.csdata,"",@progbits
; Kernel info:
; codeLenInByte = 3400
; NumSgprs: 22
; NumVgprs: 43
; ScratchSize: 0
; MemoryBound: 0
; FloatMode: 240
; IeeeMode: 1
; LDSByteSize: 0 bytes/workgroup (compile time only)
; SGPRBlocks: 2
; VGPRBlocks: 5
; NumSGPRsForWavesPerEU: 22
; NumVGPRsForWavesPerEU: 43
; Occupancy: 16
; WaveLimiterHint : 0
; COMPUTE_PGM_RSRC2:SCRATCH_EN: 0
; COMPUTE_PGM_RSRC2:USER_SGPR: 15
; COMPUTE_PGM_RSRC2:TRAP_HANDLER: 0
; COMPUTE_PGM_RSRC2:TGID_X_EN: 1
; COMPUTE_PGM_RSRC2:TGID_Y_EN: 0
; COMPUTE_PGM_RSRC2:TGID_Z_EN: 0
; COMPUTE_PGM_RSRC2:TIDIG_COMP_CNT: 0
	.section	.text._ZN2at6native12_GLOBAL__N_125multi_tensor_apply_kernelINS1_18TensorListMetadataILi2EEENS1_11CopyFunctorIhN3c1011Float8_e5m2ELi2ELi1ELi1EEEJNS0_4CopyIhS7_EEEEEvT_T0_DpT1_,"axG",@progbits,_ZN2at6native12_GLOBAL__N_125multi_tensor_apply_kernelINS1_18TensorListMetadataILi2EEENS1_11CopyFunctorIhN3c1011Float8_e5m2ELi2ELi1ELi1EEEJNS0_4CopyIhS7_EEEEEvT_T0_DpT1_,comdat
	.globl	_ZN2at6native12_GLOBAL__N_125multi_tensor_apply_kernelINS1_18TensorListMetadataILi2EEENS1_11CopyFunctorIhN3c1011Float8_e5m2ELi2ELi1ELi1EEEJNS0_4CopyIhS7_EEEEEvT_T0_DpT1_ ; -- Begin function _ZN2at6native12_GLOBAL__N_125multi_tensor_apply_kernelINS1_18TensorListMetadataILi2EEENS1_11CopyFunctorIhN3c1011Float8_e5m2ELi2ELi1ELi1EEEJNS0_4CopyIhS7_EEEEEvT_T0_DpT1_
	.p2align	8
	.type	_ZN2at6native12_GLOBAL__N_125multi_tensor_apply_kernelINS1_18TensorListMetadataILi2EEENS1_11CopyFunctorIhN3c1011Float8_e5m2ELi2ELi1ELi1EEEJNS0_4CopyIhS7_EEEEEvT_T0_DpT1_,@function
_ZN2at6native12_GLOBAL__N_125multi_tensor_apply_kernelINS1_18TensorListMetadataILi2EEENS1_11CopyFunctorIhN3c1011Float8_e5m2ELi2ELi1ELi1EEEJNS0_4CopyIhS7_EEEEEvT_T0_DpT1_: ; @_ZN2at6native12_GLOBAL__N_125multi_tensor_apply_kernelINS1_18TensorListMetadataILi2EEENS1_11CopyFunctorIhN3c1011Float8_e5m2ELi2ELi1ELi1EEEJNS0_4CopyIhS7_EEEEEvT_T0_DpT1_
; %bb.0:
	v_mov_b32_e32 v1, s15
	s_add_u32 s2, s0, s15
	s_mul_i32 s4, s15, 3
	s_addc_u32 s3, s1, 0
	s_mul_hi_u32 s5, s15, 3
	global_load_u8 v1, v1, s[0:1] offset:1536
	s_add_u32 s2, s2, s4
	s_addc_u32 s3, s3, s5
	s_load_b32 s2, s[2:3], 0x740
	s_waitcnt vmcnt(0)
	v_readfirstlane_b32 s4, v1
	s_delay_alu instid0(VALU_DEP_1)
	s_lshl_b32 s3, s4, 3
	s_clause 0x2
	s_load_b64 s[6:7], s[0:1], s3 offset:0x0
	s_load_b64 s[8:9], s[0:1], s3 offset:0x200
	;; [unrolled: 1-line block ×3, first 2 shown]
	s_waitcnt lgkmcnt(0)
	s_ashr_i32 s3, s2, 31
	s_delay_alu instid0(SALU_CYCLE_1) | instskip(NEXT) | instid1(SALU_CYCLE_1)
	s_lshl_b64 s[10:11], s[2:3], 16
	s_add_u32 s14, s6, s10
	s_addc_u32 s15, s7, s11
	s_add_u32 s12, s8, s10
	s_addc_u32 s13, s9, s11
	s_delay_alu instid0(SALU_CYCLE_1) | instskip(NEXT) | instid1(SALU_CYCLE_1)
	s_or_b64 s[2:3], s[4:5], s[12:13]
	s_or_b32 s2, s14, s2
	s_delay_alu instid0(SALU_CYCLE_1)
	s_and_b32 s2, s2, 3
	s_sub_u32 s4, s4, s10
	s_subb_u32 s5, s5, s11
	s_cmp_eq_u32 s2, 0
	s_mov_b32 s2, -1
	s_cbranch_scc0 .LBB170_5
; %bb.1:
	v_dual_mov_b32 v2, 0 :: v_dual_lshlrev_b32 v1, 2, v0
	s_mov_b32 s16, exec_lo
	s_delay_alu instid0(VALU_DEP_1)
	v_cmpx_gt_i64_e64 s[4:5], v[1:2]
	s_cbranch_execz .LBB170_4
; %bb.2:
	s_load_b32 s2, s[0:1], 0xc5c
	s_mov_b32 s17, 0
	s_mov_b32 s19, 0xfe00000
	s_waitcnt lgkmcnt(0)
	s_and_b32 s2, s2, 0xffff
	s_delay_alu instid0(SALU_CYCLE_1)
	s_lshl_b32 s18, s2, 2
.LBB170_3:                              ; =>This Inner Loop Header: Depth=1
	v_add_co_u32 v3, vcc_lo, s14, v1
	v_add_co_ci_u32_e32 v4, vcc_lo, s15, v2, vcc_lo
	global_load_b32 v5, v[3:4], off
	v_add_co_u32 v3, vcc_lo, s12, v1
	v_add_co_ci_u32_e32 v4, vcc_lo, s13, v2, vcc_lo
	s_waitcnt vmcnt(0)
	v_lshlrev_b16 v6, 8, v5
	v_and_or_b32 v10, 0x7f00, v5, 0.5
	v_lshlrev_b32_e32 v7, 25, v5
	v_lshrrev_b32_e32 v16, 3, v5
	v_lshrrev_b32_e32 v12, 8, v5
	v_lshrrev_b32_e32 v15, 16, v5
	v_add_f32_e32 v10, -0.5, v10
	v_lshrrev_b32_e32 v17, 4, v7
	v_and_or_b32 v18, 0x7f00, v6, 0.5
	v_lshlrev_b32_e32 v9, 13, v5
	v_and_or_b32 v16, v16, s19, 0x70000000
	v_lshlrev_b32_e32 v13, 5, v5
	v_or_b32_e32 v17, 0x70000000, v17
	v_lshlrev_b32_e32 v19, 17, v12
	v_and_or_b32 v12, 0x7f00, v12, 0.5
	v_add_f32_e32 v18, -0.5, v18
	v_and_or_b32 v9, v9, s19, 0x70000000
	v_lshlrev_b32_e32 v20, 17, v15
	v_and_or_b32 v15, 0x7f00, v15, 0.5
	v_lshlrev_b32_e32 v8, 17, v5
	v_mul_f32_e32 v16, 0x7800000, v16
	v_and_or_b32 v13, v13, s19, 0x70000000
	v_dual_add_f32 v12, -0.5, v12 :: v_dual_lshlrev_b32 v11, 16, v5
	v_mul_f32_e32 v9, 0x7800000, v9
	v_add_f32_e32 v15, -0.5, v15
	s_delay_alu instid0(VALU_DEP_4)
	v_mul_f32_e32 v13, 0x7800000, v13
	v_cmp_gt_u32_e64 s2, 0x8000000, v20
	v_cmp_gt_u32_e64 s3, 0x8000000, v8
	v_mul_f32_e32 v8, 0x7800000, v17
	v_cmp_gt_u32_e32 vcc_lo, 0x8000000, v19
	v_bfe_i32 v6, v6, 0, 16
	s_delay_alu instid0(VALU_DEP_4) | instskip(SKIP_4) | instid1(VALU_DEP_4)
	v_cndmask_b32_e64 v9, v9, v10, s3
	v_cndmask_b32_e64 v10, v16, v15, s2
	v_cndmask_b32_e32 v12, v13, v12, vcc_lo
	v_cmp_gt_u32_e32 vcc_lo, 0x8000000, v7
	v_lshlrev_b32_e32 v14, 8, v5
	v_and_or_b32 v5, 0x80000000, v5, v10
	v_cndmask_b32_e32 v7, v8, v18, vcc_lo
	v_and_or_b32 v8, 0x80000000, v11, v9
	s_delay_alu instid0(VALU_DEP_4) | instskip(NEXT) | instid1(VALU_DEP_4)
	v_and_or_b32 v9, 0x80000000, v14, v12
	v_cvt_i32_f32_e32 v5, v5
	v_add_co_u32 v1, vcc_lo, s18, v1
	v_and_or_b32 v6, 0x80000000, v6, v7
	v_cvt_i32_f32_e32 v7, v8
	v_cvt_i32_f32_e32 v8, v9
	v_lshlrev_b16 v5, 8, v5
	v_add_co_ci_u32_e32 v2, vcc_lo, 0, v2, vcc_lo
	v_cvt_i32_f32_e32 v6, v6
	v_lshlrev_b16 v7, 8, v7
	s_delay_alu instid0(VALU_DEP_4) | instskip(NEXT) | instid1(VALU_DEP_4)
	v_or_b32_e32 v5, v8, v5
	v_cmp_le_i64_e32 vcc_lo, s[4:5], v[1:2]
	v_cmp_lt_u64_e64 s2, 0xffff, v[1:2]
	s_delay_alu instid0(VALU_DEP_4) | instskip(NEXT) | instid1(VALU_DEP_4)
	v_or_b32_e32 v6, v6, v7
	v_lshlrev_b32_e32 v5, 16, v5
	s_delay_alu instid0(VALU_DEP_3) | instskip(NEXT) | instid1(VALU_DEP_2)
	s_or_b32 s2, vcc_lo, s2
	v_and_b32_e32 v6, 0xffff, v6
	s_and_b32 s2, exec_lo, s2
	s_delay_alu instid0(SALU_CYCLE_1) | instskip(NEXT) | instid1(VALU_DEP_1)
	s_or_b32 s17, s2, s17
	v_or_b32_e32 v5, v6, v5
	global_store_b32 v[3:4], v5, off
	s_and_not1_b32 exec_lo, exec_lo, s17
	s_cbranch_execnz .LBB170_3
.LBB170_4:
	s_or_b32 exec_lo, exec_lo, s16
	s_mov_b32 s2, 0
.LBB170_5:
	s_delay_alu instid0(SALU_CYCLE_1)
	s_and_not1_b32 vcc_lo, exec_lo, s2
	s_cbranch_vccnz .LBB170_25
; %bb.6:
	v_cmp_lt_i64_e64 s2, s[4:5], 1
	s_delay_alu instid0(VALU_DEP_1)
	s_and_b32 vcc_lo, exec_lo, s2
	s_cbranch_vccnz .LBB170_25
; %bb.7:
	s_load_b32 s0, s[0:1], 0xc5c
	v_add_co_u32 v1, s1, s10, v0
	s_delay_alu instid0(VALU_DEP_1) | instskip(SKIP_1) | instid1(VALU_DEP_3)
	v_add_co_ci_u32_e64 v2, null, s11, 0, s1
	v_cmp_gt_u64_e64 s1, 0x10000, s[4:5]
	v_add_co_u32 v9, vcc_lo, s6, v1
	s_delay_alu instid0(VALU_DEP_3)
	v_add_co_ci_u32_e32 v10, vcc_lo, s7, v2, vcc_lo
	v_add_co_u32 v11, vcc_lo, s8, v1
	v_add_co_ci_u32_e32 v12, vcc_lo, s9, v2, vcc_lo
                                        ; implicit-def: $vgpr31
                                        ; implicit-def: $vgpr32
                                        ; implicit-def: $vgpr33
                                        ; implicit-def: $vgpr34
	s_waitcnt lgkmcnt(0)
	s_and_b32 s0, s0, 0xffff
	s_and_b32 s1, s1, exec_lo
	s_mul_i32 s13, s0, 3
	s_cselect_b32 s3, s5, 0
	s_cselect_b32 s2, s4, 0x10000
	s_lshl_b32 s12, s0, 1
	s_lshl_b32 s1, s0, 2
	s_add_u32 s14, s10, s13
	s_addc_u32 s15, s11, 0
	v_add_co_u32 v3, s14, s14, v0
	s_delay_alu instid0(VALU_DEP_1) | instskip(SKIP_1) | instid1(VALU_DEP_2)
	v_add_co_ci_u32_e64 v4, null, s15, 0, s14
	s_add_u32 s10, s10, s12
	v_add_co_u32 v13, vcc_lo, s6, v3
	s_delay_alu instid0(VALU_DEP_2)
	v_add_co_ci_u32_e32 v14, vcc_lo, s7, v4, vcc_lo
	v_add_co_u32 v15, vcc_lo, s8, v3
	s_addc_u32 s11, s11, 0
	v_add_co_u32 v3, s10, s10, v0
	v_add_co_ci_u32_e32 v16, vcc_lo, s9, v4, vcc_lo
	v_add_co_ci_u32_e64 v4, null, s11, 0, s10
	s_delay_alu instid0(VALU_DEP_3) | instskip(SKIP_1) | instid1(VALU_DEP_3)
	v_add_co_u32 v19, vcc_lo, s6, v3
	v_add_co_u32 v17, s10, s13, v0
	v_add_co_ci_u32_e32 v20, vcc_lo, s7, v4, vcc_lo
	v_add_co_u32 v21, vcc_lo, s8, v3
	v_add_co_ci_u32_e32 v22, vcc_lo, s9, v4, vcc_lo
	v_add_co_u32 v1, vcc_lo, v1, s0
	v_add_co_ci_u32_e32 v2, vcc_lo, 0, v2, vcc_lo
	v_add_co_ci_u32_e64 v18, null, 0, 0, s10
	s_delay_alu instid0(VALU_DEP_3) | instskip(NEXT) | instid1(VALU_DEP_3)
	v_add_co_u32 v25, vcc_lo, s6, v1
	v_add_co_ci_u32_e32 v26, vcc_lo, s7, v2, vcc_lo
	v_add_co_u32 v23, s10, s12, v0
	v_add_co_u32 v27, vcc_lo, s8, v1
	v_add_co_u32 v29, s0, v0, s0
	v_add_co_ci_u32_e64 v24, null, 0, 0, s10
	v_add_co_ci_u32_e32 v28, vcc_lo, s9, v2, vcc_lo
	v_add_co_ci_u32_e64 v30, null, 0, 0, s0
	s_mov_b64 s[6:7], 0
	s_branch .LBB170_9
.LBB170_8:                              ;   in Loop: Header=BB170_9 Depth=1
	s_or_b32 exec_lo, exec_lo, s0
	s_add_u32 s6, s6, s1
	s_addc_u32 s7, s7, 0
	s_delay_alu instid0(SALU_CYCLE_1) | instskip(SKIP_1) | instid1(VALU_DEP_1)
	v_cmp_ge_i64_e64 s0, s[6:7], s[4:5]
	v_cmp_lt_u64_e64 s8, 0xffff, s[6:7]
	s_or_b32 s0, s0, s8
	s_delay_alu instid0(SALU_CYCLE_1)
	s_and_b32 vcc_lo, exec_lo, s0
	s_cbranch_vccnz .LBB170_25
.LBB170_9:                              ; =>This Inner Loop Header: Depth=1
	v_add_co_u32 v7, s0, v0, s6
	s_delay_alu instid0(VALU_DEP_1) | instskip(NEXT) | instid1(VALU_DEP_1)
	v_add_co_ci_u32_e64 v8, null, 0, s7, s0
	v_cmp_gt_i64_e32 vcc_lo, s[4:5], v[7:8]
	v_cmp_gt_u64_e64 s0, 0x10000, v[7:8]
	s_delay_alu instid0(VALU_DEP_1) | instskip(NEXT) | instid1(SALU_CYCLE_1)
	s_and_b32 s8, vcc_lo, s0
	s_and_saveexec_b32 s0, s8
	s_cbranch_execz .LBB170_11
; %bb.10:                               ;   in Loop: Header=BB170_9 Depth=1
	v_add_co_u32 v1, vcc_lo, v9, s6
	v_add_co_ci_u32_e32 v2, vcc_lo, s7, v10, vcc_lo
	global_load_u8 v34, v[1:2], off
.LBB170_11:                             ;   in Loop: Header=BB170_9 Depth=1
	s_or_b32 exec_lo, exec_lo, s0
	v_add_co_u32 v5, vcc_lo, v29, s6
	v_add_co_ci_u32_e32 v6, vcc_lo, s7, v30, vcc_lo
	s_delay_alu instid0(VALU_DEP_1) | instskip(SKIP_1) | instid1(VALU_DEP_1)
	v_cmp_gt_i64_e32 vcc_lo, s[4:5], v[5:6]
	v_cmp_gt_u64_e64 s0, 0x10000, v[5:6]
	s_and_b32 s8, vcc_lo, s0
	s_delay_alu instid0(SALU_CYCLE_1)
	s_and_saveexec_b32 s0, s8
	s_cbranch_execz .LBB170_13
; %bb.12:                               ;   in Loop: Header=BB170_9 Depth=1
	v_add_co_u32 v1, vcc_lo, v25, s6
	v_add_co_ci_u32_e32 v2, vcc_lo, s7, v26, vcc_lo
	global_load_u8 v33, v[1:2], off
.LBB170_13:                             ;   in Loop: Header=BB170_9 Depth=1
	s_or_b32 exec_lo, exec_lo, s0
	v_add_co_u32 v3, vcc_lo, v23, s6
	v_add_co_ci_u32_e32 v4, vcc_lo, s7, v24, vcc_lo
	s_delay_alu instid0(VALU_DEP_1) | instskip(SKIP_1) | instid1(VALU_DEP_1)
	v_cmp_gt_i64_e32 vcc_lo, s[4:5], v[3:4]
	v_cmp_gt_u64_e64 s0, 0x10000, v[3:4]
	s_and_b32 s8, vcc_lo, s0
	s_delay_alu instid0(SALU_CYCLE_1)
	;; [unrolled: 15-line block ×3, first 2 shown]
	s_and_saveexec_b32 s0, s8
	s_cbranch_execnz .LBB170_20
; %bb.16:                               ;   in Loop: Header=BB170_9 Depth=1
	s_or_b32 exec_lo, exec_lo, s0
	s_delay_alu instid0(SALU_CYCLE_1)
	s_mov_b32 s0, exec_lo
	v_cmpx_gt_u64_e64 s[2:3], v[7:8]
	s_cbranch_execnz .LBB170_21
.LBB170_17:                             ;   in Loop: Header=BB170_9 Depth=1
	s_or_b32 exec_lo, exec_lo, s0
	s_delay_alu instid0(SALU_CYCLE_1)
	s_mov_b32 s0, exec_lo
	v_cmpx_gt_u64_e64 s[2:3], v[5:6]
	s_cbranch_execnz .LBB170_22
.LBB170_18:                             ;   in Loop: Header=BB170_9 Depth=1
	s_or_b32 exec_lo, exec_lo, s0
	s_delay_alu instid0(SALU_CYCLE_1)
	s_mov_b32 s0, exec_lo
	v_cmpx_gt_u64_e64 s[2:3], v[3:4]
	s_cbranch_execnz .LBB170_23
.LBB170_19:                             ;   in Loop: Header=BB170_9 Depth=1
	s_or_b32 exec_lo, exec_lo, s0
	s_delay_alu instid0(SALU_CYCLE_1)
	s_mov_b32 s0, exec_lo
	v_cmpx_gt_u64_e64 s[2:3], v[1:2]
	s_cbranch_execz .LBB170_8
	s_branch .LBB170_24
.LBB170_20:                             ;   in Loop: Header=BB170_9 Depth=1
	v_add_co_u32 v35, vcc_lo, v13, s6
	v_add_co_ci_u32_e32 v36, vcc_lo, s7, v14, vcc_lo
	global_load_u8 v31, v[35:36], off
	s_or_b32 exec_lo, exec_lo, s0
	s_delay_alu instid0(SALU_CYCLE_1)
	s_mov_b32 s0, exec_lo
	v_cmpx_gt_u64_e64 s[2:3], v[7:8]
	s_cbranch_execz .LBB170_17
.LBB170_21:                             ;   in Loop: Header=BB170_9 Depth=1
	s_waitcnt vmcnt(0)
	v_lshlrev_b16 v8, 8, v34
	s_delay_alu instid0(VALU_DEP_1) | instskip(SKIP_2) | instid1(VALU_DEP_3)
	v_and_or_b32 v36, 0x7f00, v8, 0.5
	v_lshlrev_b32_e32 v7, 25, v34
	v_bfe_i32 v8, v8, 0, 16
	v_add_f32_e32 v36, -0.5, v36
	s_delay_alu instid0(VALU_DEP_3) | instskip(SKIP_1) | instid1(VALU_DEP_2)
	v_lshrrev_b32_e32 v35, 4, v7
	v_cmp_gt_u32_e32 vcc_lo, 0x8000000, v7
	v_or_b32_e32 v35, 0x70000000, v35
	s_delay_alu instid0(VALU_DEP_1) | instskip(NEXT) | instid1(VALU_DEP_1)
	v_mul_f32_e32 v35, 0x7800000, v35
	v_cndmask_b32_e32 v7, v35, v36, vcc_lo
	s_delay_alu instid0(VALU_DEP_1) | instskip(NEXT) | instid1(VALU_DEP_1)
	v_and_or_b32 v7, 0x80000000, v8, v7
	v_cvt_i32_f32_e32 v35, v7
	v_add_co_u32 v7, vcc_lo, v11, s6
	v_add_co_ci_u32_e32 v8, vcc_lo, s7, v12, vcc_lo
	global_store_b8 v[7:8], v35, off
	s_or_b32 exec_lo, exec_lo, s0
	s_delay_alu instid0(SALU_CYCLE_1)
	s_mov_b32 s0, exec_lo
	v_cmpx_gt_u64_e64 s[2:3], v[5:6]
	s_cbranch_execz .LBB170_18
.LBB170_22:                             ;   in Loop: Header=BB170_9 Depth=1
	s_waitcnt vmcnt(0)
	v_lshlrev_b16 v6, 8, v33
	s_delay_alu instid0(VALU_DEP_1) | instskip(SKIP_2) | instid1(VALU_DEP_3)
	v_and_or_b32 v8, 0x7f00, v6, 0.5
	v_lshlrev_b32_e32 v5, 25, v33
	v_bfe_i32 v6, v6, 0, 16
	v_add_f32_e32 v8, -0.5, v8
	s_delay_alu instid0(VALU_DEP_3) | instskip(SKIP_1) | instid1(VALU_DEP_2)
	v_lshrrev_b32_e32 v7, 4, v5
	v_cmp_gt_u32_e32 vcc_lo, 0x8000000, v5
	v_or_b32_e32 v7, 0x70000000, v7
	s_delay_alu instid0(VALU_DEP_1) | instskip(NEXT) | instid1(VALU_DEP_1)
	v_mul_f32_e32 v7, 0x7800000, v7
	v_cndmask_b32_e32 v5, v7, v8, vcc_lo
	s_delay_alu instid0(VALU_DEP_1) | instskip(NEXT) | instid1(VALU_DEP_1)
	v_and_or_b32 v5, 0x80000000, v6, v5
	v_cvt_i32_f32_e32 v7, v5
	v_add_co_u32 v5, vcc_lo, v27, s6
	v_add_co_ci_u32_e32 v6, vcc_lo, s7, v28, vcc_lo
	global_store_b8 v[5:6], v7, off
	s_or_b32 exec_lo, exec_lo, s0
	s_delay_alu instid0(SALU_CYCLE_1)
	s_mov_b32 s0, exec_lo
	v_cmpx_gt_u64_e64 s[2:3], v[3:4]
	s_cbranch_execz .LBB170_19
.LBB170_23:                             ;   in Loop: Header=BB170_9 Depth=1
	s_waitcnt vmcnt(0)
	v_lshlrev_b16 v4, 8, v32
	s_delay_alu instid0(VALU_DEP_1) | instskip(SKIP_2) | instid1(VALU_DEP_3)
	v_and_or_b32 v6, 0x7f00, v4, 0.5
	v_lshlrev_b32_e32 v3, 25, v32
	v_bfe_i32 v4, v4, 0, 16
	v_add_f32_e32 v6, -0.5, v6
	s_delay_alu instid0(VALU_DEP_3) | instskip(SKIP_1) | instid1(VALU_DEP_2)
	v_lshrrev_b32_e32 v5, 4, v3
	v_cmp_gt_u32_e32 vcc_lo, 0x8000000, v3
	v_or_b32_e32 v5, 0x70000000, v5
	s_delay_alu instid0(VALU_DEP_1) | instskip(NEXT) | instid1(VALU_DEP_1)
	v_mul_f32_e32 v5, 0x7800000, v5
	v_cndmask_b32_e32 v3, v5, v6, vcc_lo
	s_delay_alu instid0(VALU_DEP_1) | instskip(NEXT) | instid1(VALU_DEP_1)
	v_and_or_b32 v3, 0x80000000, v4, v3
	v_cvt_i32_f32_e32 v5, v3
	v_add_co_u32 v3, vcc_lo, v21, s6
	v_add_co_ci_u32_e32 v4, vcc_lo, s7, v22, vcc_lo
	global_store_b8 v[3:4], v5, off
	s_or_b32 exec_lo, exec_lo, s0
	s_delay_alu instid0(SALU_CYCLE_1)
	s_mov_b32 s0, exec_lo
	v_cmpx_gt_u64_e64 s[2:3], v[1:2]
	s_cbranch_execz .LBB170_8
.LBB170_24:                             ;   in Loop: Header=BB170_9 Depth=1
	s_waitcnt vmcnt(0)
	v_lshlrev_b16 v2, 8, v31
	s_delay_alu instid0(VALU_DEP_1) | instskip(SKIP_2) | instid1(VALU_DEP_3)
	v_and_or_b32 v4, 0x7f00, v2, 0.5
	v_lshlrev_b32_e32 v1, 25, v31
	v_bfe_i32 v2, v2, 0, 16
	v_add_f32_e32 v4, -0.5, v4
	s_delay_alu instid0(VALU_DEP_3) | instskip(SKIP_1) | instid1(VALU_DEP_2)
	v_lshrrev_b32_e32 v3, 4, v1
	v_cmp_gt_u32_e32 vcc_lo, 0x8000000, v1
	v_or_b32_e32 v3, 0x70000000, v3
	s_delay_alu instid0(VALU_DEP_1) | instskip(NEXT) | instid1(VALU_DEP_1)
	v_mul_f32_e32 v3, 0x7800000, v3
	v_cndmask_b32_e32 v1, v3, v4, vcc_lo
	s_delay_alu instid0(VALU_DEP_1) | instskip(NEXT) | instid1(VALU_DEP_1)
	v_and_or_b32 v1, 0x80000000, v2, v1
	v_cvt_i32_f32_e32 v3, v1
	v_add_co_u32 v1, vcc_lo, v15, s6
	v_add_co_ci_u32_e32 v2, vcc_lo, s7, v16, vcc_lo
	global_store_b8 v[1:2], v3, off
	s_branch .LBB170_8
.LBB170_25:
	s_nop 0
	s_sendmsg sendmsg(MSG_DEALLOC_VGPRS)
	s_endpgm
	.section	.rodata,"a",@progbits
	.p2align	6, 0x0
	.amdhsa_kernel _ZN2at6native12_GLOBAL__N_125multi_tensor_apply_kernelINS1_18TensorListMetadataILi2EEENS1_11CopyFunctorIhN3c1011Float8_e5m2ELi2ELi1ELi1EEEJNS0_4CopyIhS7_EEEEEvT_T0_DpT1_
		.amdhsa_group_segment_fixed_size 0
		.amdhsa_private_segment_fixed_size 0
		.amdhsa_kernarg_size 3408
		.amdhsa_user_sgpr_count 15
		.amdhsa_user_sgpr_dispatch_ptr 0
		.amdhsa_user_sgpr_queue_ptr 0
		.amdhsa_user_sgpr_kernarg_segment_ptr 1
		.amdhsa_user_sgpr_dispatch_id 0
		.amdhsa_user_sgpr_private_segment_size 0
		.amdhsa_wavefront_size32 1
		.amdhsa_uses_dynamic_stack 0
		.amdhsa_enable_private_segment 0
		.amdhsa_system_sgpr_workgroup_id_x 1
		.amdhsa_system_sgpr_workgroup_id_y 0
		.amdhsa_system_sgpr_workgroup_id_z 0
		.amdhsa_system_sgpr_workgroup_info 0
		.amdhsa_system_vgpr_workitem_id 0
		.amdhsa_next_free_vgpr 37
		.amdhsa_next_free_sgpr 20
		.amdhsa_reserve_vcc 1
		.amdhsa_float_round_mode_32 0
		.amdhsa_float_round_mode_16_64 0
		.amdhsa_float_denorm_mode_32 3
		.amdhsa_float_denorm_mode_16_64 3
		.amdhsa_dx10_clamp 1
		.amdhsa_ieee_mode 1
		.amdhsa_fp16_overflow 0
		.amdhsa_workgroup_processor_mode 1
		.amdhsa_memory_ordered 1
		.amdhsa_forward_progress 0
		.amdhsa_shared_vgpr_count 0
		.amdhsa_exception_fp_ieee_invalid_op 0
		.amdhsa_exception_fp_denorm_src 0
		.amdhsa_exception_fp_ieee_div_zero 0
		.amdhsa_exception_fp_ieee_overflow 0
		.amdhsa_exception_fp_ieee_underflow 0
		.amdhsa_exception_fp_ieee_inexact 0
		.amdhsa_exception_int_div_zero 0
	.end_amdhsa_kernel
	.section	.text._ZN2at6native12_GLOBAL__N_125multi_tensor_apply_kernelINS1_18TensorListMetadataILi2EEENS1_11CopyFunctorIhN3c1011Float8_e5m2ELi2ELi1ELi1EEEJNS0_4CopyIhS7_EEEEEvT_T0_DpT1_,"axG",@progbits,_ZN2at6native12_GLOBAL__N_125multi_tensor_apply_kernelINS1_18TensorListMetadataILi2EEENS1_11CopyFunctorIhN3c1011Float8_e5m2ELi2ELi1ELi1EEEJNS0_4CopyIhS7_EEEEEvT_T0_DpT1_,comdat
.Lfunc_end170:
	.size	_ZN2at6native12_GLOBAL__N_125multi_tensor_apply_kernelINS1_18TensorListMetadataILi2EEENS1_11CopyFunctorIhN3c1011Float8_e5m2ELi2ELi1ELi1EEEJNS0_4CopyIhS7_EEEEEvT_T0_DpT1_, .Lfunc_end170-_ZN2at6native12_GLOBAL__N_125multi_tensor_apply_kernelINS1_18TensorListMetadataILi2EEENS1_11CopyFunctorIhN3c1011Float8_e5m2ELi2ELi1ELi1EEEJNS0_4CopyIhS7_EEEEEvT_T0_DpT1_
                                        ; -- End function
	.section	.AMDGPU.csdata,"",@progbits
; Kernel info:
; codeLenInByte = 2120
; NumSgprs: 22
; NumVgprs: 37
; ScratchSize: 0
; MemoryBound: 0
; FloatMode: 240
; IeeeMode: 1
; LDSByteSize: 0 bytes/workgroup (compile time only)
; SGPRBlocks: 2
; VGPRBlocks: 4
; NumSGPRsForWavesPerEU: 22
; NumVGPRsForWavesPerEU: 37
; Occupancy: 16
; WaveLimiterHint : 0
; COMPUTE_PGM_RSRC2:SCRATCH_EN: 0
; COMPUTE_PGM_RSRC2:USER_SGPR: 15
; COMPUTE_PGM_RSRC2:TRAP_HANDLER: 0
; COMPUTE_PGM_RSRC2:TGID_X_EN: 1
; COMPUTE_PGM_RSRC2:TGID_Y_EN: 0
; COMPUTE_PGM_RSRC2:TGID_Z_EN: 0
; COMPUTE_PGM_RSRC2:TIDIG_COMP_CNT: 0
	.section	.text._ZN2at6native12_GLOBAL__N_125multi_tensor_apply_kernelINS1_18TensorListMetadataILi2EEENS1_11CopyFunctorIhN3c1015Float8_e5m2fnuzELi2ELi1ELi1EEEJNS0_4CopyIhS7_EEEEEvT_T0_DpT1_,"axG",@progbits,_ZN2at6native12_GLOBAL__N_125multi_tensor_apply_kernelINS1_18TensorListMetadataILi2EEENS1_11CopyFunctorIhN3c1015Float8_e5m2fnuzELi2ELi1ELi1EEEJNS0_4CopyIhS7_EEEEEvT_T0_DpT1_,comdat
	.globl	_ZN2at6native12_GLOBAL__N_125multi_tensor_apply_kernelINS1_18TensorListMetadataILi2EEENS1_11CopyFunctorIhN3c1015Float8_e5m2fnuzELi2ELi1ELi1EEEJNS0_4CopyIhS7_EEEEEvT_T0_DpT1_ ; -- Begin function _ZN2at6native12_GLOBAL__N_125multi_tensor_apply_kernelINS1_18TensorListMetadataILi2EEENS1_11CopyFunctorIhN3c1015Float8_e5m2fnuzELi2ELi1ELi1EEEJNS0_4CopyIhS7_EEEEEvT_T0_DpT1_
	.p2align	8
	.type	_ZN2at6native12_GLOBAL__N_125multi_tensor_apply_kernelINS1_18TensorListMetadataILi2EEENS1_11CopyFunctorIhN3c1015Float8_e5m2fnuzELi2ELi1ELi1EEEJNS0_4CopyIhS7_EEEEEvT_T0_DpT1_,@function
_ZN2at6native12_GLOBAL__N_125multi_tensor_apply_kernelINS1_18TensorListMetadataILi2EEENS1_11CopyFunctorIhN3c1015Float8_e5m2fnuzELi2ELi1ELi1EEEJNS0_4CopyIhS7_EEEEEvT_T0_DpT1_: ; @_ZN2at6native12_GLOBAL__N_125multi_tensor_apply_kernelINS1_18TensorListMetadataILi2EEENS1_11CopyFunctorIhN3c1015Float8_e5m2fnuzELi2ELi1ELi1EEEJNS0_4CopyIhS7_EEEEEvT_T0_DpT1_
; %bb.0:
	v_mov_b32_e32 v1, s15
	s_add_u32 s2, s0, s15
	s_mul_i32 s4, s15, 3
	s_addc_u32 s3, s1, 0
	s_mul_hi_u32 s5, s15, 3
	global_load_u8 v1, v1, s[0:1] offset:1536
	s_add_u32 s2, s2, s4
	s_addc_u32 s3, s3, s5
	s_load_b32 s2, s[2:3], 0x740
	s_waitcnt vmcnt(0)
	v_readfirstlane_b32 s4, v1
	s_delay_alu instid0(VALU_DEP_1)
	s_lshl_b32 s3, s4, 3
	s_clause 0x2
	s_load_b64 s[6:7], s[0:1], s3 offset:0x0
	s_load_b64 s[8:9], s[0:1], s3 offset:0x200
	;; [unrolled: 1-line block ×3, first 2 shown]
	s_waitcnt lgkmcnt(0)
	s_ashr_i32 s3, s2, 31
	s_delay_alu instid0(SALU_CYCLE_1) | instskip(NEXT) | instid1(SALU_CYCLE_1)
	s_lshl_b64 s[10:11], s[2:3], 16
	s_add_u32 s3, s6, s10
	s_addc_u32 s14, s7, s11
	s_add_u32 s12, s8, s10
	s_addc_u32 s13, s9, s11
	s_delay_alu instid0(SALU_CYCLE_1) | instskip(NEXT) | instid1(SALU_CYCLE_1)
	s_or_b64 s[16:17], s[4:5], s[12:13]
	s_or_b32 s2, s3, s16
	s_delay_alu instid0(SALU_CYCLE_1)
	s_and_b32 s2, s2, 3
	s_sub_u32 s4, s4, s10
	s_subb_u32 s5, s5, s11
	s_cmp_eq_u32 s2, 0
	s_mov_b32 s2, -1
	s_cbranch_scc0 .LBB171_29
; %bb.1:
	v_dual_mov_b32 v2, 0 :: v_dual_lshlrev_b32 v1, 2, v0
	s_mov_b32 s15, exec_lo
	s_delay_alu instid0(VALU_DEP_1)
	v_cmpx_gt_i64_e64 s[4:5], v[1:2]
	s_cbranch_execz .LBB171_28
; %bb.2:
	s_load_b32 s2, s[0:1], 0xc5c
	s_mov_b32 s17, 0
	s_waitcnt lgkmcnt(0)
	s_and_b32 s2, s2, 0xffff
	s_delay_alu instid0(SALU_CYCLE_1)
	s_lshl_b32 s16, s2, 2
	s_branch .LBB171_4
.LBB171_3:                              ;   in Loop: Header=BB171_4 Depth=1
	s_or_b32 exec_lo, exec_lo, s18
	v_add_co_u32 v3, vcc_lo, s12, v1
	v_lshlrev_b16 v5, 8, v5
	v_and_b32_e32 v7, 0xff, v4
	v_lshlrev_b16 v8, 8, v8
	v_and_b32_e32 v6, 0xff, v6
	v_add_co_ci_u32_e32 v4, vcc_lo, s13, v2, vcc_lo
	v_add_co_u32 v1, vcc_lo, s16, v1
	v_add_co_ci_u32_e32 v2, vcc_lo, 0, v2, vcc_lo
	v_or_b32_e32 v5, v7, v5
	v_or_b32_e32 v6, v6, v8
	s_delay_alu instid0(VALU_DEP_3) | instskip(SKIP_1) | instid1(VALU_DEP_4)
	v_cmp_le_i64_e32 vcc_lo, s[4:5], v[1:2]
	v_cmp_lt_u64_e64 s2, 0xffff, v[1:2]
	v_and_b32_e32 v5, 0xffff, v5
	s_delay_alu instid0(VALU_DEP_4) | instskip(NEXT) | instid1(VALU_DEP_3)
	v_lshlrev_b32_e32 v6, 16, v6
	s_or_b32 s2, vcc_lo, s2
	s_delay_alu instid0(VALU_DEP_1) | instskip(SKIP_1) | instid1(SALU_CYCLE_1)
	v_or_b32_e32 v5, v5, v6
	s_and_b32 s2, exec_lo, s2
	s_or_b32 s17, s2, s17
	global_store_b32 v[3:4], v5, off
	s_and_not1_b32 exec_lo, exec_lo, s17
	s_cbranch_execz .LBB171_28
.LBB171_4:                              ; =>This Inner Loop Header: Depth=1
	v_add_co_u32 v3, vcc_lo, s3, v1
	v_add_co_ci_u32_e32 v4, vcc_lo, s14, v2, vcc_lo
	s_mov_b32 s2, 0
	s_mov_b32 s18, exec_lo
                                        ; implicit-def: $sgpr19
	global_load_b32 v3, v[3:4], off
	s_waitcnt vmcnt(0)
	v_and_b32_e32 v5, 0xff, v3
	s_delay_alu instid0(VALU_DEP_1)
	v_cmpx_lt_i16_e32 0x7f, v5
	s_xor_b32 s18, exec_lo, s18
	s_cbranch_execnz .LBB171_19
; %bb.5:                                ;   in Loop: Header=BB171_4 Depth=1
	s_or_saveexec_b32 s18, s18
	v_mov_b32_e32 v4, s19
	s_xor_b32 exec_lo, exec_lo, s18
	s_cbranch_execnz .LBB171_20
.LBB171_6:                              ;   in Loop: Header=BB171_4 Depth=1
	s_or_b32 exec_lo, exec_lo, s18
	s_and_saveexec_b32 s18, s2
	s_cbranch_execz .LBB171_8
.LBB171_7:                              ;   in Loop: Header=BB171_4 Depth=1
	v_bfe_u32 v7, v3, 2, 5
	v_lshlrev_b32_e32 v8, 24, v3
	s_delay_alu instid0(VALU_DEP_2) | instskip(SKIP_1) | instid1(VALU_DEP_1)
	v_cmp_eq_u32_e32 vcc_lo, 0, v7
	v_and_b32_e32 v4, 3, v3
	v_clz_i32_u32_e32 v5, v4
	s_delay_alu instid0(VALU_DEP_1) | instskip(NEXT) | instid1(VALU_DEP_1)
	v_min_u32_e32 v5, 32, v5
	v_subrev_nc_u32_e32 v6, 29, v5
	v_sub_nc_u32_e32 v5, 30, v5
	s_delay_alu instid0(VALU_DEP_1) | instskip(NEXT) | instid1(VALU_DEP_1)
	v_dual_cndmask_b32 v5, v7, v5 :: v_dual_lshlrev_b32 v6, v6, v3
	v_and_b32_e32 v6, 3, v6
	s_delay_alu instid0(VALU_DEP_2) | instskip(NEXT) | instid1(VALU_DEP_2)
	v_lshl_add_u32 v5, v5, 23, 0x37800000
	v_cndmask_b32_e32 v4, v4, v6, vcc_lo
	v_and_b32_e32 v6, 0x80000000, v8
	s_delay_alu instid0(VALU_DEP_2) | instskip(NEXT) | instid1(VALU_DEP_1)
	v_lshlrev_b32_e32 v4, 21, v4
	v_or3_b32 v4, v6, v5, v4
	s_delay_alu instid0(VALU_DEP_1)
	v_cvt_i32_f32_e32 v4, v4
.LBB171_8:                              ;   in Loop: Header=BB171_4 Depth=1
	s_or_b32 exec_lo, exec_lo, s18
	v_lshrrev_b32_e32 v6, 8, v3
	s_mov_b32 s2, 0
	s_mov_b32 s18, exec_lo
                                        ; implicit-def: $sgpr19
	s_delay_alu instid0(VALU_DEP_1) | instskip(NEXT) | instid1(VALU_DEP_1)
	v_and_b32_e32 v7, 0xff, v6
	v_cmpx_lt_i16_e32 0x7f, v7
	s_xor_b32 s18, exec_lo, s18
	s_cbranch_execnz .LBB171_21
; %bb.9:                                ;   in Loop: Header=BB171_4 Depth=1
	s_or_saveexec_b32 s18, s18
	v_mov_b32_e32 v5, s19
	s_xor_b32 exec_lo, exec_lo, s18
	s_cbranch_execnz .LBB171_22
.LBB171_10:                             ;   in Loop: Header=BB171_4 Depth=1
	s_or_b32 exec_lo, exec_lo, s18
	s_and_saveexec_b32 s18, s2
	s_cbranch_execz .LBB171_12
.LBB171_11:                             ;   in Loop: Header=BB171_4 Depth=1
	v_bfe_u32 v5, v3, 8, 2
	v_bfe_u32 v9, v3, 10, 5
	s_delay_alu instid0(VALU_DEP_2) | instskip(NEXT) | instid1(VALU_DEP_2)
	v_clz_i32_u32_e32 v7, v5
	v_cmp_eq_u32_e32 vcc_lo, 0, v9
	s_delay_alu instid0(VALU_DEP_2) | instskip(NEXT) | instid1(VALU_DEP_1)
	v_min_u32_e32 v7, 32, v7
	v_subrev_nc_u32_e32 v8, 29, v7
	v_sub_nc_u32_e32 v7, 30, v7
	s_delay_alu instid0(VALU_DEP_1) | instskip(NEXT) | instid1(VALU_DEP_1)
	v_dual_cndmask_b32 v7, v9, v7 :: v_dual_lshlrev_b32 v8, v8, v6
	v_and_b32_e32 v8, 3, v8
	v_lshlrev_b32_e32 v6, 24, v6
	s_delay_alu instid0(VALU_DEP_3) | instskip(NEXT) | instid1(VALU_DEP_2)
	v_lshl_add_u32 v7, v7, 23, 0x37800000
	v_dual_cndmask_b32 v5, v5, v8 :: v_dual_and_b32 v6, 0x80000000, v6
	s_delay_alu instid0(VALU_DEP_1) | instskip(NEXT) | instid1(VALU_DEP_1)
	v_lshlrev_b32_e32 v5, 21, v5
	v_or3_b32 v5, v6, v7, v5
	s_delay_alu instid0(VALU_DEP_1)
	v_cvt_i32_f32_e32 v5, v5
.LBB171_12:                             ;   in Loop: Header=BB171_4 Depth=1
	s_or_b32 exec_lo, exec_lo, s18
	v_lshrrev_b32_e32 v7, 16, v3
	s_mov_b32 s2, 0
	s_mov_b32 s18, exec_lo
                                        ; implicit-def: $sgpr19
	s_delay_alu instid0(VALU_DEP_1) | instskip(NEXT) | instid1(VALU_DEP_1)
	v_and_b32_e32 v8, 0xff, v7
	v_cmpx_lt_i16_e32 0x7f, v8
	s_xor_b32 s18, exec_lo, s18
	s_cbranch_execnz .LBB171_23
; %bb.13:                               ;   in Loop: Header=BB171_4 Depth=1
	s_or_saveexec_b32 s18, s18
	v_mov_b32_e32 v6, s19
	s_xor_b32 exec_lo, exec_lo, s18
	s_cbranch_execnz .LBB171_24
.LBB171_14:                             ;   in Loop: Header=BB171_4 Depth=1
	s_or_b32 exec_lo, exec_lo, s18
	s_and_saveexec_b32 s18, s2
	s_cbranch_execz .LBB171_16
.LBB171_15:                             ;   in Loop: Header=BB171_4 Depth=1
	v_bfe_u32 v6, v3, 16, 2
	v_bfe_u32 v10, v3, 18, 5
	s_delay_alu instid0(VALU_DEP_2) | instskip(NEXT) | instid1(VALU_DEP_2)
	v_clz_i32_u32_e32 v8, v6
	v_cmp_eq_u32_e32 vcc_lo, 0, v10
	s_delay_alu instid0(VALU_DEP_2) | instskip(NEXT) | instid1(VALU_DEP_1)
	v_min_u32_e32 v8, 32, v8
	v_subrev_nc_u32_e32 v9, 29, v8
	v_sub_nc_u32_e32 v8, 30, v8
	s_delay_alu instid0(VALU_DEP_1) | instskip(NEXT) | instid1(VALU_DEP_1)
	v_dual_cndmask_b32 v8, v10, v8 :: v_dual_lshlrev_b32 v9, v9, v7
	v_and_b32_e32 v9, 3, v9
	v_lshlrev_b32_e32 v7, 24, v7
	s_delay_alu instid0(VALU_DEP_3) | instskip(NEXT) | instid1(VALU_DEP_2)
	v_lshl_add_u32 v8, v8, 23, 0x37800000
	v_dual_cndmask_b32 v6, v6, v9 :: v_dual_and_b32 v7, 0x80000000, v7
	s_delay_alu instid0(VALU_DEP_1) | instskip(NEXT) | instid1(VALU_DEP_1)
	v_lshlrev_b32_e32 v6, 21, v6
	v_or3_b32 v6, v7, v8, v6
	s_delay_alu instid0(VALU_DEP_1)
	v_cvt_i32_f32_e32 v6, v6
.LBB171_16:                             ;   in Loop: Header=BB171_4 Depth=1
	s_or_b32 exec_lo, exec_lo, s18
	v_lshrrev_b32_e32 v7, 24, v3
	s_mov_b32 s2, 0
	s_mov_b32 s18, exec_lo
                                        ; implicit-def: $sgpr19
	s_delay_alu instid0(VALU_DEP_1)
	v_cmpx_lt_i16_e32 0x7f, v7
	s_xor_b32 s18, exec_lo, s18
	s_cbranch_execnz .LBB171_25
; %bb.17:                               ;   in Loop: Header=BB171_4 Depth=1
	s_or_saveexec_b32 s18, s18
	v_mov_b32_e32 v8, s19
	s_xor_b32 exec_lo, exec_lo, s18
	s_cbranch_execnz .LBB171_26
.LBB171_18:                             ;   in Loop: Header=BB171_4 Depth=1
	s_or_b32 exec_lo, exec_lo, s18
	s_and_saveexec_b32 s18, s2
	s_cbranch_execz .LBB171_3
	s_branch .LBB171_27
.LBB171_19:                             ;   in Loop: Header=BB171_4 Depth=1
	v_cmp_ne_u16_e32 vcc_lo, 0x80, v5
	s_mov_b32 s19, 0
                                        ; implicit-def: $vgpr5
	s_and_b32 s2, vcc_lo, exec_lo
	s_or_saveexec_b32 s18, s18
	v_mov_b32_e32 v4, s19
	s_xor_b32 exec_lo, exec_lo, s18
	s_cbranch_execz .LBB171_6
.LBB171_20:                             ;   in Loop: Header=BB171_4 Depth=1
	v_cmp_ne_u16_e32 vcc_lo, 0, v5
	v_mov_b32_e32 v4, 0
	s_and_not1_b32 s2, s2, exec_lo
	s_and_b32 s19, vcc_lo, exec_lo
	s_delay_alu instid0(SALU_CYCLE_1)
	s_or_b32 s2, s2, s19
	s_or_b32 exec_lo, exec_lo, s18
	s_and_saveexec_b32 s18, s2
	s_cbranch_execnz .LBB171_7
	s_branch .LBB171_8
.LBB171_21:                             ;   in Loop: Header=BB171_4 Depth=1
	v_cmp_ne_u16_e32 vcc_lo, 0x80, v7
	s_mov_b32 s19, 0
                                        ; implicit-def: $vgpr7
	s_and_b32 s2, vcc_lo, exec_lo
	s_or_saveexec_b32 s18, s18
	v_mov_b32_e32 v5, s19
	s_xor_b32 exec_lo, exec_lo, s18
	s_cbranch_execz .LBB171_10
.LBB171_22:                             ;   in Loop: Header=BB171_4 Depth=1
	v_cmp_ne_u16_e32 vcc_lo, 0, v7
	v_mov_b32_e32 v5, 0
	s_and_not1_b32 s2, s2, exec_lo
	s_and_b32 s19, vcc_lo, exec_lo
	s_delay_alu instid0(SALU_CYCLE_1)
	s_or_b32 s2, s2, s19
	s_or_b32 exec_lo, exec_lo, s18
	s_and_saveexec_b32 s18, s2
	s_cbranch_execnz .LBB171_11
	s_branch .LBB171_12
.LBB171_23:                             ;   in Loop: Header=BB171_4 Depth=1
	v_cmp_ne_u16_e32 vcc_lo, 0x80, v8
	s_mov_b32 s19, 0
                                        ; implicit-def: $vgpr8
	s_and_b32 s2, vcc_lo, exec_lo
	s_or_saveexec_b32 s18, s18
	v_mov_b32_e32 v6, s19
	s_xor_b32 exec_lo, exec_lo, s18
	s_cbranch_execz .LBB171_14
.LBB171_24:                             ;   in Loop: Header=BB171_4 Depth=1
	v_cmp_ne_u16_e32 vcc_lo, 0, v8
	v_mov_b32_e32 v6, 0
	s_and_not1_b32 s2, s2, exec_lo
	s_and_b32 s19, vcc_lo, exec_lo
	s_delay_alu instid0(SALU_CYCLE_1)
	s_or_b32 s2, s2, s19
	s_or_b32 exec_lo, exec_lo, s18
	s_and_saveexec_b32 s18, s2
	s_cbranch_execnz .LBB171_15
	s_branch .LBB171_16
.LBB171_25:                             ;   in Loop: Header=BB171_4 Depth=1
	v_cmp_ne_u16_e32 vcc_lo, 0x80, v7
	s_mov_b32 s19, 0
	s_and_b32 s2, vcc_lo, exec_lo
	s_or_saveexec_b32 s18, s18
	v_mov_b32_e32 v8, s19
	s_xor_b32 exec_lo, exec_lo, s18
	s_cbranch_execz .LBB171_18
.LBB171_26:                             ;   in Loop: Header=BB171_4 Depth=1
	v_cmp_ne_u16_e32 vcc_lo, 0, v7
	v_mov_b32_e32 v8, 0
	s_and_not1_b32 s2, s2, exec_lo
	s_and_b32 s19, vcc_lo, exec_lo
	s_delay_alu instid0(SALU_CYCLE_1)
	s_or_b32 s2, s2, s19
	s_or_b32 exec_lo, exec_lo, s18
	s_and_saveexec_b32 s18, s2
	s_cbranch_execz .LBB171_3
.LBB171_27:                             ;   in Loop: Header=BB171_4 Depth=1
	v_bfe_u32 v8, v3, 24, 2
	s_delay_alu instid0(VALU_DEP_1) | instskip(NEXT) | instid1(VALU_DEP_1)
	v_clz_i32_u32_e32 v9, v8
	v_min_u32_e32 v9, 32, v9
	s_delay_alu instid0(VALU_DEP_1) | instskip(SKIP_1) | instid1(VALU_DEP_2)
	v_subrev_nc_u32_e32 v10, 29, v9
	v_sub_nc_u32_e32 v9, 30, v9
	v_lshlrev_b32_e32 v7, v10, v7
	v_bfe_u32 v10, v3, 26, 5
	v_and_b32_e32 v3, 0x80000000, v3
	s_delay_alu instid0(VALU_DEP_3) | instskip(NEXT) | instid1(VALU_DEP_3)
	v_and_b32_e32 v7, 3, v7
	v_cmp_eq_u32_e32 vcc_lo, 0, v10
	v_cndmask_b32_e32 v9, v10, v9, vcc_lo
	s_delay_alu instid0(VALU_DEP_3) | instskip(NEXT) | instid1(VALU_DEP_2)
	v_cndmask_b32_e32 v7, v8, v7, vcc_lo
	v_lshl_add_u32 v8, v9, 23, 0x37800000
	s_delay_alu instid0(VALU_DEP_2) | instskip(NEXT) | instid1(VALU_DEP_1)
	v_lshlrev_b32_e32 v7, 21, v7
	v_or3_b32 v3, v3, v8, v7
	s_delay_alu instid0(VALU_DEP_1)
	v_cvt_i32_f32_e32 v8, v3
	s_branch .LBB171_3
.LBB171_28:
	s_or_b32 exec_lo, exec_lo, s15
	s_mov_b32 s2, 0
.LBB171_29:
	s_delay_alu instid0(SALU_CYCLE_1)
	s_and_not1_b32 vcc_lo, exec_lo, s2
	s_cbranch_vccnz .LBB171_73
; %bb.30:
	v_cmp_lt_i64_e64 s2, s[4:5], 1
	s_delay_alu instid0(VALU_DEP_1)
	s_and_b32 vcc_lo, exec_lo, s2
	s_cbranch_vccnz .LBB171_73
; %bb.31:
	s_load_b32 s0, s[0:1], 0xc5c
	v_add_co_u32 v1, s1, s10, v0
	s_delay_alu instid0(VALU_DEP_1) | instskip(SKIP_1) | instid1(VALU_DEP_3)
	v_add_co_ci_u32_e64 v2, null, s11, 0, s1
	v_cmp_gt_u64_e64 s1, 0x10000, s[4:5]
	v_add_co_u32 v9, vcc_lo, s6, v1
	s_delay_alu instid0(VALU_DEP_3)
	v_add_co_ci_u32_e32 v10, vcc_lo, s7, v2, vcc_lo
	v_add_co_u32 v11, vcc_lo, s8, v1
	v_add_co_ci_u32_e32 v12, vcc_lo, s9, v2, vcc_lo
                                        ; implicit-def: $vgpr31
                                        ; implicit-def: $vgpr32
                                        ; implicit-def: $vgpr33
                                        ; implicit-def: $vgpr34
	s_waitcnt lgkmcnt(0)
	s_and_b32 s0, s0, 0xffff
	s_and_b32 s1, s1, exec_lo
	s_mul_i32 s13, s0, 3
	s_cselect_b32 s3, s5, 0
	s_cselect_b32 s2, s4, 0x10000
	s_lshl_b32 s12, s0, 1
	s_lshl_b32 s1, s0, 2
	s_add_u32 s14, s10, s13
	s_addc_u32 s15, s11, 0
	v_add_co_u32 v3, s14, s14, v0
	s_delay_alu instid0(VALU_DEP_1) | instskip(SKIP_1) | instid1(VALU_DEP_2)
	v_add_co_ci_u32_e64 v4, null, s15, 0, s14
	s_add_u32 s10, s10, s12
	v_add_co_u32 v13, vcc_lo, s6, v3
	s_delay_alu instid0(VALU_DEP_2)
	v_add_co_ci_u32_e32 v14, vcc_lo, s7, v4, vcc_lo
	v_add_co_u32 v15, vcc_lo, s8, v3
	s_addc_u32 s11, s11, 0
	v_add_co_u32 v3, s10, s10, v0
	v_add_co_ci_u32_e32 v16, vcc_lo, s9, v4, vcc_lo
	v_add_co_ci_u32_e64 v4, null, s11, 0, s10
	s_delay_alu instid0(VALU_DEP_3) | instskip(SKIP_1) | instid1(VALU_DEP_3)
	v_add_co_u32 v19, vcc_lo, s6, v3
	v_add_co_u32 v17, s10, s13, v0
	v_add_co_ci_u32_e32 v20, vcc_lo, s7, v4, vcc_lo
	v_add_co_u32 v21, vcc_lo, s8, v3
	v_add_co_ci_u32_e32 v22, vcc_lo, s9, v4, vcc_lo
	v_add_co_u32 v1, vcc_lo, v1, s0
	v_add_co_ci_u32_e32 v2, vcc_lo, 0, v2, vcc_lo
	v_add_co_ci_u32_e64 v18, null, 0, 0, s10
	s_delay_alu instid0(VALU_DEP_3) | instskip(NEXT) | instid1(VALU_DEP_3)
	v_add_co_u32 v25, vcc_lo, s6, v1
	v_add_co_ci_u32_e32 v26, vcc_lo, s7, v2, vcc_lo
	v_add_co_u32 v23, s10, s12, v0
	v_add_co_u32 v27, vcc_lo, s8, v1
	v_add_co_u32 v29, s0, v0, s0
	v_add_co_ci_u32_e64 v24, null, 0, 0, s10
	v_add_co_ci_u32_e32 v28, vcc_lo, s9, v2, vcc_lo
	v_add_co_ci_u32_e64 v30, null, 0, 0, s0
	s_mov_b64 s[6:7], 0
	s_branch .LBB171_33
.LBB171_32:                             ;   in Loop: Header=BB171_33 Depth=1
	s_or_b32 exec_lo, exec_lo, s0
	s_add_u32 s6, s6, s1
	s_addc_u32 s7, s7, 0
	s_delay_alu instid0(SALU_CYCLE_1) | instskip(SKIP_1) | instid1(VALU_DEP_1)
	v_cmp_ge_i64_e64 s0, s[6:7], s[4:5]
	v_cmp_lt_u64_e64 s8, 0xffff, s[6:7]
	s_or_b32 s0, s0, s8
	s_delay_alu instid0(SALU_CYCLE_1)
	s_and_b32 vcc_lo, exec_lo, s0
	s_cbranch_vccnz .LBB171_73
.LBB171_33:                             ; =>This Inner Loop Header: Depth=1
	v_add_co_u32 v1, s0, v0, s6
	s_delay_alu instid0(VALU_DEP_1) | instskip(NEXT) | instid1(VALU_DEP_1)
	v_add_co_ci_u32_e64 v2, null, 0, s7, s0
	v_cmp_gt_i64_e32 vcc_lo, s[4:5], v[1:2]
	v_cmp_gt_u64_e64 s0, 0x10000, v[1:2]
	s_delay_alu instid0(VALU_DEP_1) | instskip(NEXT) | instid1(SALU_CYCLE_1)
	s_and_b32 s8, vcc_lo, s0
	s_and_saveexec_b32 s0, s8
	s_cbranch_execz .LBB171_35
; %bb.34:                               ;   in Loop: Header=BB171_33 Depth=1
	v_add_co_u32 v3, vcc_lo, v9, s6
	v_add_co_ci_u32_e32 v4, vcc_lo, s7, v10, vcc_lo
	global_load_u8 v34, v[3:4], off
.LBB171_35:                             ;   in Loop: Header=BB171_33 Depth=1
	s_or_b32 exec_lo, exec_lo, s0
	v_add_co_u32 v3, vcc_lo, v29, s6
	v_add_co_ci_u32_e32 v4, vcc_lo, s7, v30, vcc_lo
	s_delay_alu instid0(VALU_DEP_1) | instskip(SKIP_1) | instid1(VALU_DEP_1)
	v_cmp_gt_i64_e32 vcc_lo, s[4:5], v[3:4]
	v_cmp_gt_u64_e64 s0, 0x10000, v[3:4]
	s_and_b32 s8, vcc_lo, s0
	s_delay_alu instid0(SALU_CYCLE_1)
	s_and_saveexec_b32 s0, s8
	s_cbranch_execz .LBB171_37
; %bb.36:                               ;   in Loop: Header=BB171_33 Depth=1
	v_add_co_u32 v5, vcc_lo, v25, s6
	v_add_co_ci_u32_e32 v6, vcc_lo, s7, v26, vcc_lo
	global_load_u8 v33, v[5:6], off
.LBB171_37:                             ;   in Loop: Header=BB171_33 Depth=1
	s_or_b32 exec_lo, exec_lo, s0
	v_add_co_u32 v5, vcc_lo, v23, s6
	v_add_co_ci_u32_e32 v6, vcc_lo, s7, v24, vcc_lo
	s_delay_alu instid0(VALU_DEP_1) | instskip(SKIP_1) | instid1(VALU_DEP_1)
	v_cmp_gt_i64_e32 vcc_lo, s[4:5], v[5:6]
	v_cmp_gt_u64_e64 s0, 0x10000, v[5:6]
	s_and_b32 s8, vcc_lo, s0
	s_delay_alu instid0(SALU_CYCLE_1)
	s_and_saveexec_b32 s0, s8
	s_cbranch_execz .LBB171_39
; %bb.38:                               ;   in Loop: Header=BB171_33 Depth=1
	v_add_co_u32 v7, vcc_lo, v19, s6
	v_add_co_ci_u32_e32 v8, vcc_lo, s7, v20, vcc_lo
	global_load_u8 v32, v[7:8], off
.LBB171_39:                             ;   in Loop: Header=BB171_33 Depth=1
	s_or_b32 exec_lo, exec_lo, s0
	v_add_co_u32 v7, vcc_lo, v17, s6
	v_add_co_ci_u32_e32 v8, vcc_lo, s7, v18, vcc_lo
	s_delay_alu instid0(VALU_DEP_1) | instskip(SKIP_1) | instid1(VALU_DEP_1)
	v_cmp_gt_i64_e32 vcc_lo, s[4:5], v[7:8]
	v_cmp_gt_u64_e64 s0, 0x10000, v[7:8]
	s_and_b32 s8, vcc_lo, s0
	s_delay_alu instid0(SALU_CYCLE_1)
	s_and_saveexec_b32 s0, s8
	s_cbranch_execz .LBB171_41
; %bb.40:                               ;   in Loop: Header=BB171_33 Depth=1
	v_add_co_u32 v35, vcc_lo, v13, s6
	v_add_co_ci_u32_e32 v36, vcc_lo, s7, v14, vcc_lo
	global_load_u8 v31, v[35:36], off
.LBB171_41:                             ;   in Loop: Header=BB171_33 Depth=1
	s_or_b32 exec_lo, exec_lo, s0
	s_waitcnt vmcnt(0)
	v_and_b32_e32 v36, 0xff, v34
	s_mov_b32 s0, 0
	s_mov_b32 s8, exec_lo
                                        ; implicit-def: $sgpr9
	s_delay_alu instid0(VALU_DEP_1)
	v_cmpx_lt_i16_e32 0x7f, v36
	s_xor_b32 s8, exec_lo, s8
	s_cbranch_execnz .LBB171_61
; %bb.42:                               ;   in Loop: Header=BB171_33 Depth=1
	s_or_saveexec_b32 s8, s8
	v_mov_b32_e32 v35, s9
	s_xor_b32 exec_lo, exec_lo, s8
	s_cbranch_execnz .LBB171_62
.LBB171_43:                             ;   in Loop: Header=BB171_33 Depth=1
	s_or_b32 exec_lo, exec_lo, s8
	s_and_saveexec_b32 s8, s0
	s_cbranch_execz .LBB171_45
.LBB171_44:                             ;   in Loop: Header=BB171_33 Depth=1
	v_lshrrev_b16 v38, 2, v34
	v_lshlrev_b32_e32 v39, 24, v34
	s_delay_alu instid0(VALU_DEP_2) | instskip(NEXT) | instid1(VALU_DEP_1)
	v_and_b32_e32 v38, 31, v38
	v_cmp_eq_u32_e32 vcc_lo, 0, v38
	v_and_b32_e32 v35, 3, v34
	s_delay_alu instid0(VALU_DEP_1) | instskip(NEXT) | instid1(VALU_DEP_1)
	v_clz_i32_u32_e32 v36, v35
	v_min_u32_e32 v36, 32, v36
	s_delay_alu instid0(VALU_DEP_1) | instskip(SKIP_1) | instid1(VALU_DEP_1)
	v_subrev_nc_u32_e32 v37, 29, v36
	v_sub_nc_u32_e32 v36, 30, v36
	v_dual_cndmask_b32 v36, v38, v36 :: v_dual_lshlrev_b32 v37, v37, v34
	s_delay_alu instid0(VALU_DEP_1) | instskip(NEXT) | instid1(VALU_DEP_2)
	v_and_b32_e32 v37, 3, v37
	v_lshl_add_u32 v36, v36, 23, 0x37800000
	s_delay_alu instid0(VALU_DEP_2) | instskip(SKIP_1) | instid1(VALU_DEP_2)
	v_cndmask_b32_e32 v35, v35, v37, vcc_lo
	v_and_b32_e32 v37, 0x80000000, v39
	v_lshlrev_b32_e32 v35, 21, v35
	s_delay_alu instid0(VALU_DEP_1) | instskip(NEXT) | instid1(VALU_DEP_1)
	v_or3_b32 v35, v37, v36, v35
	v_cvt_i32_f32_e32 v35, v35
.LBB171_45:                             ;   in Loop: Header=BB171_33 Depth=1
	s_or_b32 exec_lo, exec_lo, s8
	v_and_b32_e32 v37, 0xff, v33
	s_mov_b32 s0, 0
	s_mov_b32 s8, exec_lo
                                        ; implicit-def: $sgpr9
	s_delay_alu instid0(VALU_DEP_1)
	v_cmpx_lt_i16_e32 0x7f, v37
	s_xor_b32 s8, exec_lo, s8
	s_cbranch_execnz .LBB171_63
; %bb.46:                               ;   in Loop: Header=BB171_33 Depth=1
	s_or_saveexec_b32 s8, s8
	v_mov_b32_e32 v36, s9
	s_xor_b32 exec_lo, exec_lo, s8
	s_cbranch_execnz .LBB171_64
.LBB171_47:                             ;   in Loop: Header=BB171_33 Depth=1
	s_or_b32 exec_lo, exec_lo, s8
	s_and_saveexec_b32 s8, s0
	s_cbranch_execz .LBB171_49
.LBB171_48:                             ;   in Loop: Header=BB171_33 Depth=1
	v_and_b32_e32 v36, 3, v33
	v_lshrrev_b16 v39, 2, v33
	v_lshlrev_b32_e32 v40, 24, v33
	s_delay_alu instid0(VALU_DEP_3) | instskip(NEXT) | instid1(VALU_DEP_1)
	v_clz_i32_u32_e32 v37, v36
	v_min_u32_e32 v37, 32, v37
	s_delay_alu instid0(VALU_DEP_1) | instskip(SKIP_1) | instid1(VALU_DEP_2)
	v_subrev_nc_u32_e32 v38, 29, v37
	v_sub_nc_u32_e32 v37, 30, v37
	v_lshlrev_b32_e32 v38, v38, v33
	s_delay_alu instid0(VALU_DEP_1) | instskip(SKIP_1) | instid1(VALU_DEP_1)
	v_and_b32_e32 v38, 3, v38
	v_and_b32_e32 v39, 31, v39
	v_cmp_eq_u32_e32 vcc_lo, 0, v39
	s_delay_alu instid0(VALU_DEP_3) | instskip(SKIP_1) | instid1(VALU_DEP_2)
	v_dual_cndmask_b32 v36, v36, v38 :: v_dual_cndmask_b32 v37, v39, v37
	v_and_b32_e32 v38, 0x80000000, v40
	v_lshlrev_b32_e32 v36, 21, v36
	s_delay_alu instid0(VALU_DEP_3) | instskip(NEXT) | instid1(VALU_DEP_1)
	v_lshl_add_u32 v37, v37, 23, 0x37800000
	v_or3_b32 v36, v38, v37, v36
	s_delay_alu instid0(VALU_DEP_1)
	v_cvt_i32_f32_e32 v36, v36
.LBB171_49:                             ;   in Loop: Header=BB171_33 Depth=1
	s_or_b32 exec_lo, exec_lo, s8
	v_and_b32_e32 v38, 0xff, v32
	s_mov_b32 s0, 0
	s_mov_b32 s8, exec_lo
                                        ; implicit-def: $sgpr9
	s_delay_alu instid0(VALU_DEP_1)
	v_cmpx_lt_i16_e32 0x7f, v38
	s_xor_b32 s8, exec_lo, s8
	s_cbranch_execnz .LBB171_65
; %bb.50:                               ;   in Loop: Header=BB171_33 Depth=1
	s_or_saveexec_b32 s8, s8
	v_mov_b32_e32 v37, s9
	s_xor_b32 exec_lo, exec_lo, s8
	s_cbranch_execnz .LBB171_66
.LBB171_51:                             ;   in Loop: Header=BB171_33 Depth=1
	s_or_b32 exec_lo, exec_lo, s8
	s_and_saveexec_b32 s8, s0
	s_cbranch_execz .LBB171_53
.LBB171_52:                             ;   in Loop: Header=BB171_33 Depth=1
	v_lshrrev_b16 v40, 2, v32
	v_lshlrev_b32_e32 v41, 24, v32
	s_delay_alu instid0(VALU_DEP_2) | instskip(NEXT) | instid1(VALU_DEP_1)
	v_and_b32_e32 v40, 31, v40
	v_cmp_eq_u32_e32 vcc_lo, 0, v40
	v_and_b32_e32 v37, 3, v32
	s_delay_alu instid0(VALU_DEP_1) | instskip(NEXT) | instid1(VALU_DEP_1)
	v_clz_i32_u32_e32 v38, v37
	v_min_u32_e32 v38, 32, v38
	s_delay_alu instid0(VALU_DEP_1) | instskip(SKIP_1) | instid1(VALU_DEP_1)
	v_subrev_nc_u32_e32 v39, 29, v38
	v_sub_nc_u32_e32 v38, 30, v38
	v_dual_cndmask_b32 v38, v40, v38 :: v_dual_lshlrev_b32 v39, v39, v32
	s_delay_alu instid0(VALU_DEP_1) | instskip(NEXT) | instid1(VALU_DEP_2)
	v_and_b32_e32 v39, 3, v39
	v_lshl_add_u32 v38, v38, 23, 0x37800000
	s_delay_alu instid0(VALU_DEP_2) | instskip(SKIP_1) | instid1(VALU_DEP_2)
	v_cndmask_b32_e32 v37, v37, v39, vcc_lo
	v_and_b32_e32 v39, 0x80000000, v41
	v_lshlrev_b32_e32 v37, 21, v37
	s_delay_alu instid0(VALU_DEP_1) | instskip(NEXT) | instid1(VALU_DEP_1)
	v_or3_b32 v37, v39, v38, v37
	v_cvt_i32_f32_e32 v37, v37
.LBB171_53:                             ;   in Loop: Header=BB171_33 Depth=1
	s_or_b32 exec_lo, exec_lo, s8
	v_and_b32_e32 v39, 0xff, v31
	s_mov_b32 s0, 0
	s_mov_b32 s8, exec_lo
                                        ; implicit-def: $sgpr9
	s_delay_alu instid0(VALU_DEP_1)
	v_cmpx_lt_i16_e32 0x7f, v39
	s_xor_b32 s8, exec_lo, s8
	s_cbranch_execnz .LBB171_67
; %bb.54:                               ;   in Loop: Header=BB171_33 Depth=1
	s_or_saveexec_b32 s8, s8
	v_mov_b32_e32 v38, s9
	s_xor_b32 exec_lo, exec_lo, s8
	s_cbranch_execnz .LBB171_68
.LBB171_55:                             ;   in Loop: Header=BB171_33 Depth=1
	s_or_b32 exec_lo, exec_lo, s8
	s_and_saveexec_b32 s8, s0
	s_cbranch_execz .LBB171_57
.LBB171_56:                             ;   in Loop: Header=BB171_33 Depth=1
	v_and_b32_e32 v38, 3, v31
	v_lshrrev_b16 v41, 2, v31
	v_lshlrev_b32_e32 v42, 24, v31
	s_delay_alu instid0(VALU_DEP_3) | instskip(NEXT) | instid1(VALU_DEP_1)
	v_clz_i32_u32_e32 v39, v38
	v_min_u32_e32 v39, 32, v39
	s_delay_alu instid0(VALU_DEP_1) | instskip(SKIP_1) | instid1(VALU_DEP_2)
	v_subrev_nc_u32_e32 v40, 29, v39
	v_sub_nc_u32_e32 v39, 30, v39
	v_lshlrev_b32_e32 v40, v40, v31
	s_delay_alu instid0(VALU_DEP_1) | instskip(SKIP_1) | instid1(VALU_DEP_1)
	v_and_b32_e32 v40, 3, v40
	v_and_b32_e32 v41, 31, v41
	v_cmp_eq_u32_e32 vcc_lo, 0, v41
	s_delay_alu instid0(VALU_DEP_3) | instskip(SKIP_1) | instid1(VALU_DEP_2)
	v_dual_cndmask_b32 v38, v38, v40 :: v_dual_cndmask_b32 v39, v41, v39
	v_and_b32_e32 v40, 0x80000000, v42
	v_lshlrev_b32_e32 v38, 21, v38
	s_delay_alu instid0(VALU_DEP_3) | instskip(NEXT) | instid1(VALU_DEP_1)
	v_lshl_add_u32 v39, v39, 23, 0x37800000
	v_or3_b32 v38, v40, v39, v38
	s_delay_alu instid0(VALU_DEP_1)
	v_cvt_i32_f32_e32 v38, v38
.LBB171_57:                             ;   in Loop: Header=BB171_33 Depth=1
	s_or_b32 exec_lo, exec_lo, s8
	s_delay_alu instid0(SALU_CYCLE_1)
	s_mov_b32 s0, exec_lo
	v_cmpx_gt_u64_e64 s[2:3], v[1:2]
	s_xor_b32 s0, exec_lo, s0
	s_cbranch_execnz .LBB171_69
; %bb.58:                               ;   in Loop: Header=BB171_33 Depth=1
	s_or_b32 exec_lo, exec_lo, s0
	s_delay_alu instid0(SALU_CYCLE_1)
	s_mov_b32 s0, exec_lo
	v_cmpx_gt_u64_e64 s[2:3], v[3:4]
	s_cbranch_execnz .LBB171_70
.LBB171_59:                             ;   in Loop: Header=BB171_33 Depth=1
	s_or_b32 exec_lo, exec_lo, s0
	s_delay_alu instid0(SALU_CYCLE_1)
	s_mov_b32 s0, exec_lo
	v_cmpx_gt_u64_e64 s[2:3], v[5:6]
	s_cbranch_execnz .LBB171_71
.LBB171_60:                             ;   in Loop: Header=BB171_33 Depth=1
	s_or_b32 exec_lo, exec_lo, s0
	s_delay_alu instid0(SALU_CYCLE_1)
	s_mov_b32 s0, exec_lo
	v_cmpx_gt_u64_e64 s[2:3], v[7:8]
	s_cbranch_execz .LBB171_32
	s_branch .LBB171_72
.LBB171_61:                             ;   in Loop: Header=BB171_33 Depth=1
	v_cmp_ne_u16_e32 vcc_lo, 0x80, v36
	s_mov_b32 s9, 0
                                        ; implicit-def: $vgpr36
	s_and_b32 s0, vcc_lo, exec_lo
	s_or_saveexec_b32 s8, s8
	v_mov_b32_e32 v35, s9
	s_xor_b32 exec_lo, exec_lo, s8
	s_cbranch_execz .LBB171_43
.LBB171_62:                             ;   in Loop: Header=BB171_33 Depth=1
	v_cmp_ne_u16_e32 vcc_lo, 0, v36
	v_mov_b32_e32 v35, 0
	s_and_not1_b32 s0, s0, exec_lo
	s_and_b32 s9, vcc_lo, exec_lo
	s_delay_alu instid0(SALU_CYCLE_1)
	s_or_b32 s0, s0, s9
	s_or_b32 exec_lo, exec_lo, s8
	s_and_saveexec_b32 s8, s0
	s_cbranch_execnz .LBB171_44
	s_branch .LBB171_45
.LBB171_63:                             ;   in Loop: Header=BB171_33 Depth=1
	v_cmp_ne_u16_e32 vcc_lo, 0x80, v37
	s_mov_b32 s9, 0
                                        ; implicit-def: $vgpr37
	s_and_b32 s0, vcc_lo, exec_lo
	s_or_saveexec_b32 s8, s8
	v_mov_b32_e32 v36, s9
	s_xor_b32 exec_lo, exec_lo, s8
	s_cbranch_execz .LBB171_47
.LBB171_64:                             ;   in Loop: Header=BB171_33 Depth=1
	v_cmp_ne_u16_e32 vcc_lo, 0, v37
	v_mov_b32_e32 v36, 0
	s_and_not1_b32 s0, s0, exec_lo
	s_and_b32 s9, vcc_lo, exec_lo
	s_delay_alu instid0(SALU_CYCLE_1)
	s_or_b32 s0, s0, s9
	s_or_b32 exec_lo, exec_lo, s8
	s_and_saveexec_b32 s8, s0
	s_cbranch_execnz .LBB171_48
	s_branch .LBB171_49
.LBB171_65:                             ;   in Loop: Header=BB171_33 Depth=1
	v_cmp_ne_u16_e32 vcc_lo, 0x80, v38
	s_mov_b32 s9, 0
                                        ; implicit-def: $vgpr38
	s_and_b32 s0, vcc_lo, exec_lo
	s_or_saveexec_b32 s8, s8
	v_mov_b32_e32 v37, s9
	s_xor_b32 exec_lo, exec_lo, s8
	s_cbranch_execz .LBB171_51
.LBB171_66:                             ;   in Loop: Header=BB171_33 Depth=1
	v_cmp_ne_u16_e32 vcc_lo, 0, v38
	v_mov_b32_e32 v37, 0
	s_and_not1_b32 s0, s0, exec_lo
	s_and_b32 s9, vcc_lo, exec_lo
	s_delay_alu instid0(SALU_CYCLE_1)
	s_or_b32 s0, s0, s9
	s_or_b32 exec_lo, exec_lo, s8
	s_and_saveexec_b32 s8, s0
	s_cbranch_execnz .LBB171_52
	s_branch .LBB171_53
.LBB171_67:                             ;   in Loop: Header=BB171_33 Depth=1
	v_cmp_ne_u16_e32 vcc_lo, 0x80, v39
	s_mov_b32 s9, 0
                                        ; implicit-def: $vgpr39
	s_and_b32 s0, vcc_lo, exec_lo
	s_or_saveexec_b32 s8, s8
	v_mov_b32_e32 v38, s9
	s_xor_b32 exec_lo, exec_lo, s8
	s_cbranch_execz .LBB171_55
.LBB171_68:                             ;   in Loop: Header=BB171_33 Depth=1
	v_cmp_ne_u16_e32 vcc_lo, 0, v39
	v_mov_b32_e32 v38, 0
	s_and_not1_b32 s0, s0, exec_lo
	s_and_b32 s9, vcc_lo, exec_lo
	s_delay_alu instid0(SALU_CYCLE_1)
	s_or_b32 s0, s0, s9
	s_or_b32 exec_lo, exec_lo, s8
	s_and_saveexec_b32 s8, s0
	s_cbranch_execnz .LBB171_56
	s_branch .LBB171_57
.LBB171_69:                             ;   in Loop: Header=BB171_33 Depth=1
	v_add_co_u32 v1, vcc_lo, v11, s6
	v_add_co_ci_u32_e32 v2, vcc_lo, s7, v12, vcc_lo
	global_store_b8 v[1:2], v35, off
	s_or_b32 exec_lo, exec_lo, s0
	s_delay_alu instid0(SALU_CYCLE_1)
	s_mov_b32 s0, exec_lo
	v_cmpx_gt_u64_e64 s[2:3], v[3:4]
	s_cbranch_execz .LBB171_59
.LBB171_70:                             ;   in Loop: Header=BB171_33 Depth=1
	v_add_co_u32 v1, vcc_lo, v27, s6
	v_add_co_ci_u32_e32 v2, vcc_lo, s7, v28, vcc_lo
	global_store_b8 v[1:2], v36, off
	s_or_b32 exec_lo, exec_lo, s0
	s_delay_alu instid0(SALU_CYCLE_1)
	s_mov_b32 s0, exec_lo
	v_cmpx_gt_u64_e64 s[2:3], v[5:6]
	s_cbranch_execz .LBB171_60
.LBB171_71:                             ;   in Loop: Header=BB171_33 Depth=1
	v_add_co_u32 v1, vcc_lo, v21, s6
	v_add_co_ci_u32_e32 v2, vcc_lo, s7, v22, vcc_lo
	global_store_b8 v[1:2], v37, off
	s_or_b32 exec_lo, exec_lo, s0
	s_delay_alu instid0(SALU_CYCLE_1)
	s_mov_b32 s0, exec_lo
	v_cmpx_gt_u64_e64 s[2:3], v[7:8]
	s_cbranch_execz .LBB171_32
.LBB171_72:                             ;   in Loop: Header=BB171_33 Depth=1
	v_add_co_u32 v1, vcc_lo, v15, s6
	v_add_co_ci_u32_e32 v2, vcc_lo, s7, v16, vcc_lo
	global_store_b8 v[1:2], v38, off
	s_branch .LBB171_32
.LBB171_73:
	s_nop 0
	s_sendmsg sendmsg(MSG_DEALLOC_VGPRS)
	s_endpgm
	.section	.rodata,"a",@progbits
	.p2align	6, 0x0
	.amdhsa_kernel _ZN2at6native12_GLOBAL__N_125multi_tensor_apply_kernelINS1_18TensorListMetadataILi2EEENS1_11CopyFunctorIhN3c1015Float8_e5m2fnuzELi2ELi1ELi1EEEJNS0_4CopyIhS7_EEEEEvT_T0_DpT1_
		.amdhsa_group_segment_fixed_size 0
		.amdhsa_private_segment_fixed_size 0
		.amdhsa_kernarg_size 3408
		.amdhsa_user_sgpr_count 15
		.amdhsa_user_sgpr_dispatch_ptr 0
		.amdhsa_user_sgpr_queue_ptr 0
		.amdhsa_user_sgpr_kernarg_segment_ptr 1
		.amdhsa_user_sgpr_dispatch_id 0
		.amdhsa_user_sgpr_private_segment_size 0
		.amdhsa_wavefront_size32 1
		.amdhsa_uses_dynamic_stack 0
		.amdhsa_enable_private_segment 0
		.amdhsa_system_sgpr_workgroup_id_x 1
		.amdhsa_system_sgpr_workgroup_id_y 0
		.amdhsa_system_sgpr_workgroup_id_z 0
		.amdhsa_system_sgpr_workgroup_info 0
		.amdhsa_system_vgpr_workitem_id 0
		.amdhsa_next_free_vgpr 43
		.amdhsa_next_free_sgpr 20
		.amdhsa_reserve_vcc 1
		.amdhsa_float_round_mode_32 0
		.amdhsa_float_round_mode_16_64 0
		.amdhsa_float_denorm_mode_32 3
		.amdhsa_float_denorm_mode_16_64 3
		.amdhsa_dx10_clamp 1
		.amdhsa_ieee_mode 1
		.amdhsa_fp16_overflow 0
		.amdhsa_workgroup_processor_mode 1
		.amdhsa_memory_ordered 1
		.amdhsa_forward_progress 0
		.amdhsa_shared_vgpr_count 0
		.amdhsa_exception_fp_ieee_invalid_op 0
		.amdhsa_exception_fp_denorm_src 0
		.amdhsa_exception_fp_ieee_div_zero 0
		.amdhsa_exception_fp_ieee_overflow 0
		.amdhsa_exception_fp_ieee_underflow 0
		.amdhsa_exception_fp_ieee_inexact 0
		.amdhsa_exception_int_div_zero 0
	.end_amdhsa_kernel
	.section	.text._ZN2at6native12_GLOBAL__N_125multi_tensor_apply_kernelINS1_18TensorListMetadataILi2EEENS1_11CopyFunctorIhN3c1015Float8_e5m2fnuzELi2ELi1ELi1EEEJNS0_4CopyIhS7_EEEEEvT_T0_DpT1_,"axG",@progbits,_ZN2at6native12_GLOBAL__N_125multi_tensor_apply_kernelINS1_18TensorListMetadataILi2EEENS1_11CopyFunctorIhN3c1015Float8_e5m2fnuzELi2ELi1ELi1EEEJNS0_4CopyIhS7_EEEEEvT_T0_DpT1_,comdat
.Lfunc_end171:
	.size	_ZN2at6native12_GLOBAL__N_125multi_tensor_apply_kernelINS1_18TensorListMetadataILi2EEENS1_11CopyFunctorIhN3c1015Float8_e5m2fnuzELi2ELi1ELi1EEEJNS0_4CopyIhS7_EEEEEvT_T0_DpT1_, .Lfunc_end171-_ZN2at6native12_GLOBAL__N_125multi_tensor_apply_kernelINS1_18TensorListMetadataILi2EEENS1_11CopyFunctorIhN3c1015Float8_e5m2fnuzELi2ELi1ELi1EEEJNS0_4CopyIhS7_EEEEEvT_T0_DpT1_
                                        ; -- End function
	.section	.AMDGPU.csdata,"",@progbits
; Kernel info:
; codeLenInByte = 3400
; NumSgprs: 22
; NumVgprs: 43
; ScratchSize: 0
; MemoryBound: 0
; FloatMode: 240
; IeeeMode: 1
; LDSByteSize: 0 bytes/workgroup (compile time only)
; SGPRBlocks: 2
; VGPRBlocks: 5
; NumSGPRsForWavesPerEU: 22
; NumVGPRsForWavesPerEU: 43
; Occupancy: 16
; WaveLimiterHint : 0
; COMPUTE_PGM_RSRC2:SCRATCH_EN: 0
; COMPUTE_PGM_RSRC2:USER_SGPR: 15
; COMPUTE_PGM_RSRC2:TRAP_HANDLER: 0
; COMPUTE_PGM_RSRC2:TGID_X_EN: 1
; COMPUTE_PGM_RSRC2:TGID_Y_EN: 0
; COMPUTE_PGM_RSRC2:TGID_Z_EN: 0
; COMPUTE_PGM_RSRC2:TIDIG_COMP_CNT: 0
	.section	.text._ZN2at6native12_GLOBAL__N_125multi_tensor_apply_kernelINS1_18TensorListMetadataILi2EEENS1_11CopyFunctorIahLi2ELi1ELi1EEEJNS0_4CopyIahEEEEEvT_T0_DpT1_,"axG",@progbits,_ZN2at6native12_GLOBAL__N_125multi_tensor_apply_kernelINS1_18TensorListMetadataILi2EEENS1_11CopyFunctorIahLi2ELi1ELi1EEEJNS0_4CopyIahEEEEEvT_T0_DpT1_,comdat
	.globl	_ZN2at6native12_GLOBAL__N_125multi_tensor_apply_kernelINS1_18TensorListMetadataILi2EEENS1_11CopyFunctorIahLi2ELi1ELi1EEEJNS0_4CopyIahEEEEEvT_T0_DpT1_ ; -- Begin function _ZN2at6native12_GLOBAL__N_125multi_tensor_apply_kernelINS1_18TensorListMetadataILi2EEENS1_11CopyFunctorIahLi2ELi1ELi1EEEJNS0_4CopyIahEEEEEvT_T0_DpT1_
	.p2align	8
	.type	_ZN2at6native12_GLOBAL__N_125multi_tensor_apply_kernelINS1_18TensorListMetadataILi2EEENS1_11CopyFunctorIahLi2ELi1ELi1EEEJNS0_4CopyIahEEEEEvT_T0_DpT1_,@function
_ZN2at6native12_GLOBAL__N_125multi_tensor_apply_kernelINS1_18TensorListMetadataILi2EEENS1_11CopyFunctorIahLi2ELi1ELi1EEEJNS0_4CopyIahEEEEEvT_T0_DpT1_: ; @_ZN2at6native12_GLOBAL__N_125multi_tensor_apply_kernelINS1_18TensorListMetadataILi2EEENS1_11CopyFunctorIahLi2ELi1ELi1EEEJNS0_4CopyIahEEEEEvT_T0_DpT1_
; %bb.0:
	v_mov_b32_e32 v1, s15
	s_add_u32 s2, s0, s15
	s_mul_i32 s4, s15, 3
	s_addc_u32 s3, s1, 0
	s_mul_hi_u32 s5, s15, 3
	global_load_u8 v1, v1, s[0:1] offset:1536
	s_add_u32 s2, s2, s4
	s_addc_u32 s3, s3, s5
	s_load_b32 s2, s[2:3], 0x740
	s_waitcnt vmcnt(0)
	v_readfirstlane_b32 s4, v1
	s_delay_alu instid0(VALU_DEP_1)
	s_lshl_b32 s3, s4, 3
	s_clause 0x2
	s_load_b64 s[6:7], s[0:1], s3 offset:0x0
	s_load_b64 s[8:9], s[0:1], s3 offset:0x200
	;; [unrolled: 1-line block ×3, first 2 shown]
	s_waitcnt lgkmcnt(0)
	s_ashr_i32 s3, s2, 31
	s_delay_alu instid0(SALU_CYCLE_1) | instskip(NEXT) | instid1(SALU_CYCLE_1)
	s_lshl_b64 s[10:11], s[2:3], 16
	s_add_u32 s3, s6, s10
	s_addc_u32 s14, s7, s11
	s_add_u32 s12, s8, s10
	s_addc_u32 s13, s9, s11
	s_delay_alu instid0(SALU_CYCLE_1) | instskip(NEXT) | instid1(SALU_CYCLE_1)
	s_or_b64 s[16:17], s[4:5], s[12:13]
	s_or_b32 s2, s3, s16
	s_delay_alu instid0(SALU_CYCLE_1)
	s_and_b32 s2, s2, 3
	s_sub_u32 s4, s4, s10
	s_subb_u32 s5, s5, s11
	s_cmp_eq_u32 s2, 0
	s_mov_b32 s2, -1
	s_cbranch_scc0 .LBB172_5
; %bb.1:
	v_dual_mov_b32 v2, 0 :: v_dual_lshlrev_b32 v1, 2, v0
	s_mov_b32 s15, exec_lo
	s_delay_alu instid0(VALU_DEP_1)
	v_cmpx_gt_i64_e64 s[4:5], v[1:2]
	s_cbranch_execz .LBB172_4
; %bb.2:
	s_load_b32 s2, s[0:1], 0xc5c
	s_mov_b32 s17, 0
	s_waitcnt lgkmcnt(0)
	s_and_b32 s2, s2, 0xffff
	s_delay_alu instid0(SALU_CYCLE_1)
	s_lshl_b32 s16, s2, 2
	.p2align	6
.LBB172_3:                              ; =>This Inner Loop Header: Depth=1
	v_add_co_u32 v3, vcc_lo, s3, v1
	v_add_co_ci_u32_e32 v4, vcc_lo, s14, v2, vcc_lo
	global_load_b32 v5, v[3:4], off
	v_add_co_u32 v3, vcc_lo, s12, v1
	v_add_co_ci_u32_e32 v4, vcc_lo, s13, v2, vcc_lo
	v_add_co_u32 v1, vcc_lo, s16, v1
	v_add_co_ci_u32_e32 v2, vcc_lo, 0, v2, vcc_lo
	s_delay_alu instid0(VALU_DEP_1) | instskip(SKIP_1) | instid1(VALU_DEP_1)
	v_cmp_le_i64_e32 vcc_lo, s[4:5], v[1:2]
	v_cmp_lt_u64_e64 s2, 0xffff, v[1:2]
	s_or_b32 s2, vcc_lo, s2
	s_delay_alu instid0(SALU_CYCLE_1) | instskip(NEXT) | instid1(SALU_CYCLE_1)
	s_and_b32 s2, exec_lo, s2
	s_or_b32 s17, s2, s17
	s_waitcnt vmcnt(0)
	global_store_b32 v[3:4], v5, off
	s_and_not1_b32 exec_lo, exec_lo, s17
	s_cbranch_execnz .LBB172_3
.LBB172_4:
	s_or_b32 exec_lo, exec_lo, s15
	s_mov_b32 s2, 0
.LBB172_5:
	s_delay_alu instid0(SALU_CYCLE_1)
	s_and_not1_b32 vcc_lo, exec_lo, s2
	s_cbranch_vccnz .LBB172_25
; %bb.6:
	v_cmp_lt_i64_e64 s2, s[4:5], 1
	s_delay_alu instid0(VALU_DEP_1)
	s_and_b32 vcc_lo, exec_lo, s2
	s_cbranch_vccnz .LBB172_25
; %bb.7:
	s_load_b32 s0, s[0:1], 0xc5c
	v_add_co_u32 v1, s1, s10, v0
	s_delay_alu instid0(VALU_DEP_1) | instskip(SKIP_1) | instid1(VALU_DEP_3)
	v_add_co_ci_u32_e64 v2, null, s11, 0, s1
	v_cmp_gt_u64_e64 s1, 0x10000, s[4:5]
	v_add_co_u32 v9, vcc_lo, s6, v1
	s_delay_alu instid0(VALU_DEP_3)
	v_add_co_ci_u32_e32 v10, vcc_lo, s7, v2, vcc_lo
	v_add_co_u32 v11, vcc_lo, s8, v1
	v_add_co_ci_u32_e32 v12, vcc_lo, s9, v2, vcc_lo
                                        ; implicit-def: $vgpr31
                                        ; implicit-def: $vgpr32
                                        ; implicit-def: $vgpr33
                                        ; implicit-def: $vgpr34
	s_waitcnt lgkmcnt(0)
	s_and_b32 s0, s0, 0xffff
	s_and_b32 s1, s1, exec_lo
	s_mul_i32 s13, s0, 3
	s_cselect_b32 s3, s5, 0
	s_cselect_b32 s2, s4, 0x10000
	s_lshl_b32 s12, s0, 1
	s_lshl_b32 s1, s0, 2
	s_add_u32 s14, s10, s13
	s_addc_u32 s15, s11, 0
	v_add_co_u32 v3, s14, s14, v0
	s_delay_alu instid0(VALU_DEP_1) | instskip(SKIP_1) | instid1(VALU_DEP_2)
	v_add_co_ci_u32_e64 v4, null, s15, 0, s14
	s_add_u32 s10, s10, s12
	v_add_co_u32 v13, vcc_lo, s6, v3
	s_delay_alu instid0(VALU_DEP_2)
	v_add_co_ci_u32_e32 v14, vcc_lo, s7, v4, vcc_lo
	v_add_co_u32 v15, vcc_lo, s8, v3
	s_addc_u32 s11, s11, 0
	v_add_co_u32 v3, s10, s10, v0
	v_add_co_ci_u32_e32 v16, vcc_lo, s9, v4, vcc_lo
	v_add_co_ci_u32_e64 v4, null, s11, 0, s10
	s_delay_alu instid0(VALU_DEP_3) | instskip(SKIP_1) | instid1(VALU_DEP_3)
	v_add_co_u32 v19, vcc_lo, s6, v3
	v_add_co_u32 v17, s10, s13, v0
	v_add_co_ci_u32_e32 v20, vcc_lo, s7, v4, vcc_lo
	v_add_co_u32 v21, vcc_lo, s8, v3
	v_add_co_ci_u32_e32 v22, vcc_lo, s9, v4, vcc_lo
	v_add_co_u32 v1, vcc_lo, v1, s0
	v_add_co_ci_u32_e32 v2, vcc_lo, 0, v2, vcc_lo
	v_add_co_ci_u32_e64 v18, null, 0, 0, s10
	s_delay_alu instid0(VALU_DEP_3) | instskip(NEXT) | instid1(VALU_DEP_3)
	v_add_co_u32 v25, vcc_lo, s6, v1
	v_add_co_ci_u32_e32 v26, vcc_lo, s7, v2, vcc_lo
	v_add_co_u32 v23, s10, s12, v0
	v_add_co_u32 v27, vcc_lo, s8, v1
	v_add_co_u32 v29, s0, v0, s0
	v_add_co_ci_u32_e64 v24, null, 0, 0, s10
	v_add_co_ci_u32_e32 v28, vcc_lo, s9, v2, vcc_lo
	v_add_co_ci_u32_e64 v30, null, 0, 0, s0
	s_mov_b64 s[6:7], 0
	s_branch .LBB172_9
.LBB172_8:                              ;   in Loop: Header=BB172_9 Depth=1
	s_or_b32 exec_lo, exec_lo, s0
	s_add_u32 s6, s6, s1
	s_addc_u32 s7, s7, 0
	s_delay_alu instid0(SALU_CYCLE_1) | instskip(SKIP_1) | instid1(VALU_DEP_1)
	v_cmp_ge_i64_e64 s0, s[6:7], s[4:5]
	v_cmp_lt_u64_e64 s8, 0xffff, s[6:7]
	s_or_b32 s0, s0, s8
	s_delay_alu instid0(SALU_CYCLE_1)
	s_and_b32 vcc_lo, exec_lo, s0
	s_cbranch_vccnz .LBB172_25
.LBB172_9:                              ; =>This Inner Loop Header: Depth=1
	v_add_co_u32 v1, s0, v0, s6
	s_delay_alu instid0(VALU_DEP_1) | instskip(NEXT) | instid1(VALU_DEP_1)
	v_add_co_ci_u32_e64 v2, null, 0, s7, s0
	v_cmp_gt_i64_e32 vcc_lo, s[4:5], v[1:2]
	v_cmp_gt_u64_e64 s0, 0x10000, v[1:2]
	s_delay_alu instid0(VALU_DEP_1) | instskip(NEXT) | instid1(SALU_CYCLE_1)
	s_and_b32 s8, vcc_lo, s0
	s_and_saveexec_b32 s0, s8
	s_cbranch_execz .LBB172_11
; %bb.10:                               ;   in Loop: Header=BB172_9 Depth=1
	v_add_co_u32 v3, vcc_lo, v9, s6
	v_add_co_ci_u32_e32 v4, vcc_lo, s7, v10, vcc_lo
	global_load_u8 v31, v[3:4], off
.LBB172_11:                             ;   in Loop: Header=BB172_9 Depth=1
	s_or_b32 exec_lo, exec_lo, s0
	v_add_co_u32 v3, vcc_lo, v29, s6
	v_add_co_ci_u32_e32 v4, vcc_lo, s7, v30, vcc_lo
	s_delay_alu instid0(VALU_DEP_1) | instskip(SKIP_1) | instid1(VALU_DEP_1)
	v_cmp_gt_i64_e32 vcc_lo, s[4:5], v[3:4]
	v_cmp_gt_u64_e64 s0, 0x10000, v[3:4]
	s_and_b32 s8, vcc_lo, s0
	s_delay_alu instid0(SALU_CYCLE_1)
	s_and_saveexec_b32 s0, s8
	s_cbranch_execz .LBB172_13
; %bb.12:                               ;   in Loop: Header=BB172_9 Depth=1
	v_add_co_u32 v5, vcc_lo, v25, s6
	v_add_co_ci_u32_e32 v6, vcc_lo, s7, v26, vcc_lo
	global_load_u8 v32, v[5:6], off
.LBB172_13:                             ;   in Loop: Header=BB172_9 Depth=1
	s_or_b32 exec_lo, exec_lo, s0
	v_add_co_u32 v5, vcc_lo, v23, s6
	v_add_co_ci_u32_e32 v6, vcc_lo, s7, v24, vcc_lo
	s_delay_alu instid0(VALU_DEP_1) | instskip(SKIP_1) | instid1(VALU_DEP_1)
	v_cmp_gt_i64_e32 vcc_lo, s[4:5], v[5:6]
	v_cmp_gt_u64_e64 s0, 0x10000, v[5:6]
	s_and_b32 s8, vcc_lo, s0
	s_delay_alu instid0(SALU_CYCLE_1)
	s_and_saveexec_b32 s0, s8
	s_cbranch_execz .LBB172_15
; %bb.14:                               ;   in Loop: Header=BB172_9 Depth=1
	v_add_co_u32 v7, vcc_lo, v19, s6
	v_add_co_ci_u32_e32 v8, vcc_lo, s7, v20, vcc_lo
	global_load_u8 v33, v[7:8], off
.LBB172_15:                             ;   in Loop: Header=BB172_9 Depth=1
	s_or_b32 exec_lo, exec_lo, s0
	v_add_co_u32 v7, vcc_lo, v17, s6
	v_add_co_ci_u32_e32 v8, vcc_lo, s7, v18, vcc_lo
	s_delay_alu instid0(VALU_DEP_1) | instskip(SKIP_1) | instid1(VALU_DEP_1)
	v_cmp_gt_i64_e32 vcc_lo, s[4:5], v[7:8]
	v_cmp_gt_u64_e64 s0, 0x10000, v[7:8]
	s_and_b32 s8, vcc_lo, s0
	s_delay_alu instid0(SALU_CYCLE_1)
	s_and_saveexec_b32 s0, s8
	s_cbranch_execnz .LBB172_20
; %bb.16:                               ;   in Loop: Header=BB172_9 Depth=1
	s_or_b32 exec_lo, exec_lo, s0
	s_delay_alu instid0(SALU_CYCLE_1)
	s_mov_b32 s0, exec_lo
	v_cmpx_gt_u64_e64 s[2:3], v[1:2]
	s_cbranch_execnz .LBB172_21
.LBB172_17:                             ;   in Loop: Header=BB172_9 Depth=1
	s_or_b32 exec_lo, exec_lo, s0
	s_delay_alu instid0(SALU_CYCLE_1)
	s_mov_b32 s0, exec_lo
	v_cmpx_gt_u64_e64 s[2:3], v[3:4]
	s_cbranch_execnz .LBB172_22
.LBB172_18:                             ;   in Loop: Header=BB172_9 Depth=1
	s_or_b32 exec_lo, exec_lo, s0
	s_delay_alu instid0(SALU_CYCLE_1)
	s_mov_b32 s0, exec_lo
	v_cmpx_gt_u64_e64 s[2:3], v[5:6]
	s_cbranch_execnz .LBB172_23
.LBB172_19:                             ;   in Loop: Header=BB172_9 Depth=1
	s_or_b32 exec_lo, exec_lo, s0
	s_delay_alu instid0(SALU_CYCLE_1)
	s_mov_b32 s0, exec_lo
	v_cmpx_gt_u64_e64 s[2:3], v[7:8]
	s_cbranch_execz .LBB172_8
	s_branch .LBB172_24
.LBB172_20:                             ;   in Loop: Header=BB172_9 Depth=1
	s_waitcnt vmcnt(0)
	v_add_co_u32 v34, vcc_lo, v13, s6
	v_add_co_ci_u32_e32 v35, vcc_lo, s7, v14, vcc_lo
	global_load_u8 v34, v[34:35], off
	s_or_b32 exec_lo, exec_lo, s0
	s_delay_alu instid0(SALU_CYCLE_1)
	s_mov_b32 s0, exec_lo
	v_cmpx_gt_u64_e64 s[2:3], v[1:2]
	s_cbranch_execz .LBB172_17
.LBB172_21:                             ;   in Loop: Header=BB172_9 Depth=1
	v_add_co_u32 v1, vcc_lo, v11, s6
	v_add_co_ci_u32_e32 v2, vcc_lo, s7, v12, vcc_lo
	s_waitcnt vmcnt(0)
	global_store_b8 v[1:2], v31, off
	s_or_b32 exec_lo, exec_lo, s0
	s_delay_alu instid0(SALU_CYCLE_1)
	s_mov_b32 s0, exec_lo
	v_cmpx_gt_u64_e64 s[2:3], v[3:4]
	s_cbranch_execz .LBB172_18
.LBB172_22:                             ;   in Loop: Header=BB172_9 Depth=1
	v_add_co_u32 v1, vcc_lo, v27, s6
	v_add_co_ci_u32_e32 v2, vcc_lo, s7, v28, vcc_lo
	s_waitcnt vmcnt(0)
	global_store_b8 v[1:2], v32, off
	s_or_b32 exec_lo, exec_lo, s0
	s_delay_alu instid0(SALU_CYCLE_1)
	s_mov_b32 s0, exec_lo
	v_cmpx_gt_u64_e64 s[2:3], v[5:6]
	s_cbranch_execz .LBB172_19
.LBB172_23:                             ;   in Loop: Header=BB172_9 Depth=1
	v_add_co_u32 v1, vcc_lo, v21, s6
	v_add_co_ci_u32_e32 v2, vcc_lo, s7, v22, vcc_lo
	s_waitcnt vmcnt(0)
	global_store_b8 v[1:2], v33, off
	s_or_b32 exec_lo, exec_lo, s0
	s_delay_alu instid0(SALU_CYCLE_1)
	s_mov_b32 s0, exec_lo
	v_cmpx_gt_u64_e64 s[2:3], v[7:8]
	s_cbranch_execz .LBB172_8
.LBB172_24:                             ;   in Loop: Header=BB172_9 Depth=1
	v_add_co_u32 v1, vcc_lo, v15, s6
	v_add_co_ci_u32_e32 v2, vcc_lo, s7, v16, vcc_lo
	s_waitcnt vmcnt(0)
	global_store_b8 v[1:2], v34, off
	s_branch .LBB172_8
.LBB172_25:
	s_nop 0
	s_sendmsg sendmsg(MSG_DEALLOC_VGPRS)
	s_endpgm
	.section	.rodata,"a",@progbits
	.p2align	6, 0x0
	.amdhsa_kernel _ZN2at6native12_GLOBAL__N_125multi_tensor_apply_kernelINS1_18TensorListMetadataILi2EEENS1_11CopyFunctorIahLi2ELi1ELi1EEEJNS0_4CopyIahEEEEEvT_T0_DpT1_
		.amdhsa_group_segment_fixed_size 0
		.amdhsa_private_segment_fixed_size 0
		.amdhsa_kernarg_size 3408
		.amdhsa_user_sgpr_count 15
		.amdhsa_user_sgpr_dispatch_ptr 0
		.amdhsa_user_sgpr_queue_ptr 0
		.amdhsa_user_sgpr_kernarg_segment_ptr 1
		.amdhsa_user_sgpr_dispatch_id 0
		.amdhsa_user_sgpr_private_segment_size 0
		.amdhsa_wavefront_size32 1
		.amdhsa_uses_dynamic_stack 0
		.amdhsa_enable_private_segment 0
		.amdhsa_system_sgpr_workgroup_id_x 1
		.amdhsa_system_sgpr_workgroup_id_y 0
		.amdhsa_system_sgpr_workgroup_id_z 0
		.amdhsa_system_sgpr_workgroup_info 0
		.amdhsa_system_vgpr_workitem_id 0
		.amdhsa_next_free_vgpr 36
		.amdhsa_next_free_sgpr 18
		.amdhsa_reserve_vcc 1
		.amdhsa_float_round_mode_32 0
		.amdhsa_float_round_mode_16_64 0
		.amdhsa_float_denorm_mode_32 3
		.amdhsa_float_denorm_mode_16_64 3
		.amdhsa_dx10_clamp 1
		.amdhsa_ieee_mode 1
		.amdhsa_fp16_overflow 0
		.amdhsa_workgroup_processor_mode 1
		.amdhsa_memory_ordered 1
		.amdhsa_forward_progress 0
		.amdhsa_shared_vgpr_count 0
		.amdhsa_exception_fp_ieee_invalid_op 0
		.amdhsa_exception_fp_denorm_src 0
		.amdhsa_exception_fp_ieee_div_zero 0
		.amdhsa_exception_fp_ieee_overflow 0
		.amdhsa_exception_fp_ieee_underflow 0
		.amdhsa_exception_fp_ieee_inexact 0
		.amdhsa_exception_int_div_zero 0
	.end_amdhsa_kernel
	.section	.text._ZN2at6native12_GLOBAL__N_125multi_tensor_apply_kernelINS1_18TensorListMetadataILi2EEENS1_11CopyFunctorIahLi2ELi1ELi1EEEJNS0_4CopyIahEEEEEvT_T0_DpT1_,"axG",@progbits,_ZN2at6native12_GLOBAL__N_125multi_tensor_apply_kernelINS1_18TensorListMetadataILi2EEENS1_11CopyFunctorIahLi2ELi1ELi1EEEJNS0_4CopyIahEEEEEvT_T0_DpT1_,comdat
.Lfunc_end172:
	.size	_ZN2at6native12_GLOBAL__N_125multi_tensor_apply_kernelINS1_18TensorListMetadataILi2EEENS1_11CopyFunctorIahLi2ELi1ELi1EEEJNS0_4CopyIahEEEEEvT_T0_DpT1_, .Lfunc_end172-_ZN2at6native12_GLOBAL__N_125multi_tensor_apply_kernelINS1_18TensorListMetadataILi2EEENS1_11CopyFunctorIahLi2ELi1ELi1EEEJNS0_4CopyIahEEEEEvT_T0_DpT1_
                                        ; -- End function
	.section	.AMDGPU.csdata,"",@progbits
; Kernel info:
; codeLenInByte = 1324
; NumSgprs: 20
; NumVgprs: 36
; ScratchSize: 0
; MemoryBound: 0
; FloatMode: 240
; IeeeMode: 1
; LDSByteSize: 0 bytes/workgroup (compile time only)
; SGPRBlocks: 2
; VGPRBlocks: 4
; NumSGPRsForWavesPerEU: 20
; NumVGPRsForWavesPerEU: 36
; Occupancy: 16
; WaveLimiterHint : 0
; COMPUTE_PGM_RSRC2:SCRATCH_EN: 0
; COMPUTE_PGM_RSRC2:USER_SGPR: 15
; COMPUTE_PGM_RSRC2:TRAP_HANDLER: 0
; COMPUTE_PGM_RSRC2:TGID_X_EN: 1
; COMPUTE_PGM_RSRC2:TGID_Y_EN: 0
; COMPUTE_PGM_RSRC2:TGID_Z_EN: 0
; COMPUTE_PGM_RSRC2:TIDIG_COMP_CNT: 0
	.section	.text._ZN2at6native12_GLOBAL__N_125multi_tensor_apply_kernelINS1_18TensorListMetadataILi2EEENS1_14UnaryOpFunctorIaLi2ELi1ELi1EEEJNS0_4CopyIaaEEEEEvT_T0_DpT1_,"axG",@progbits,_ZN2at6native12_GLOBAL__N_125multi_tensor_apply_kernelINS1_18TensorListMetadataILi2EEENS1_14UnaryOpFunctorIaLi2ELi1ELi1EEEJNS0_4CopyIaaEEEEEvT_T0_DpT1_,comdat
	.globl	_ZN2at6native12_GLOBAL__N_125multi_tensor_apply_kernelINS1_18TensorListMetadataILi2EEENS1_14UnaryOpFunctorIaLi2ELi1ELi1EEEJNS0_4CopyIaaEEEEEvT_T0_DpT1_ ; -- Begin function _ZN2at6native12_GLOBAL__N_125multi_tensor_apply_kernelINS1_18TensorListMetadataILi2EEENS1_14UnaryOpFunctorIaLi2ELi1ELi1EEEJNS0_4CopyIaaEEEEEvT_T0_DpT1_
	.p2align	8
	.type	_ZN2at6native12_GLOBAL__N_125multi_tensor_apply_kernelINS1_18TensorListMetadataILi2EEENS1_14UnaryOpFunctorIaLi2ELi1ELi1EEEJNS0_4CopyIaaEEEEEvT_T0_DpT1_,@function
_ZN2at6native12_GLOBAL__N_125multi_tensor_apply_kernelINS1_18TensorListMetadataILi2EEENS1_14UnaryOpFunctorIaLi2ELi1ELi1EEEJNS0_4CopyIaaEEEEEvT_T0_DpT1_: ; @_ZN2at6native12_GLOBAL__N_125multi_tensor_apply_kernelINS1_18TensorListMetadataILi2EEENS1_14UnaryOpFunctorIaLi2ELi1ELi1EEEJNS0_4CopyIaaEEEEEvT_T0_DpT1_
; %bb.0:
	v_mov_b32_e32 v1, s15
	s_add_u32 s2, s0, s15
	s_mul_hi_u32 s3, s15, 3
	s_mul_i32 s15, s15, 3
	s_addc_u32 s4, s1, 0
	global_load_u8 v1, v1, s[0:1] offset:1536
	s_add_u32 s2, s2, s15
	s_addc_u32 s3, s4, s3
	s_load_b32 s2, s[2:3], 0x740
	s_waitcnt vmcnt(0)
	v_readfirstlane_b32 s5, v1
	s_delay_alu instid0(VALU_DEP_1)
	s_lshl_b32 s3, s5, 3
	s_clause 0x2
	s_load_b64 s[8:9], s[0:1], s3 offset:0x0
	s_load_b64 s[10:11], s[0:1], s3 offset:0x200
	s_load_b64 s[4:5], s[0:1], s3 offset:0x400
	s_waitcnt lgkmcnt(0)
	s_ashr_i32 s3, s2, 31
	s_delay_alu instid0(SALU_CYCLE_1) | instskip(NEXT) | instid1(SALU_CYCLE_1)
	s_lshl_b64 s[12:13], s[2:3], 16
	s_add_u32 s6, s8, s12
	s_addc_u32 s7, s9, s13
	s_add_u32 s3, s10, s12
	s_addc_u32 s14, s11, s13
	s_or_b64 s[16:17], s[4:5], s[6:7]
	s_delay_alu instid0(SALU_CYCLE_1) | instskip(NEXT) | instid1(SALU_CYCLE_1)
	s_or_b32 s2, s3, s16
	s_and_b32 s2, s2, 3
	s_sub_u32 s4, s4, s12
	s_subb_u32 s5, s5, s13
	s_cmp_eq_u32 s2, 0
	s_mov_b32 s2, -1
	s_cbranch_scc0 .LBB173_5
; %bb.1:
	v_dual_mov_b32 v2, 0 :: v_dual_lshlrev_b32 v1, 2, v0
	s_mov_b32 s15, exec_lo
	s_delay_alu instid0(VALU_DEP_1)
	v_cmpx_gt_i64_e64 s[4:5], v[1:2]
	s_cbranch_execz .LBB173_4
; %bb.2:
	s_load_b32 s2, s[0:1], 0xc5c
	s_mov_b32 s17, 0
	s_waitcnt lgkmcnt(0)
	s_and_b32 s2, s2, 0xffff
	s_delay_alu instid0(SALU_CYCLE_1)
	s_lshl_b32 s16, s2, 2
	.p2align	6
.LBB173_3:                              ; =>This Inner Loop Header: Depth=1
	v_add_co_u32 v3, vcc_lo, s6, v1
	v_add_co_ci_u32_e32 v4, vcc_lo, s7, v2, vcc_lo
	global_load_b32 v5, v[3:4], off
	v_add_co_u32 v3, vcc_lo, s3, v1
	v_add_co_ci_u32_e32 v4, vcc_lo, s14, v2, vcc_lo
	v_add_co_u32 v1, vcc_lo, s16, v1
	v_add_co_ci_u32_e32 v2, vcc_lo, 0, v2, vcc_lo
	s_delay_alu instid0(VALU_DEP_1) | instskip(SKIP_1) | instid1(VALU_DEP_1)
	v_cmp_le_i64_e32 vcc_lo, s[4:5], v[1:2]
	v_cmp_lt_u64_e64 s2, 0xffff, v[1:2]
	s_or_b32 s2, vcc_lo, s2
	s_delay_alu instid0(SALU_CYCLE_1) | instskip(NEXT) | instid1(SALU_CYCLE_1)
	s_and_b32 s2, exec_lo, s2
	s_or_b32 s17, s2, s17
	s_waitcnt vmcnt(0)
	global_store_b32 v[3:4], v5, off
	s_and_not1_b32 exec_lo, exec_lo, s17
	s_cbranch_execnz .LBB173_3
.LBB173_4:
	s_or_b32 exec_lo, exec_lo, s15
	s_mov_b32 s2, 0
.LBB173_5:
	s_delay_alu instid0(SALU_CYCLE_1)
	s_and_not1_b32 vcc_lo, exec_lo, s2
	s_cbranch_vccnz .LBB173_25
; %bb.6:
	v_cmp_lt_i64_e64 s2, s[4:5], 1
	s_delay_alu instid0(VALU_DEP_1)
	s_and_b32 vcc_lo, exec_lo, s2
	s_cbranch_vccnz .LBB173_25
; %bb.7:
	s_load_b32 s0, s[0:1], 0xc5c
	v_add_co_u32 v15, s1, s12, v0
	s_delay_alu instid0(VALU_DEP_1) | instskip(SKIP_1) | instid1(VALU_DEP_3)
	v_add_co_ci_u32_e64 v16, null, s13, 0, s1
	v_cmp_gt_u64_e64 s1, 0x10000, s[4:5]
	v_add_co_u32 v1, vcc_lo, s8, v15
	s_delay_alu instid0(VALU_DEP_3)
	v_add_co_ci_u32_e32 v2, vcc_lo, s9, v16, vcc_lo
	v_add_co_u32 v3, vcc_lo, s10, v15
	v_add_co_ci_u32_e32 v4, vcc_lo, s11, v16, vcc_lo
	s_waitcnt lgkmcnt(0)
	s_and_b32 s0, s0, 0xffff
	s_and_b32 s1, s1, exec_lo
	s_mul_i32 s2, s0, 3
	s_cselect_b32 s7, s5, 0
	s_cselect_b32 s6, s4, 0x10000
	s_lshl_b32 s1, s0, 1
	s_lshl_b32 s14, s0, 2
	s_add_u32 s3, s12, s2
	s_addc_u32 s15, s13, 0
	v_add_co_u32 v7, s3, s3, v0
	s_delay_alu instid0(VALU_DEP_1) | instskip(SKIP_1) | instid1(VALU_DEP_2)
	v_add_co_ci_u32_e64 v8, null, s15, 0, s3
	s_add_u32 s3, s12, s1
	v_add_co_u32 v5, vcc_lo, s8, v7
	s_addc_u32 s12, s13, 0
	v_add_co_u32 v13, s3, s3, v0
	v_add_co_ci_u32_e32 v6, vcc_lo, s9, v8, vcc_lo
	v_add_co_u32 v7, vcc_lo, s10, v7
	v_add_co_ci_u32_e64 v14, null, s12, 0, s3
	v_add_co_ci_u32_e32 v8, vcc_lo, s11, v8, vcc_lo
	v_add_co_u32 v11, vcc_lo, s8, v13
	s_delay_alu instid0(VALU_DEP_3)
	v_add_co_ci_u32_e32 v12, vcc_lo, s9, v14, vcc_lo
	v_add_co_u32 v13, vcc_lo, s10, v13
	v_add_co_ci_u32_e32 v14, vcc_lo, s11, v14, vcc_lo
	v_add_co_u32 v19, vcc_lo, v15, s0
	v_add_co_ci_u32_e32 v20, vcc_lo, 0, v16, vcc_lo
	v_add_co_u32 v9, s2, s2, v0
	s_delay_alu instid0(VALU_DEP_3) | instskip(NEXT) | instid1(VALU_DEP_3)
	v_add_co_u32 v17, vcc_lo, s8, v19
	v_add_co_ci_u32_e32 v18, vcc_lo, s9, v20, vcc_lo
	v_add_co_u32 v15, s1, s1, v0
	v_add_co_u32 v19, vcc_lo, s10, v19
	v_add_co_u32 v21, s0, v0, s0
	v_add_co_ci_u32_e64 v10, null, 0, 0, s2
	v_add_co_ci_u32_e64 v16, null, 0, 0, s1
	v_add_co_ci_u32_e32 v20, vcc_lo, s11, v20, vcc_lo
	v_add_co_ci_u32_e64 v22, null, 0, 0, s0
	s_mov_b64 s[8:9], 0
	s_branch .LBB173_9
.LBB173_8:                              ;   in Loop: Header=BB173_9 Depth=1
	s_or_b32 exec_lo, exec_lo, s0
	s_add_u32 s8, s8, s14
	s_addc_u32 s9, s9, 0
	s_delay_alu instid0(SALU_CYCLE_1) | instskip(SKIP_1) | instid1(VALU_DEP_1)
	v_cmp_ge_i64_e64 s0, s[8:9], s[4:5]
	v_cmp_lt_u64_e64 s1, 0xffff, s[8:9]
	s_or_b32 s0, s0, s1
	s_delay_alu instid0(SALU_CYCLE_1)
	s_and_b32 vcc_lo, exec_lo, s0
	s_cbranch_vccnz .LBB173_25
.LBB173_9:                              ; =>This Inner Loop Header: Depth=1
	s_waitcnt vmcnt(0)
	v_add_co_u32 v23, s0, v0, s8
	s_delay_alu instid0(VALU_DEP_1) | instskip(NEXT) | instid1(VALU_DEP_1)
	v_add_co_ci_u32_e64 v24, null, 0, s9, s0
	v_cmp_gt_u64_e32 vcc_lo, s[6:7], v[23:24]
	v_mov_b32_e32 v23, 0
	s_and_saveexec_b32 s1, vcc_lo
	s_cbranch_execz .LBB173_11
; %bb.10:                               ;   in Loop: Header=BB173_9 Depth=1
	v_add_co_u32 v23, s0, v1, s8
	s_delay_alu instid0(VALU_DEP_1)
	v_add_co_ci_u32_e64 v24, s0, s9, v2, s0
	global_load_u8 v23, v[23:24], off
.LBB173_11:                             ;   in Loop: Header=BB173_9 Depth=1
	s_or_b32 exec_lo, exec_lo, s1
	v_add_co_u32 v24, s0, v21, s8
	s_delay_alu instid0(VALU_DEP_1) | instskip(NEXT) | instid1(VALU_DEP_1)
	v_add_co_ci_u32_e64 v25, s0, s9, v22, s0
	v_cmp_gt_u64_e64 s0, s[6:7], v[24:25]
	v_mov_b32_e32 v25, 0
	s_delay_alu instid0(VALU_DEP_2)
	s_and_saveexec_b32 s2, s0
	s_cbranch_execz .LBB173_13
; %bb.12:                               ;   in Loop: Header=BB173_9 Depth=1
	v_add_co_u32 v24, s1, v17, s8
	s_delay_alu instid0(VALU_DEP_1)
	v_add_co_ci_u32_e64 v25, s1, s9, v18, s1
	global_load_u8 v25, v[24:25], off
.LBB173_13:                             ;   in Loop: Header=BB173_9 Depth=1
	s_or_b32 exec_lo, exec_lo, s2
	v_add_co_u32 v26, s1, v15, s8
	s_delay_alu instid0(VALU_DEP_1) | instskip(SKIP_1) | instid1(VALU_DEP_2)
	v_add_co_ci_u32_e64 v27, s1, s9, v16, s1
	v_mov_b32_e32 v24, 0
	v_cmp_gt_u64_e64 s1, s[6:7], v[26:27]
	v_mov_b32_e32 v26, 0
	s_delay_alu instid0(VALU_DEP_2)
	s_and_saveexec_b32 s3, s1
	s_cbranch_execz .LBB173_15
; %bb.14:                               ;   in Loop: Header=BB173_9 Depth=1
	v_add_co_u32 v26, s2, v11, s8
	s_delay_alu instid0(VALU_DEP_1)
	v_add_co_ci_u32_e64 v27, s2, s9, v12, s2
	global_load_u8 v26, v[26:27], off
.LBB173_15:                             ;   in Loop: Header=BB173_9 Depth=1
	s_or_b32 exec_lo, exec_lo, s3
	v_add_co_u32 v27, s2, v9, s8
	s_delay_alu instid0(VALU_DEP_1) | instskip(NEXT) | instid1(VALU_DEP_1)
	v_add_co_ci_u32_e64 v28, s2, s9, v10, s2
	v_cmp_gt_u64_e64 s2, s[6:7], v[27:28]
	s_delay_alu instid0(VALU_DEP_1)
	s_and_saveexec_b32 s10, s2
	s_cbranch_execnz .LBB173_20
; %bb.16:                               ;   in Loop: Header=BB173_9 Depth=1
	s_or_b32 exec_lo, exec_lo, s10
	s_and_saveexec_b32 s3, vcc_lo
	s_cbranch_execnz .LBB173_21
.LBB173_17:                             ;   in Loop: Header=BB173_9 Depth=1
	s_or_b32 exec_lo, exec_lo, s3
	s_and_saveexec_b32 s3, s0
	s_cbranch_execnz .LBB173_22
.LBB173_18:                             ;   in Loop: Header=BB173_9 Depth=1
	s_or_b32 exec_lo, exec_lo, s3
	s_and_saveexec_b32 s0, s1
	s_cbranch_execnz .LBB173_23
.LBB173_19:                             ;   in Loop: Header=BB173_9 Depth=1
	s_or_b32 exec_lo, exec_lo, s0
	s_and_saveexec_b32 s0, s2
	s_cbranch_execz .LBB173_8
	s_branch .LBB173_24
.LBB173_20:                             ;   in Loop: Header=BB173_9 Depth=1
	v_add_co_u32 v27, s3, v5, s8
	s_delay_alu instid0(VALU_DEP_1)
	v_add_co_ci_u32_e64 v28, s3, s9, v6, s3
	global_load_u8 v24, v[27:28], off
	s_or_b32 exec_lo, exec_lo, s10
	s_and_saveexec_b32 s3, vcc_lo
	s_cbranch_execz .LBB173_17
.LBB173_21:                             ;   in Loop: Header=BB173_9 Depth=1
	v_add_co_u32 v27, vcc_lo, v3, s8
	v_add_co_ci_u32_e32 v28, vcc_lo, s9, v4, vcc_lo
	s_waitcnt vmcnt(0)
	global_store_b8 v[27:28], v23, off
	s_or_b32 exec_lo, exec_lo, s3
	s_and_saveexec_b32 s3, s0
	s_cbranch_execz .LBB173_18
.LBB173_22:                             ;   in Loop: Header=BB173_9 Depth=1
	v_add_co_u32 v27, vcc_lo, v19, s8
	v_add_co_ci_u32_e32 v28, vcc_lo, s9, v20, vcc_lo
	s_waitcnt vmcnt(0)
	global_store_b8 v[27:28], v25, off
	s_or_b32 exec_lo, exec_lo, s3
	s_and_saveexec_b32 s0, s1
	s_cbranch_execz .LBB173_19
.LBB173_23:                             ;   in Loop: Header=BB173_9 Depth=1
	v_add_co_u32 v27, vcc_lo, v13, s8
	v_add_co_ci_u32_e32 v28, vcc_lo, s9, v14, vcc_lo
	s_waitcnt vmcnt(0)
	global_store_b8 v[27:28], v26, off
	s_or_b32 exec_lo, exec_lo, s0
	s_and_saveexec_b32 s0, s2
	s_cbranch_execz .LBB173_8
.LBB173_24:                             ;   in Loop: Header=BB173_9 Depth=1
	s_waitcnt vmcnt(0)
	v_add_co_u32 v25, vcc_lo, v7, s8
	v_add_co_ci_u32_e32 v26, vcc_lo, s9, v8, vcc_lo
	global_store_b8 v[25:26], v24, off
	s_branch .LBB173_8
.LBB173_25:
	s_nop 0
	s_sendmsg sendmsg(MSG_DEALLOC_VGPRS)
	s_endpgm
	.section	.rodata,"a",@progbits
	.p2align	6, 0x0
	.amdhsa_kernel _ZN2at6native12_GLOBAL__N_125multi_tensor_apply_kernelINS1_18TensorListMetadataILi2EEENS1_14UnaryOpFunctorIaLi2ELi1ELi1EEEJNS0_4CopyIaaEEEEEvT_T0_DpT1_
		.amdhsa_group_segment_fixed_size 0
		.amdhsa_private_segment_fixed_size 0
		.amdhsa_kernarg_size 3408
		.amdhsa_user_sgpr_count 15
		.amdhsa_user_sgpr_dispatch_ptr 0
		.amdhsa_user_sgpr_queue_ptr 0
		.amdhsa_user_sgpr_kernarg_segment_ptr 1
		.amdhsa_user_sgpr_dispatch_id 0
		.amdhsa_user_sgpr_private_segment_size 0
		.amdhsa_wavefront_size32 1
		.amdhsa_uses_dynamic_stack 0
		.amdhsa_enable_private_segment 0
		.amdhsa_system_sgpr_workgroup_id_x 1
		.amdhsa_system_sgpr_workgroup_id_y 0
		.amdhsa_system_sgpr_workgroup_id_z 0
		.amdhsa_system_sgpr_workgroup_info 0
		.amdhsa_system_vgpr_workitem_id 0
		.amdhsa_next_free_vgpr 29
		.amdhsa_next_free_sgpr 18
		.amdhsa_reserve_vcc 1
		.amdhsa_float_round_mode_32 0
		.amdhsa_float_round_mode_16_64 0
		.amdhsa_float_denorm_mode_32 3
		.amdhsa_float_denorm_mode_16_64 3
		.amdhsa_dx10_clamp 1
		.amdhsa_ieee_mode 1
		.amdhsa_fp16_overflow 0
		.amdhsa_workgroup_processor_mode 1
		.amdhsa_memory_ordered 1
		.amdhsa_forward_progress 0
		.amdhsa_shared_vgpr_count 0
		.amdhsa_exception_fp_ieee_invalid_op 0
		.amdhsa_exception_fp_denorm_src 0
		.amdhsa_exception_fp_ieee_div_zero 0
		.amdhsa_exception_fp_ieee_overflow 0
		.amdhsa_exception_fp_ieee_underflow 0
		.amdhsa_exception_fp_ieee_inexact 0
		.amdhsa_exception_int_div_zero 0
	.end_amdhsa_kernel
	.section	.text._ZN2at6native12_GLOBAL__N_125multi_tensor_apply_kernelINS1_18TensorListMetadataILi2EEENS1_14UnaryOpFunctorIaLi2ELi1ELi1EEEJNS0_4CopyIaaEEEEEvT_T0_DpT1_,"axG",@progbits,_ZN2at6native12_GLOBAL__N_125multi_tensor_apply_kernelINS1_18TensorListMetadataILi2EEENS1_14UnaryOpFunctorIaLi2ELi1ELi1EEEJNS0_4CopyIaaEEEEEvT_T0_DpT1_,comdat
.Lfunc_end173:
	.size	_ZN2at6native12_GLOBAL__N_125multi_tensor_apply_kernelINS1_18TensorListMetadataILi2EEENS1_14UnaryOpFunctorIaLi2ELi1ELi1EEEJNS0_4CopyIaaEEEEEvT_T0_DpT1_, .Lfunc_end173-_ZN2at6native12_GLOBAL__N_125multi_tensor_apply_kernelINS1_18TensorListMetadataILi2EEENS1_14UnaryOpFunctorIaLi2ELi1ELi1EEEJNS0_4CopyIaaEEEEEvT_T0_DpT1_
                                        ; -- End function
	.section	.AMDGPU.csdata,"",@progbits
; Kernel info:
; codeLenInByte = 1224
; NumSgprs: 20
; NumVgprs: 29
; ScratchSize: 0
; MemoryBound: 0
; FloatMode: 240
; IeeeMode: 1
; LDSByteSize: 0 bytes/workgroup (compile time only)
; SGPRBlocks: 2
; VGPRBlocks: 3
; NumSGPRsForWavesPerEU: 20
; NumVGPRsForWavesPerEU: 29
; Occupancy: 16
; WaveLimiterHint : 0
; COMPUTE_PGM_RSRC2:SCRATCH_EN: 0
; COMPUTE_PGM_RSRC2:USER_SGPR: 15
; COMPUTE_PGM_RSRC2:TRAP_HANDLER: 0
; COMPUTE_PGM_RSRC2:TGID_X_EN: 1
; COMPUTE_PGM_RSRC2:TGID_Y_EN: 0
; COMPUTE_PGM_RSRC2:TGID_Z_EN: 0
; COMPUTE_PGM_RSRC2:TIDIG_COMP_CNT: 0
	.section	.text._ZN2at6native12_GLOBAL__N_125multi_tensor_apply_kernelINS1_18TensorListMetadataILi2EEENS1_11CopyFunctorIalLi2ELi1ELi1EEEJNS0_4CopyIalEEEEEvT_T0_DpT1_,"axG",@progbits,_ZN2at6native12_GLOBAL__N_125multi_tensor_apply_kernelINS1_18TensorListMetadataILi2EEENS1_11CopyFunctorIalLi2ELi1ELi1EEEJNS0_4CopyIalEEEEEvT_T0_DpT1_,comdat
	.globl	_ZN2at6native12_GLOBAL__N_125multi_tensor_apply_kernelINS1_18TensorListMetadataILi2EEENS1_11CopyFunctorIalLi2ELi1ELi1EEEJNS0_4CopyIalEEEEEvT_T0_DpT1_ ; -- Begin function _ZN2at6native12_GLOBAL__N_125multi_tensor_apply_kernelINS1_18TensorListMetadataILi2EEENS1_11CopyFunctorIalLi2ELi1ELi1EEEJNS0_4CopyIalEEEEEvT_T0_DpT1_
	.p2align	8
	.type	_ZN2at6native12_GLOBAL__N_125multi_tensor_apply_kernelINS1_18TensorListMetadataILi2EEENS1_11CopyFunctorIalLi2ELi1ELi1EEEJNS0_4CopyIalEEEEEvT_T0_DpT1_,@function
_ZN2at6native12_GLOBAL__N_125multi_tensor_apply_kernelINS1_18TensorListMetadataILi2EEENS1_11CopyFunctorIalLi2ELi1ELi1EEEJNS0_4CopyIalEEEEEvT_T0_DpT1_: ; @_ZN2at6native12_GLOBAL__N_125multi_tensor_apply_kernelINS1_18TensorListMetadataILi2EEENS1_11CopyFunctorIalLi2ELi1ELi1EEEJNS0_4CopyIalEEEEEvT_T0_DpT1_
; %bb.0:
	v_mov_b32_e32 v1, s15
	s_add_u32 s2, s0, s15
	s_mul_i32 s4, s15, 3
	s_addc_u32 s3, s1, 0
	s_mul_hi_u32 s5, s15, 3
	global_load_u8 v1, v1, s[0:1] offset:1536
	s_add_u32 s2, s2, s4
	s_addc_u32 s3, s3, s5
	s_mov_b32 s17, 0
	s_load_b32 s10, s[2:3], 0x740
	s_waitcnt lgkmcnt(0)
	s_ashr_i32 s11, s10, 31
	s_delay_alu instid0(SALU_CYCLE_1) | instskip(SKIP_2) | instid1(VALU_DEP_1)
	s_lshl_b64 s[8:9], s[10:11], 16
	s_waitcnt vmcnt(0)
	v_readfirstlane_b32 s4, v1
	s_lshl_b32 s4, s4, 3
	s_clause 0x2
	s_load_b64 s[6:7], s[0:1], s4 offset:0x200
	s_load_b64 s[2:3], s[0:1], s4 offset:0x400
	;; [unrolled: 1-line block ×3, first 2 shown]
	s_waitcnt lgkmcnt(0)
	s_add_u32 s14, s6, s8
	s_addc_u32 s15, s7, s9
	s_delay_alu instid0(SALU_CYCLE_1) | instskip(SKIP_2) | instid1(SALU_CYCLE_1)
	s_or_b64 s[4:5], s[2:3], s[14:15]
	s_and_b32 s5, s12, 31
	s_and_b32 s4, s4, 3
	s_or_b32 s16, s4, s5
	s_sub_u32 s4, s2, s8
	s_subb_u32 s5, s3, s9
	s_cmp_eq_u64 s[16:17], 0
	s_mov_b32 s2, -1
	s_cbranch_scc0 .LBB174_5
; %bb.1:
	v_dual_mov_b32 v2, 0 :: v_dual_lshlrev_b32 v1, 2, v0
	s_mov_b32 s16, exec_lo
	s_delay_alu instid0(VALU_DEP_1)
	v_cmpx_gt_i64_e64 s[4:5], v[1:2]
	s_cbranch_execz .LBB174_4
; %bb.2:
	s_load_b32 s17, s[0:1], 0xc5c
	v_lshlrev_b32_e32 v3, 5, v0
	s_lshl_b64 s[2:3], s[10:11], 19
	s_mov_b32 s18, 0
	s_waitcnt lgkmcnt(0)
	s_and_b32 s19, s17, 0xffff
	s_delay_alu instid0(SALU_CYCLE_1) | instskip(SKIP_3) | instid1(VALU_DEP_1)
	s_lshl_b32 s17, s19, 2
	s_add_u32 s2, s12, s2
	s_addc_u32 s3, s13, s3
	v_add_co_u32 v3, s2, s2, v3
	v_add_co_ci_u32_e64 v4, null, s3, 0, s2
	s_lshl_b32 s19, s19, 5
	s_set_inst_prefetch_distance 0x1
	.p2align	6
.LBB174_3:                              ; =>This Inner Loop Header: Depth=1
	s_clause 0x1
	global_load_b128 v[5:8], v[3:4], off
	global_load_b128 v[8:11], v[3:4], off offset:16
	s_waitcnt vmcnt(0)
	v_add_co_u32 v11, vcc_lo, s14, v1
	v_add_co_ci_u32_e32 v12, vcc_lo, s15, v2, vcc_lo
	v_add_co_u32 v1, vcc_lo, s17, v1
	v_add_co_ci_u32_e32 v2, vcc_lo, 0, v2, vcc_lo
	v_add_co_u32 v3, s3, v3, s19
	s_delay_alu instid0(VALU_DEP_1) | instskip(NEXT) | instid1(VALU_DEP_3)
	v_add_co_ci_u32_e64 v4, s3, 0, v4, s3
	v_cmp_le_i64_e32 vcc_lo, s[4:5], v[1:2]
	v_cmp_lt_u64_e64 s2, 0xffff, v[1:2]
	s_delay_alu instid0(VALU_DEP_1) | instskip(NEXT) | instid1(SALU_CYCLE_1)
	s_or_b32 s2, vcc_lo, s2
	s_and_b32 s2, exec_lo, s2
	s_delay_alu instid0(SALU_CYCLE_1) | instskip(SKIP_4) | instid1(VALU_DEP_3)
	s_or_b32 s18, s2, s18
	v_lshlrev_b16 v6, 8, v7
	v_and_b32_e32 v5, 0xff, v5
	v_lshlrev_b16 v7, 8, v10
	v_and_b32_e32 v8, 0xff, v8
	v_or_b32_e32 v5, v5, v6
	s_delay_alu instid0(VALU_DEP_2) | instskip(NEXT) | instid1(VALU_DEP_2)
	v_or_b32_e32 v6, v8, v7
	v_and_b32_e32 v5, 0xffff, v5
	s_delay_alu instid0(VALU_DEP_2) | instskip(NEXT) | instid1(VALU_DEP_1)
	v_lshlrev_b32_e32 v6, 16, v6
	v_or_b32_e32 v5, v5, v6
	global_store_b32 v[11:12], v5, off
	s_and_not1_b32 exec_lo, exec_lo, s18
	s_cbranch_execnz .LBB174_3
.LBB174_4:
	s_set_inst_prefetch_distance 0x2
	s_or_b32 exec_lo, exec_lo, s16
	s_mov_b32 s2, 0
.LBB174_5:
	s_delay_alu instid0(SALU_CYCLE_1)
	s_and_not1_b32 vcc_lo, exec_lo, s2
	s_cbranch_vccnz .LBB174_25
; %bb.6:
	v_cmp_lt_i64_e64 s2, s[4:5], 1
	s_delay_alu instid0(VALU_DEP_1)
	s_and_b32 vcc_lo, exec_lo, s2
	s_cbranch_vccnz .LBB174_25
; %bb.7:
	s_load_b32 s0, s[0:1], 0xc5c
	v_cmp_gt_u64_e64 s1, 0x10000, s[4:5]
	v_add_co_u32 v5, s2, s8, v0
	v_lshlrev_b32_e32 v1, 3, v0
	v_add_co_ci_u32_e64 v6, null, s9, 0, s2
	s_delay_alu instid0(VALU_DEP_3) | instskip(NEXT) | instid1(VALU_DEP_2)
	v_add_co_u32 v21, vcc_lo, s6, v5
                                        ; implicit-def: $vgpr9_vgpr10
                                        ; implicit-def: $vgpr11_vgpr12
                                        ; implicit-def: $vgpr7_vgpr8
	v_add_co_ci_u32_e32 v22, vcc_lo, s7, v6, vcc_lo
	s_waitcnt lgkmcnt(0)
	s_and_b32 s0, s0, 0xffff
	s_and_b32 s1, s1, exec_lo
	s_cselect_b32 s3, s5, 0
	s_cselect_b32 s2, s4, 0x10000
	s_lshl_b64 s[10:11], s[10:11], 19
	s_lshl_b32 s14, s0, 1
	s_lshl_b32 s1, s0, 2
	s_add_u32 s12, s12, s10
	s_mul_i32 s15, s0, 3
	s_addc_u32 s13, s13, s11
	s_lshl_b32 s10, s0, 5
	v_add_co_u32 v1, s16, s12, v1
	s_add_u32 s11, s8, s15
	v_add_co_ci_u32_e64 v2, null, s13, 0, s16
	s_addc_u32 s16, s9, 0
	s_add_u32 s11, s6, s11
	s_addc_u32 s16, s7, s16
	v_add_co_u32 v23, s11, s11, v0
	s_delay_alu instid0(VALU_DEP_1)
	v_add_co_ci_u32_e64 v24, null, s16, 0, s11
	v_add_co_u32 v25, s11, s15, v0
	v_add_co_u32 v27, s15, v0, s0
	v_add_co_ci_u32_e64 v26, null, 0, 0, s11
	s_lshl_b32 s11, s0, 4
	s_add_u32 s8, s8, s14
	s_addc_u32 s9, s9, 0
	s_add_u32 s8, s6, s8
	v_lshlrev_b32_e32 v3, 3, v27
	s_addc_u32 s9, s7, s9
	v_add_co_u32 v28, s8, s8, v0
	s_delay_alu instid0(VALU_DEP_1)
	v_add_co_ci_u32_e64 v29, null, s9, 0, s8
	v_add_co_u32 v31, s8, s14, v0
	s_add_u32 s6, s6, s0
	v_add_co_ci_u32_e64 v32, null, 0, 0, s8
	v_add_co_u32 v3, s8, s12, v3
	s_addc_u32 s7, s7, 0
	v_add_co_u32 v33, vcc_lo, s6, v5
	v_add_co_ci_u32_e64 v30, null, 0, 0, s15
	v_add_co_ci_u32_e64 v4, null, s13, 0, s8
	v_add_co_ci_u32_e32 v34, vcc_lo, s7, v6, vcc_lo
	s_mul_i32 s8, s0, 24
	s_mov_b64 s[6:7], 0
                                        ; implicit-def: $vgpr5_vgpr6
	s_branch .LBB174_9
.LBB174_8:                              ;   in Loop: Header=BB174_9 Depth=1
	s_or_b32 exec_lo, exec_lo, s0
	s_add_u32 s6, s6, s1
	s_addc_u32 s7, s7, 0
	v_add_co_u32 v1, vcc_lo, v1, s10
	v_cmp_ge_i64_e64 s0, s[6:7], s[4:5]
	v_cmp_lt_u64_e64 s9, 0xffff, s[6:7]
	v_add_co_ci_u32_e32 v2, vcc_lo, 0, v2, vcc_lo
	v_add_co_u32 v3, vcc_lo, v3, s10
	v_add_co_ci_u32_e32 v4, vcc_lo, 0, v4, vcc_lo
	s_delay_alu instid0(VALU_DEP_4) | instskip(NEXT) | instid1(SALU_CYCLE_1)
	s_or_b32 s0, s0, s9
	s_and_b32 vcc_lo, exec_lo, s0
	s_cbranch_vccnz .LBB174_25
.LBB174_9:                              ; =>This Inner Loop Header: Depth=1
	v_add_co_u32 v13, s0, v0, s6
	s_delay_alu instid0(VALU_DEP_1) | instskip(NEXT) | instid1(VALU_DEP_1)
	v_add_co_ci_u32_e64 v14, null, 0, s7, s0
	v_cmp_gt_i64_e32 vcc_lo, s[4:5], v[13:14]
	v_cmp_gt_u64_e64 s0, 0x10000, v[13:14]
	s_delay_alu instid0(VALU_DEP_1) | instskip(NEXT) | instid1(SALU_CYCLE_1)
	s_and_b32 s9, vcc_lo, s0
	s_and_saveexec_b32 s0, s9
	s_cbranch_execz .LBB174_11
; %bb.10:                               ;   in Loop: Header=BB174_9 Depth=1
	global_load_b64 v[7:8], v[1:2], off
.LBB174_11:                             ;   in Loop: Header=BB174_9 Depth=1
	s_or_b32 exec_lo, exec_lo, s0
	v_add_co_u32 v15, vcc_lo, v27, s6
	v_add_co_ci_u32_e32 v16, vcc_lo, s7, v30, vcc_lo
	s_delay_alu instid0(VALU_DEP_1) | instskip(SKIP_1) | instid1(VALU_DEP_1)
	v_cmp_gt_i64_e32 vcc_lo, s[4:5], v[15:16]
	v_cmp_gt_u64_e64 s0, 0x10000, v[15:16]
	s_and_b32 s9, vcc_lo, s0
	s_delay_alu instid0(SALU_CYCLE_1)
	s_and_saveexec_b32 s0, s9
	s_cbranch_execz .LBB174_13
; %bb.12:                               ;   in Loop: Header=BB174_9 Depth=1
	global_load_b64 v[5:6], v[3:4], off
.LBB174_13:                             ;   in Loop: Header=BB174_9 Depth=1
	s_or_b32 exec_lo, exec_lo, s0
	v_add_co_u32 v17, vcc_lo, v31, s6
	v_add_co_ci_u32_e32 v18, vcc_lo, s7, v32, vcc_lo
	s_delay_alu instid0(VALU_DEP_1) | instskip(SKIP_1) | instid1(VALU_DEP_1)
	v_cmp_gt_i64_e32 vcc_lo, s[4:5], v[17:18]
	v_cmp_gt_u64_e64 s0, 0x10000, v[17:18]
	s_and_b32 s9, vcc_lo, s0
	s_delay_alu instid0(SALU_CYCLE_1)
	s_and_saveexec_b32 s0, s9
	s_cbranch_execz .LBB174_15
; %bb.14:                               ;   in Loop: Header=BB174_9 Depth=1
	s_waitcnt vmcnt(0)
	v_add_co_u32 v10, vcc_lo, v1, s11
	v_add_co_ci_u32_e32 v11, vcc_lo, 0, v2, vcc_lo
	global_load_b64 v[11:12], v[10:11], off
.LBB174_15:                             ;   in Loop: Header=BB174_9 Depth=1
	s_or_b32 exec_lo, exec_lo, s0
	v_add_co_u32 v19, vcc_lo, v25, s6
	v_add_co_ci_u32_e32 v20, vcc_lo, s7, v26, vcc_lo
	s_delay_alu instid0(VALU_DEP_1) | instskip(SKIP_1) | instid1(VALU_DEP_1)
	v_cmp_gt_i64_e32 vcc_lo, s[4:5], v[19:20]
	v_cmp_gt_u64_e64 s0, 0x10000, v[19:20]
	s_and_b32 s9, vcc_lo, s0
	s_delay_alu instid0(SALU_CYCLE_1)
	s_and_saveexec_b32 s0, s9
	s_cbranch_execnz .LBB174_20
; %bb.16:                               ;   in Loop: Header=BB174_9 Depth=1
	s_or_b32 exec_lo, exec_lo, s0
	s_delay_alu instid0(SALU_CYCLE_1)
	s_mov_b32 s0, exec_lo
	v_cmpx_gt_u64_e64 s[2:3], v[13:14]
	s_cbranch_execnz .LBB174_21
.LBB174_17:                             ;   in Loop: Header=BB174_9 Depth=1
	s_or_b32 exec_lo, exec_lo, s0
	s_delay_alu instid0(SALU_CYCLE_1)
	s_mov_b32 s0, exec_lo
	v_cmpx_gt_u64_e64 s[2:3], v[15:16]
	s_cbranch_execnz .LBB174_22
.LBB174_18:                             ;   in Loop: Header=BB174_9 Depth=1
	s_or_b32 exec_lo, exec_lo, s0
	s_delay_alu instid0(SALU_CYCLE_1)
	s_mov_b32 s0, exec_lo
	v_cmpx_gt_u64_e64 s[2:3], v[17:18]
	s_cbranch_execnz .LBB174_23
.LBB174_19:                             ;   in Loop: Header=BB174_9 Depth=1
	s_or_b32 exec_lo, exec_lo, s0
	s_delay_alu instid0(SALU_CYCLE_1)
	s_mov_b32 s0, exec_lo
	v_cmpx_gt_u64_e64 s[2:3], v[19:20]
	s_cbranch_execz .LBB174_8
	s_branch .LBB174_24
.LBB174_20:                             ;   in Loop: Header=BB174_9 Depth=1
	s_waitcnt vmcnt(0)
	v_add_co_u32 v8, vcc_lo, v1, s8
	v_add_co_ci_u32_e32 v9, vcc_lo, 0, v2, vcc_lo
	global_load_b64 v[9:10], v[8:9], off
	s_or_b32 exec_lo, exec_lo, s0
	s_delay_alu instid0(SALU_CYCLE_1)
	s_mov_b32 s0, exec_lo
	v_cmpx_gt_u64_e64 s[2:3], v[13:14]
	s_cbranch_execz .LBB174_17
.LBB174_21:                             ;   in Loop: Header=BB174_9 Depth=1
	s_waitcnt vmcnt(0)
	v_add_co_u32 v12, vcc_lo, v21, s6
	v_add_co_ci_u32_e32 v13, vcc_lo, s7, v22, vcc_lo
	global_store_b8 v[12:13], v7, off
	s_or_b32 exec_lo, exec_lo, s0
	s_delay_alu instid0(SALU_CYCLE_1)
	s_mov_b32 s0, exec_lo
	v_cmpx_gt_u64_e64 s[2:3], v[15:16]
	s_cbranch_execz .LBB174_18
.LBB174_22:                             ;   in Loop: Header=BB174_9 Depth=1
	s_waitcnt vmcnt(0)
	v_add_co_u32 v12, vcc_lo, v33, s6
	v_add_co_ci_u32_e32 v13, vcc_lo, s7, v34, vcc_lo
	global_store_b8 v[12:13], v5, off
	s_or_b32 exec_lo, exec_lo, s0
	s_delay_alu instid0(SALU_CYCLE_1)
	s_mov_b32 s0, exec_lo
	v_cmpx_gt_u64_e64 s[2:3], v[17:18]
	s_cbranch_execz .LBB174_19
.LBB174_23:                             ;   in Loop: Header=BB174_9 Depth=1
	s_waitcnt vmcnt(0)
	v_add_co_u32 v12, vcc_lo, v28, s6
	v_add_co_ci_u32_e32 v13, vcc_lo, s7, v29, vcc_lo
	global_store_b8 v[12:13], v11, off
	s_or_b32 exec_lo, exec_lo, s0
	s_delay_alu instid0(SALU_CYCLE_1)
	s_mov_b32 s0, exec_lo
	v_cmpx_gt_u64_e64 s[2:3], v[19:20]
	s_cbranch_execz .LBB174_8
.LBB174_24:                             ;   in Loop: Header=BB174_9 Depth=1
	s_waitcnt vmcnt(0)
	v_add_co_u32 v12, vcc_lo, v23, s6
	v_add_co_ci_u32_e32 v13, vcc_lo, s7, v24, vcc_lo
	global_store_b8 v[12:13], v9, off
	s_branch .LBB174_8
.LBB174_25:
	s_nop 0
	s_sendmsg sendmsg(MSG_DEALLOC_VGPRS)
	s_endpgm
	.section	.rodata,"a",@progbits
	.p2align	6, 0x0
	.amdhsa_kernel _ZN2at6native12_GLOBAL__N_125multi_tensor_apply_kernelINS1_18TensorListMetadataILi2EEENS1_11CopyFunctorIalLi2ELi1ELi1EEEJNS0_4CopyIalEEEEEvT_T0_DpT1_
		.amdhsa_group_segment_fixed_size 0
		.amdhsa_private_segment_fixed_size 0
		.amdhsa_kernarg_size 3408
		.amdhsa_user_sgpr_count 15
		.amdhsa_user_sgpr_dispatch_ptr 0
		.amdhsa_user_sgpr_queue_ptr 0
		.amdhsa_user_sgpr_kernarg_segment_ptr 1
		.amdhsa_user_sgpr_dispatch_id 0
		.amdhsa_user_sgpr_private_segment_size 0
		.amdhsa_wavefront_size32 1
		.amdhsa_uses_dynamic_stack 0
		.amdhsa_enable_private_segment 0
		.amdhsa_system_sgpr_workgroup_id_x 1
		.amdhsa_system_sgpr_workgroup_id_y 0
		.amdhsa_system_sgpr_workgroup_id_z 0
		.amdhsa_system_sgpr_workgroup_info 0
		.amdhsa_system_vgpr_workitem_id 0
		.amdhsa_next_free_vgpr 35
		.amdhsa_next_free_sgpr 20
		.amdhsa_reserve_vcc 1
		.amdhsa_float_round_mode_32 0
		.amdhsa_float_round_mode_16_64 0
		.amdhsa_float_denorm_mode_32 3
		.amdhsa_float_denorm_mode_16_64 3
		.amdhsa_dx10_clamp 1
		.amdhsa_ieee_mode 1
		.amdhsa_fp16_overflow 0
		.amdhsa_workgroup_processor_mode 1
		.amdhsa_memory_ordered 1
		.amdhsa_forward_progress 0
		.amdhsa_shared_vgpr_count 0
		.amdhsa_exception_fp_ieee_invalid_op 0
		.amdhsa_exception_fp_denorm_src 0
		.amdhsa_exception_fp_ieee_div_zero 0
		.amdhsa_exception_fp_ieee_overflow 0
		.amdhsa_exception_fp_ieee_underflow 0
		.amdhsa_exception_fp_ieee_inexact 0
		.amdhsa_exception_int_div_zero 0
	.end_amdhsa_kernel
	.section	.text._ZN2at6native12_GLOBAL__N_125multi_tensor_apply_kernelINS1_18TensorListMetadataILi2EEENS1_11CopyFunctorIalLi2ELi1ELi1EEEJNS0_4CopyIalEEEEEvT_T0_DpT1_,"axG",@progbits,_ZN2at6native12_GLOBAL__N_125multi_tensor_apply_kernelINS1_18TensorListMetadataILi2EEENS1_11CopyFunctorIalLi2ELi1ELi1EEEJNS0_4CopyIalEEEEEvT_T0_DpT1_,comdat
.Lfunc_end174:
	.size	_ZN2at6native12_GLOBAL__N_125multi_tensor_apply_kernelINS1_18TensorListMetadataILi2EEENS1_11CopyFunctorIalLi2ELi1ELi1EEEJNS0_4CopyIalEEEEEvT_T0_DpT1_, .Lfunc_end174-_ZN2at6native12_GLOBAL__N_125multi_tensor_apply_kernelINS1_18TensorListMetadataILi2EEENS1_11CopyFunctorIalLi2ELi1ELi1EEEJNS0_4CopyIalEEEEEvT_T0_DpT1_
                                        ; -- End function
	.section	.AMDGPU.csdata,"",@progbits
; Kernel info:
; codeLenInByte = 1440
; NumSgprs: 22
; NumVgprs: 35
; ScratchSize: 0
; MemoryBound: 0
; FloatMode: 240
; IeeeMode: 1
; LDSByteSize: 0 bytes/workgroup (compile time only)
; SGPRBlocks: 2
; VGPRBlocks: 4
; NumSGPRsForWavesPerEU: 22
; NumVGPRsForWavesPerEU: 35
; Occupancy: 16
; WaveLimiterHint : 0
; COMPUTE_PGM_RSRC2:SCRATCH_EN: 0
; COMPUTE_PGM_RSRC2:USER_SGPR: 15
; COMPUTE_PGM_RSRC2:TRAP_HANDLER: 0
; COMPUTE_PGM_RSRC2:TGID_X_EN: 1
; COMPUTE_PGM_RSRC2:TGID_Y_EN: 0
; COMPUTE_PGM_RSRC2:TGID_Z_EN: 0
; COMPUTE_PGM_RSRC2:TIDIG_COMP_CNT: 0
	.section	.text._ZN2at6native12_GLOBAL__N_125multi_tensor_apply_kernelINS1_18TensorListMetadataILi2EEENS1_11CopyFunctorIasLi2ELi1ELi1EEEJNS0_4CopyIasEEEEEvT_T0_DpT1_,"axG",@progbits,_ZN2at6native12_GLOBAL__N_125multi_tensor_apply_kernelINS1_18TensorListMetadataILi2EEENS1_11CopyFunctorIasLi2ELi1ELi1EEEJNS0_4CopyIasEEEEEvT_T0_DpT1_,comdat
	.globl	_ZN2at6native12_GLOBAL__N_125multi_tensor_apply_kernelINS1_18TensorListMetadataILi2EEENS1_11CopyFunctorIasLi2ELi1ELi1EEEJNS0_4CopyIasEEEEEvT_T0_DpT1_ ; -- Begin function _ZN2at6native12_GLOBAL__N_125multi_tensor_apply_kernelINS1_18TensorListMetadataILi2EEENS1_11CopyFunctorIasLi2ELi1ELi1EEEJNS0_4CopyIasEEEEEvT_T0_DpT1_
	.p2align	8
	.type	_ZN2at6native12_GLOBAL__N_125multi_tensor_apply_kernelINS1_18TensorListMetadataILi2EEENS1_11CopyFunctorIasLi2ELi1ELi1EEEJNS0_4CopyIasEEEEEvT_T0_DpT1_,@function
_ZN2at6native12_GLOBAL__N_125multi_tensor_apply_kernelINS1_18TensorListMetadataILi2EEENS1_11CopyFunctorIasLi2ELi1ELi1EEEJNS0_4CopyIasEEEEEvT_T0_DpT1_: ; @_ZN2at6native12_GLOBAL__N_125multi_tensor_apply_kernelINS1_18TensorListMetadataILi2EEENS1_11CopyFunctorIasLi2ELi1ELi1EEEJNS0_4CopyIasEEEEEvT_T0_DpT1_
; %bb.0:
	v_mov_b32_e32 v1, s15
	s_add_u32 s2, s0, s15
	s_mul_i32 s4, s15, 3
	s_addc_u32 s3, s1, 0
	s_mul_hi_u32 s5, s15, 3
	global_load_u8 v1, v1, s[0:1] offset:1536
	s_add_u32 s2, s2, s4
	s_addc_u32 s3, s3, s5
	s_mov_b32 s17, 0
	s_load_b32 s10, s[2:3], 0x740
	s_waitcnt lgkmcnt(0)
	s_ashr_i32 s11, s10, 31
	s_delay_alu instid0(SALU_CYCLE_1) | instskip(SKIP_2) | instid1(VALU_DEP_1)
	s_lshl_b64 s[8:9], s[10:11], 16
	s_waitcnt vmcnt(0)
	v_readfirstlane_b32 s4, v1
	s_lshl_b32 s4, s4, 3
	s_clause 0x2
	s_load_b64 s[6:7], s[0:1], s4 offset:0x200
	s_load_b64 s[2:3], s[0:1], s4 offset:0x400
	;; [unrolled: 1-line block ×3, first 2 shown]
	s_waitcnt lgkmcnt(0)
	s_add_u32 s14, s6, s8
	s_addc_u32 s15, s7, s9
	s_delay_alu instid0(SALU_CYCLE_1) | instskip(SKIP_2) | instid1(SALU_CYCLE_1)
	s_or_b64 s[4:5], s[2:3], s[14:15]
	s_and_b32 s5, s12, 7
	s_and_b32 s4, s4, 3
	s_or_b32 s16, s4, s5
	s_sub_u32 s4, s2, s8
	s_subb_u32 s5, s3, s9
	s_cmp_eq_u64 s[16:17], 0
	s_mov_b32 s2, -1
	s_cbranch_scc0 .LBB175_5
; %bb.1:
	v_dual_mov_b32 v2, 0 :: v_dual_lshlrev_b32 v1, 2, v0
	s_mov_b32 s16, exec_lo
	s_delay_alu instid0(VALU_DEP_1)
	v_cmpx_gt_i64_e64 s[4:5], v[1:2]
	s_cbranch_execz .LBB175_4
; %bb.2:
	s_load_b32 s17, s[0:1], 0xc5c
	v_lshlrev_b32_e32 v3, 3, v0
	s_lshl_b64 s[2:3], s[10:11], 17
	s_waitcnt lgkmcnt(0)
	s_and_b32 s19, s17, 0xffff
	s_add_u32 s2, s12, s2
	s_addc_u32 s3, s13, s3
	v_add_co_u32 v3, s2, s2, v3
	s_delay_alu instid0(VALU_DEP_1)
	v_add_co_ci_u32_e64 v4, null, s3, 0, s2
	s_mov_b32 s17, 0
	s_lshl_b32 s18, s19, 3
	s_lshl_b32 s19, s19, 2
	.p2align	6
.LBB175_3:                              ; =>This Inner Loop Header: Depth=1
	global_load_b64 v[5:6], v[3:4], off
	v_add_co_u32 v7, vcc_lo, s14, v1
	v_add_co_ci_u32_e32 v8, vcc_lo, s15, v2, vcc_lo
	v_add_co_u32 v1, vcc_lo, s19, v1
	v_add_co_ci_u32_e32 v2, vcc_lo, 0, v2, vcc_lo
	v_add_co_u32 v3, s3, v3, s18
	s_delay_alu instid0(VALU_DEP_1) | instskip(NEXT) | instid1(VALU_DEP_3)
	v_add_co_ci_u32_e64 v4, s3, 0, v4, s3
	v_cmp_le_i64_e32 vcc_lo, s[4:5], v[1:2]
	v_cmp_lt_u64_e64 s2, 0xffff, v[1:2]
	s_delay_alu instid0(VALU_DEP_1) | instskip(NEXT) | instid1(SALU_CYCLE_1)
	s_or_b32 s2, vcc_lo, s2
	s_and_b32 s2, exec_lo, s2
	s_delay_alu instid0(SALU_CYCLE_1)
	s_or_b32 s17, s2, s17
	s_waitcnt vmcnt(0)
	v_perm_b32 v5, v5, v6, 0x2000604
	global_store_b32 v[7:8], v5, off
	s_and_not1_b32 exec_lo, exec_lo, s17
	s_cbranch_execnz .LBB175_3
.LBB175_4:
	s_or_b32 exec_lo, exec_lo, s16
	s_mov_b32 s2, 0
.LBB175_5:
	s_delay_alu instid0(SALU_CYCLE_1)
	s_and_not1_b32 vcc_lo, exec_lo, s2
	s_cbranch_vccnz .LBB175_25
; %bb.6:
	v_cmp_lt_i64_e64 s2, s[4:5], 1
	s_delay_alu instid0(VALU_DEP_1)
	s_and_b32 vcc_lo, exec_lo, s2
	s_cbranch_vccnz .LBB175_25
; %bb.7:
	s_load_b32 s0, s[0:1], 0xc5c
	v_cmp_gt_u64_e64 s1, 0x10000, s[4:5]
	v_add_co_u32 v5, s2, s8, v0
	v_lshlrev_b32_e32 v1, 1, v0
	v_add_co_ci_u32_e64 v6, null, s9, 0, s2
	s_delay_alu instid0(VALU_DEP_3) | instskip(NEXT) | instid1(VALU_DEP_2)
	v_add_co_u32 v15, vcc_lo, s6, v5
	v_add_co_ci_u32_e32 v16, vcc_lo, s7, v6, vcc_lo
	s_waitcnt lgkmcnt(0)
	s_and_b32 s0, s0, 0xffff
	s_and_b32 s1, s1, exec_lo
	s_cselect_b32 s3, s5, 0
	s_cselect_b32 s2, s4, 0x10000
	s_lshl_b64 s[10:11], s[10:11], 17
	s_lshl_b32 s14, s0, 1
	s_lshl_b32 s1, s0, 2
	s_add_u32 s12, s12, s10
	s_mul_i32 s15, s0, 3
	s_addc_u32 s11, s13, s11
	s_lshl_b32 s10, s0, 3
	v_add_co_u32 v1, s16, s12, v1
	s_add_u32 s13, s8, s15
	v_add_co_ci_u32_e64 v2, null, s11, 0, s16
	s_addc_u32 s16, s9, 0
	s_add_u32 s13, s6, s13
	s_addc_u32 s16, s7, s16
	v_add_co_u32 v17, s13, s13, v0
	s_delay_alu instid0(VALU_DEP_1) | instskip(SKIP_1) | instid1(VALU_DEP_1)
	v_add_co_ci_u32_e64 v18, null, s16, 0, s13
	v_add_co_u32 v19, s13, s15, v0
	v_add_co_ci_u32_e64 v20, null, 0, 0, s13
	v_add_co_u32 v21, s13, v0, s0
	s_add_u32 s8, s8, s14
	s_addc_u32 s9, s9, 0
	s_add_u32 s8, s6, s8
	s_delay_alu instid0(VALU_DEP_1) | instskip(SKIP_2) | instid1(VALU_DEP_1)
	v_lshlrev_b32_e32 v3, 1, v21
	s_addc_u32 s9, s7, s9
	v_add_co_u32 v22, s8, s8, v0
	v_add_co_ci_u32_e64 v23, null, s9, 0, s8
	v_add_co_u32 v25, s8, s14, v0
	s_add_u32 s6, s6, s0
	v_add_co_ci_u32_e64 v26, null, 0, 0, s8
	v_add_co_u32 v3, s8, s12, v3
	s_addc_u32 s7, s7, 0
	v_add_co_u32 v27, vcc_lo, s6, v5
	v_add_co_ci_u32_e64 v24, null, 0, 0, s13
	v_add_co_ci_u32_e64 v4, null, s11, 0, s8
	v_add_co_ci_u32_e32 v28, vcc_lo, s7, v6, vcc_lo
	s_mul_i32 s8, s0, 6
	s_mov_b64 s[6:7], 0
                                        ; implicit-def: $vgpr5_vgpr6
	s_branch .LBB175_9
.LBB175_8:                              ;   in Loop: Header=BB175_9 Depth=1
	s_or_b32 exec_lo, exec_lo, s0
	s_add_u32 s6, s6, s1
	s_addc_u32 s7, s7, 0
	v_add_co_u32 v1, vcc_lo, v1, s10
	v_cmp_ge_i64_e64 s0, s[6:7], s[4:5]
	v_cmp_lt_u64_e64 s9, 0xffff, s[6:7]
	v_add_co_ci_u32_e32 v2, vcc_lo, 0, v2, vcc_lo
	v_add_co_u32 v3, vcc_lo, v3, s10
	v_add_co_ci_u32_e32 v4, vcc_lo, 0, v4, vcc_lo
	s_delay_alu instid0(VALU_DEP_4) | instskip(NEXT) | instid1(SALU_CYCLE_1)
	s_or_b32 s0, s0, s9
	s_and_b32 vcc_lo, exec_lo, s0
	s_cbranch_vccnz .LBB175_25
.LBB175_9:                              ; =>This Inner Loop Header: Depth=1
	v_add_co_u32 v7, s0, v0, s6
	s_delay_alu instid0(VALU_DEP_1) | instskip(NEXT) | instid1(VALU_DEP_1)
	v_add_co_ci_u32_e64 v8, null, 0, s7, s0
	v_cmp_gt_i64_e32 vcc_lo, s[4:5], v[7:8]
	v_cmp_gt_u64_e64 s0, 0x10000, v[7:8]
	s_delay_alu instid0(VALU_DEP_1) | instskip(NEXT) | instid1(SALU_CYCLE_1)
	s_and_b32 s9, vcc_lo, s0
	s_and_saveexec_b32 s0, s9
	s_cbranch_execz .LBB175_11
; %bb.10:                               ;   in Loop: Header=BB175_9 Depth=1
	global_load_d16_b16 v5, v[1:2], off
.LBB175_11:                             ;   in Loop: Header=BB175_9 Depth=1
	s_or_b32 exec_lo, exec_lo, s0
	v_add_co_u32 v9, vcc_lo, v21, s6
	v_add_co_ci_u32_e32 v10, vcc_lo, s7, v24, vcc_lo
	s_delay_alu instid0(VALU_DEP_1) | instskip(SKIP_1) | instid1(VALU_DEP_1)
	v_cmp_gt_i64_e32 vcc_lo, s[4:5], v[9:10]
	v_cmp_gt_u64_e64 s0, 0x10000, v[9:10]
	s_and_b32 s9, vcc_lo, s0
	s_delay_alu instid0(SALU_CYCLE_1)
	s_and_saveexec_b32 s0, s9
	s_cbranch_execz .LBB175_13
; %bb.12:                               ;   in Loop: Header=BB175_9 Depth=1
	global_load_d16_hi_b16 v5, v[3:4], off
.LBB175_13:                             ;   in Loop: Header=BB175_9 Depth=1
	s_or_b32 exec_lo, exec_lo, s0
	v_add_co_u32 v11, vcc_lo, v25, s6
	v_add_co_ci_u32_e32 v12, vcc_lo, s7, v26, vcc_lo
	s_delay_alu instid0(VALU_DEP_1) | instskip(SKIP_1) | instid1(VALU_DEP_1)
	v_cmp_gt_i64_e32 vcc_lo, s[4:5], v[11:12]
	v_cmp_gt_u64_e64 s0, 0x10000, v[11:12]
	s_and_b32 s9, vcc_lo, s0
	s_delay_alu instid0(SALU_CYCLE_1)
	s_and_saveexec_b32 s0, s9
	s_cbranch_execz .LBB175_15
; %bb.14:                               ;   in Loop: Header=BB175_9 Depth=1
	v_add_co_u32 v13, vcc_lo, v1, s1
	v_add_co_ci_u32_e32 v14, vcc_lo, 0, v2, vcc_lo
	global_load_d16_b16 v6, v[13:14], off
.LBB175_15:                             ;   in Loop: Header=BB175_9 Depth=1
	s_or_b32 exec_lo, exec_lo, s0
	v_add_co_u32 v13, vcc_lo, v19, s6
	v_add_co_ci_u32_e32 v14, vcc_lo, s7, v20, vcc_lo
	s_delay_alu instid0(VALU_DEP_1) | instskip(SKIP_1) | instid1(VALU_DEP_1)
	v_cmp_gt_i64_e32 vcc_lo, s[4:5], v[13:14]
	v_cmp_gt_u64_e64 s0, 0x10000, v[13:14]
	s_and_b32 s9, vcc_lo, s0
	s_delay_alu instid0(SALU_CYCLE_1)
	s_and_saveexec_b32 s0, s9
	s_cbranch_execnz .LBB175_20
; %bb.16:                               ;   in Loop: Header=BB175_9 Depth=1
	s_or_b32 exec_lo, exec_lo, s0
	s_delay_alu instid0(SALU_CYCLE_1)
	s_mov_b32 s0, exec_lo
	v_cmpx_gt_u64_e64 s[2:3], v[7:8]
	s_cbranch_execnz .LBB175_21
.LBB175_17:                             ;   in Loop: Header=BB175_9 Depth=1
	s_or_b32 exec_lo, exec_lo, s0
	s_delay_alu instid0(SALU_CYCLE_1)
	s_mov_b32 s0, exec_lo
	v_cmpx_gt_u64_e64 s[2:3], v[9:10]
	s_cbranch_execnz .LBB175_22
.LBB175_18:                             ;   in Loop: Header=BB175_9 Depth=1
	s_or_b32 exec_lo, exec_lo, s0
	s_delay_alu instid0(SALU_CYCLE_1)
	s_mov_b32 s0, exec_lo
	v_cmpx_gt_u64_e64 s[2:3], v[11:12]
	s_cbranch_execnz .LBB175_23
.LBB175_19:                             ;   in Loop: Header=BB175_9 Depth=1
	s_or_b32 exec_lo, exec_lo, s0
	s_delay_alu instid0(SALU_CYCLE_1)
	s_mov_b32 s0, exec_lo
	v_cmpx_gt_u64_e64 s[2:3], v[13:14]
	s_cbranch_execz .LBB175_8
	s_branch .LBB175_24
.LBB175_20:                             ;   in Loop: Header=BB175_9 Depth=1
	v_add_co_u32 v29, vcc_lo, v1, s8
	v_add_co_ci_u32_e32 v30, vcc_lo, 0, v2, vcc_lo
	global_load_d16_hi_b16 v6, v[29:30], off
	s_or_b32 exec_lo, exec_lo, s0
	s_delay_alu instid0(SALU_CYCLE_1)
	s_mov_b32 s0, exec_lo
	v_cmpx_gt_u64_e64 s[2:3], v[7:8]
	s_cbranch_execz .LBB175_17
.LBB175_21:                             ;   in Loop: Header=BB175_9 Depth=1
	v_add_co_u32 v7, vcc_lo, v15, s6
	v_add_co_ci_u32_e32 v8, vcc_lo, s7, v16, vcc_lo
	s_waitcnt vmcnt(0)
	global_store_b8 v[7:8], v5, off
	s_or_b32 exec_lo, exec_lo, s0
	s_delay_alu instid0(SALU_CYCLE_1)
	s_mov_b32 s0, exec_lo
	v_cmpx_gt_u64_e64 s[2:3], v[9:10]
	s_cbranch_execz .LBB175_18
.LBB175_22:                             ;   in Loop: Header=BB175_9 Depth=1
	v_add_co_u32 v7, vcc_lo, v27, s6
	v_add_co_ci_u32_e32 v8, vcc_lo, s7, v28, vcc_lo
	s_waitcnt vmcnt(0)
	global_store_d16_hi_b8 v[7:8], v5, off
	s_or_b32 exec_lo, exec_lo, s0
	s_delay_alu instid0(SALU_CYCLE_1)
	s_mov_b32 s0, exec_lo
	v_cmpx_gt_u64_e64 s[2:3], v[11:12]
	s_cbranch_execz .LBB175_19
.LBB175_23:                             ;   in Loop: Header=BB175_9 Depth=1
	v_add_co_u32 v7, vcc_lo, v22, s6
	v_add_co_ci_u32_e32 v8, vcc_lo, s7, v23, vcc_lo
	s_waitcnt vmcnt(0)
	global_store_b8 v[7:8], v6, off
	s_or_b32 exec_lo, exec_lo, s0
	s_delay_alu instid0(SALU_CYCLE_1)
	s_mov_b32 s0, exec_lo
	v_cmpx_gt_u64_e64 s[2:3], v[13:14]
	s_cbranch_execz .LBB175_8
.LBB175_24:                             ;   in Loop: Header=BB175_9 Depth=1
	v_add_co_u32 v7, vcc_lo, v17, s6
	v_add_co_ci_u32_e32 v8, vcc_lo, s7, v18, vcc_lo
	s_waitcnt vmcnt(0)
	global_store_d16_hi_b8 v[7:8], v6, off
	s_branch .LBB175_8
.LBB175_25:
	s_nop 0
	s_sendmsg sendmsg(MSG_DEALLOC_VGPRS)
	s_endpgm
	.section	.rodata,"a",@progbits
	.p2align	6, 0x0
	.amdhsa_kernel _ZN2at6native12_GLOBAL__N_125multi_tensor_apply_kernelINS1_18TensorListMetadataILi2EEENS1_11CopyFunctorIasLi2ELi1ELi1EEEJNS0_4CopyIasEEEEEvT_T0_DpT1_
		.amdhsa_group_segment_fixed_size 0
		.amdhsa_private_segment_fixed_size 0
		.amdhsa_kernarg_size 3408
		.amdhsa_user_sgpr_count 15
		.amdhsa_user_sgpr_dispatch_ptr 0
		.amdhsa_user_sgpr_queue_ptr 0
		.amdhsa_user_sgpr_kernarg_segment_ptr 1
		.amdhsa_user_sgpr_dispatch_id 0
		.amdhsa_user_sgpr_private_segment_size 0
		.amdhsa_wavefront_size32 1
		.amdhsa_uses_dynamic_stack 0
		.amdhsa_enable_private_segment 0
		.amdhsa_system_sgpr_workgroup_id_x 1
		.amdhsa_system_sgpr_workgroup_id_y 0
		.amdhsa_system_sgpr_workgroup_id_z 0
		.amdhsa_system_sgpr_workgroup_info 0
		.amdhsa_system_vgpr_workitem_id 0
		.amdhsa_next_free_vgpr 31
		.amdhsa_next_free_sgpr 20
		.amdhsa_reserve_vcc 1
		.amdhsa_float_round_mode_32 0
		.amdhsa_float_round_mode_16_64 0
		.amdhsa_float_denorm_mode_32 3
		.amdhsa_float_denorm_mode_16_64 3
		.amdhsa_dx10_clamp 1
		.amdhsa_ieee_mode 1
		.amdhsa_fp16_overflow 0
		.amdhsa_workgroup_processor_mode 1
		.amdhsa_memory_ordered 1
		.amdhsa_forward_progress 0
		.amdhsa_shared_vgpr_count 0
		.amdhsa_exception_fp_ieee_invalid_op 0
		.amdhsa_exception_fp_denorm_src 0
		.amdhsa_exception_fp_ieee_div_zero 0
		.amdhsa_exception_fp_ieee_overflow 0
		.amdhsa_exception_fp_ieee_underflow 0
		.amdhsa_exception_fp_ieee_inexact 0
		.amdhsa_exception_int_div_zero 0
	.end_amdhsa_kernel
	.section	.text._ZN2at6native12_GLOBAL__N_125multi_tensor_apply_kernelINS1_18TensorListMetadataILi2EEENS1_11CopyFunctorIasLi2ELi1ELi1EEEJNS0_4CopyIasEEEEEvT_T0_DpT1_,"axG",@progbits,_ZN2at6native12_GLOBAL__N_125multi_tensor_apply_kernelINS1_18TensorListMetadataILi2EEENS1_11CopyFunctorIasLi2ELi1ELi1EEEJNS0_4CopyIasEEEEEvT_T0_DpT1_,comdat
.Lfunc_end175:
	.size	_ZN2at6native12_GLOBAL__N_125multi_tensor_apply_kernelINS1_18TensorListMetadataILi2EEENS1_11CopyFunctorIasLi2ELi1ELi1EEEJNS0_4CopyIasEEEEEvT_T0_DpT1_, .Lfunc_end175-_ZN2at6native12_GLOBAL__N_125multi_tensor_apply_kernelINS1_18TensorListMetadataILi2EEENS1_11CopyFunctorIasLi2ELi1ELi1EEEJNS0_4CopyIasEEEEEvT_T0_DpT1_
                                        ; -- End function
	.section	.AMDGPU.csdata,"",@progbits
; Kernel info:
; codeLenInByte = 1356
; NumSgprs: 22
; NumVgprs: 31
; ScratchSize: 0
; MemoryBound: 0
; FloatMode: 240
; IeeeMode: 1
; LDSByteSize: 0 bytes/workgroup (compile time only)
; SGPRBlocks: 2
; VGPRBlocks: 3
; NumSGPRsForWavesPerEU: 22
; NumVGPRsForWavesPerEU: 31
; Occupancy: 16
; WaveLimiterHint : 0
; COMPUTE_PGM_RSRC2:SCRATCH_EN: 0
; COMPUTE_PGM_RSRC2:USER_SGPR: 15
; COMPUTE_PGM_RSRC2:TRAP_HANDLER: 0
; COMPUTE_PGM_RSRC2:TGID_X_EN: 1
; COMPUTE_PGM_RSRC2:TGID_Y_EN: 0
; COMPUTE_PGM_RSRC2:TGID_Z_EN: 0
; COMPUTE_PGM_RSRC2:TIDIG_COMP_CNT: 0
	.section	.text._ZN2at6native12_GLOBAL__N_125multi_tensor_apply_kernelINS1_18TensorListMetadataILi2EEENS1_11CopyFunctorIaiLi2ELi1ELi1EEEJNS0_4CopyIaiEEEEEvT_T0_DpT1_,"axG",@progbits,_ZN2at6native12_GLOBAL__N_125multi_tensor_apply_kernelINS1_18TensorListMetadataILi2EEENS1_11CopyFunctorIaiLi2ELi1ELi1EEEJNS0_4CopyIaiEEEEEvT_T0_DpT1_,comdat
	.globl	_ZN2at6native12_GLOBAL__N_125multi_tensor_apply_kernelINS1_18TensorListMetadataILi2EEENS1_11CopyFunctorIaiLi2ELi1ELi1EEEJNS0_4CopyIaiEEEEEvT_T0_DpT1_ ; -- Begin function _ZN2at6native12_GLOBAL__N_125multi_tensor_apply_kernelINS1_18TensorListMetadataILi2EEENS1_11CopyFunctorIaiLi2ELi1ELi1EEEJNS0_4CopyIaiEEEEEvT_T0_DpT1_
	.p2align	8
	.type	_ZN2at6native12_GLOBAL__N_125multi_tensor_apply_kernelINS1_18TensorListMetadataILi2EEENS1_11CopyFunctorIaiLi2ELi1ELi1EEEJNS0_4CopyIaiEEEEEvT_T0_DpT1_,@function
_ZN2at6native12_GLOBAL__N_125multi_tensor_apply_kernelINS1_18TensorListMetadataILi2EEENS1_11CopyFunctorIaiLi2ELi1ELi1EEEJNS0_4CopyIaiEEEEEvT_T0_DpT1_: ; @_ZN2at6native12_GLOBAL__N_125multi_tensor_apply_kernelINS1_18TensorListMetadataILi2EEENS1_11CopyFunctorIaiLi2ELi1ELi1EEEJNS0_4CopyIaiEEEEEvT_T0_DpT1_
; %bb.0:
	v_mov_b32_e32 v1, s15
	s_add_u32 s2, s0, s15
	s_mul_i32 s4, s15, 3
	s_addc_u32 s3, s1, 0
	s_mul_hi_u32 s5, s15, 3
	global_load_u8 v1, v1, s[0:1] offset:1536
	s_add_u32 s2, s2, s4
	s_addc_u32 s3, s3, s5
	s_mov_b32 s17, 0
	s_load_b32 s10, s[2:3], 0x740
	s_waitcnt lgkmcnt(0)
	s_ashr_i32 s11, s10, 31
	s_delay_alu instid0(SALU_CYCLE_1) | instskip(SKIP_2) | instid1(VALU_DEP_1)
	s_lshl_b64 s[8:9], s[10:11], 16
	s_waitcnt vmcnt(0)
	v_readfirstlane_b32 s4, v1
	s_lshl_b32 s4, s4, 3
	s_clause 0x2
	s_load_b64 s[6:7], s[0:1], s4 offset:0x200
	s_load_b64 s[2:3], s[0:1], s4 offset:0x400
	;; [unrolled: 1-line block ×3, first 2 shown]
	s_waitcnt lgkmcnt(0)
	s_add_u32 s14, s6, s8
	s_addc_u32 s15, s7, s9
	s_delay_alu instid0(SALU_CYCLE_1) | instskip(SKIP_2) | instid1(SALU_CYCLE_1)
	s_or_b64 s[4:5], s[2:3], s[14:15]
	s_and_b32 s5, s12, 15
	s_and_b32 s4, s4, 3
	s_or_b32 s16, s4, s5
	s_sub_u32 s4, s2, s8
	s_subb_u32 s5, s3, s9
	s_cmp_eq_u64 s[16:17], 0
	s_mov_b32 s2, -1
	s_cbranch_scc0 .LBB176_5
; %bb.1:
	v_dual_mov_b32 v2, 0 :: v_dual_lshlrev_b32 v1, 2, v0
	s_mov_b32 s16, exec_lo
	s_delay_alu instid0(VALU_DEP_1)
	v_cmpx_gt_i64_e64 s[4:5], v[1:2]
	s_cbranch_execz .LBB176_4
; %bb.2:
	s_load_b32 s17, s[0:1], 0xc5c
	v_lshlrev_b32_e32 v3, 4, v0
	s_lshl_b64 s[2:3], s[10:11], 18
	s_mov_b32 s18, 0
	s_waitcnt lgkmcnt(0)
	s_and_b32 s19, s17, 0xffff
	s_delay_alu instid0(SALU_CYCLE_1) | instskip(SKIP_3) | instid1(VALU_DEP_1)
	s_lshl_b32 s17, s19, 2
	s_add_u32 s2, s12, s2
	s_addc_u32 s3, s13, s3
	v_add_co_u32 v3, s2, s2, v3
	v_add_co_ci_u32_e64 v4, null, s3, 0, s2
	s_lshl_b32 s19, s19, 4
	s_set_inst_prefetch_distance 0x1
	.p2align	6
.LBB176_3:                              ; =>This Inner Loop Header: Depth=1
	global_load_b128 v[5:8], v[3:4], off
	v_add_co_u32 v9, vcc_lo, s14, v1
	v_add_co_ci_u32_e32 v10, vcc_lo, s15, v2, vcc_lo
	v_add_co_u32 v1, vcc_lo, s17, v1
	v_add_co_ci_u32_e32 v2, vcc_lo, 0, v2, vcc_lo
	v_add_co_u32 v3, s3, v3, s19
	s_delay_alu instid0(VALU_DEP_1) | instskip(NEXT) | instid1(VALU_DEP_3)
	v_add_co_ci_u32_e64 v4, s3, 0, v4, s3
	v_cmp_le_i64_e32 vcc_lo, s[4:5], v[1:2]
	v_cmp_lt_u64_e64 s2, 0xffff, v[1:2]
	s_delay_alu instid0(VALU_DEP_1) | instskip(NEXT) | instid1(SALU_CYCLE_1)
	s_or_b32 s2, vcc_lo, s2
	s_and_b32 s2, exec_lo, s2
	s_delay_alu instid0(SALU_CYCLE_1)
	s_or_b32 s18, s2, s18
	s_waitcnt vmcnt(0)
	v_lshlrev_b16 v6, 8, v6
	v_and_b32_e32 v5, 0xff, v5
	v_lshlrev_b16 v8, 8, v8
	v_and_b32_e32 v7, 0xff, v7
	s_delay_alu instid0(VALU_DEP_3) | instskip(NEXT) | instid1(VALU_DEP_2)
	v_or_b32_e32 v5, v5, v6
	v_or_b32_e32 v6, v7, v8
	s_delay_alu instid0(VALU_DEP_2) | instskip(NEXT) | instid1(VALU_DEP_2)
	v_and_b32_e32 v5, 0xffff, v5
	v_lshlrev_b32_e32 v6, 16, v6
	s_delay_alu instid0(VALU_DEP_1)
	v_or_b32_e32 v5, v5, v6
	global_store_b32 v[9:10], v5, off
	s_and_not1_b32 exec_lo, exec_lo, s18
	s_cbranch_execnz .LBB176_3
.LBB176_4:
	s_set_inst_prefetch_distance 0x2
	s_or_b32 exec_lo, exec_lo, s16
	s_mov_b32 s2, 0
.LBB176_5:
	s_delay_alu instid0(SALU_CYCLE_1)
	s_and_not1_b32 vcc_lo, exec_lo, s2
	s_cbranch_vccnz .LBB176_25
; %bb.6:
	v_cmp_lt_i64_e64 s2, s[4:5], 1
	s_delay_alu instid0(VALU_DEP_1)
	s_and_b32 vcc_lo, exec_lo, s2
	s_cbranch_vccnz .LBB176_25
; %bb.7:
	s_load_b32 s0, s[0:1], 0xc5c
	v_cmp_gt_u64_e64 s1, 0x10000, s[4:5]
	v_add_co_u32 v5, s2, s8, v0
	v_lshlrev_b32_e32 v1, 2, v0
	v_add_co_ci_u32_e64 v6, null, s9, 0, s2
	s_delay_alu instid0(VALU_DEP_3) | instskip(NEXT) | instid1(VALU_DEP_2)
	v_add_co_u32 v13, vcc_lo, s6, v5
                                        ; implicit-def: $vgpr29
                                        ; implicit-def: $vgpr30
                                        ; implicit-def: $vgpr27
                                        ; implicit-def: $vgpr28
	v_add_co_ci_u32_e32 v14, vcc_lo, s7, v6, vcc_lo
	s_waitcnt lgkmcnt(0)
	s_and_b32 s0, s0, 0xffff
	s_and_b32 s1, s1, exec_lo
	s_cselect_b32 s3, s5, 0
	s_cselect_b32 s2, s4, 0x10000
	s_lshl_b64 s[10:11], s[10:11], 18
	s_lshl_b32 s14, s0, 1
	s_lshl_b32 s1, s0, 2
	s_add_u32 s12, s12, s10
	s_mul_i32 s15, s0, 3
	s_addc_u32 s13, s13, s11
	s_lshl_b32 s10, s0, 4
	v_add_co_u32 v1, s16, s12, v1
	s_add_u32 s11, s8, s15
	v_add_co_ci_u32_e64 v2, null, s13, 0, s16
	s_addc_u32 s16, s9, 0
	s_add_u32 s11, s6, s11
	s_addc_u32 s16, s7, s16
	v_add_co_u32 v15, s11, s11, v0
	s_delay_alu instid0(VALU_DEP_1)
	v_add_co_ci_u32_e64 v16, null, s16, 0, s11
	v_add_co_u32 v17, s11, s15, v0
	v_add_co_u32 v19, s15, v0, s0
	v_add_co_ci_u32_e64 v18, null, 0, 0, s11
	s_lshl_b32 s11, s0, 3
	s_add_u32 s8, s8, s14
	s_addc_u32 s9, s9, 0
	s_add_u32 s8, s6, s8
	v_lshlrev_b32_e32 v3, 2, v19
	s_addc_u32 s9, s7, s9
	v_add_co_u32 v20, s8, s8, v0
	s_delay_alu instid0(VALU_DEP_1)
	v_add_co_ci_u32_e64 v21, null, s9, 0, s8
	v_add_co_u32 v23, s8, s14, v0
	s_add_u32 s6, s6, s0
	v_add_co_ci_u32_e64 v24, null, 0, 0, s8
	v_add_co_u32 v3, s8, s12, v3
	s_addc_u32 s7, s7, 0
	v_add_co_u32 v25, vcc_lo, s6, v5
	v_add_co_ci_u32_e64 v22, null, 0, 0, s15
	v_add_co_ci_u32_e64 v4, null, s13, 0, s8
	v_add_co_ci_u32_e32 v26, vcc_lo, s7, v6, vcc_lo
	s_mul_i32 s8, s0, 12
	s_mov_b64 s[6:7], 0
	s_branch .LBB176_9
.LBB176_8:                              ;   in Loop: Header=BB176_9 Depth=1
	s_or_b32 exec_lo, exec_lo, s0
	s_add_u32 s6, s6, s1
	s_addc_u32 s7, s7, 0
	v_add_co_u32 v1, vcc_lo, v1, s10
	v_cmp_ge_i64_e64 s0, s[6:7], s[4:5]
	v_cmp_lt_u64_e64 s9, 0xffff, s[6:7]
	v_add_co_ci_u32_e32 v2, vcc_lo, 0, v2, vcc_lo
	v_add_co_u32 v3, vcc_lo, v3, s10
	v_add_co_ci_u32_e32 v4, vcc_lo, 0, v4, vcc_lo
	s_delay_alu instid0(VALU_DEP_4) | instskip(NEXT) | instid1(SALU_CYCLE_1)
	s_or_b32 s0, s0, s9
	s_and_b32 vcc_lo, exec_lo, s0
	s_cbranch_vccnz .LBB176_25
.LBB176_9:                              ; =>This Inner Loop Header: Depth=1
	v_add_co_u32 v5, s0, v0, s6
	s_delay_alu instid0(VALU_DEP_1) | instskip(NEXT) | instid1(VALU_DEP_1)
	v_add_co_ci_u32_e64 v6, null, 0, s7, s0
	v_cmp_gt_i64_e32 vcc_lo, s[4:5], v[5:6]
	v_cmp_gt_u64_e64 s0, 0x10000, v[5:6]
	s_delay_alu instid0(VALU_DEP_1) | instskip(NEXT) | instid1(SALU_CYCLE_1)
	s_and_b32 s9, vcc_lo, s0
	s_and_saveexec_b32 s0, s9
	s_cbranch_execz .LBB176_11
; %bb.10:                               ;   in Loop: Header=BB176_9 Depth=1
	global_load_b32 v28, v[1:2], off
.LBB176_11:                             ;   in Loop: Header=BB176_9 Depth=1
	s_or_b32 exec_lo, exec_lo, s0
	v_add_co_u32 v7, vcc_lo, v19, s6
	v_add_co_ci_u32_e32 v8, vcc_lo, s7, v22, vcc_lo
	s_delay_alu instid0(VALU_DEP_1) | instskip(SKIP_1) | instid1(VALU_DEP_1)
	v_cmp_gt_i64_e32 vcc_lo, s[4:5], v[7:8]
	v_cmp_gt_u64_e64 s0, 0x10000, v[7:8]
	s_and_b32 s9, vcc_lo, s0
	s_delay_alu instid0(SALU_CYCLE_1)
	s_and_saveexec_b32 s0, s9
	s_cbranch_execz .LBB176_13
; %bb.12:                               ;   in Loop: Header=BB176_9 Depth=1
	global_load_b32 v27, v[3:4], off
.LBB176_13:                             ;   in Loop: Header=BB176_9 Depth=1
	s_or_b32 exec_lo, exec_lo, s0
	v_add_co_u32 v9, vcc_lo, v23, s6
	v_add_co_ci_u32_e32 v10, vcc_lo, s7, v24, vcc_lo
	s_delay_alu instid0(VALU_DEP_1) | instskip(SKIP_1) | instid1(VALU_DEP_1)
	v_cmp_gt_i64_e32 vcc_lo, s[4:5], v[9:10]
	v_cmp_gt_u64_e64 s0, 0x10000, v[9:10]
	s_and_b32 s9, vcc_lo, s0
	s_delay_alu instid0(SALU_CYCLE_1)
	s_and_saveexec_b32 s0, s9
	s_cbranch_execz .LBB176_15
; %bb.14:                               ;   in Loop: Header=BB176_9 Depth=1
	v_add_co_u32 v11, vcc_lo, v1, s11
	v_add_co_ci_u32_e32 v12, vcc_lo, 0, v2, vcc_lo
	global_load_b32 v30, v[11:12], off
.LBB176_15:                             ;   in Loop: Header=BB176_9 Depth=1
	s_or_b32 exec_lo, exec_lo, s0
	v_add_co_u32 v11, vcc_lo, v17, s6
	v_add_co_ci_u32_e32 v12, vcc_lo, s7, v18, vcc_lo
	s_delay_alu instid0(VALU_DEP_1) | instskip(SKIP_1) | instid1(VALU_DEP_1)
	v_cmp_gt_i64_e32 vcc_lo, s[4:5], v[11:12]
	v_cmp_gt_u64_e64 s0, 0x10000, v[11:12]
	s_and_b32 s9, vcc_lo, s0
	s_delay_alu instid0(SALU_CYCLE_1)
	s_and_saveexec_b32 s0, s9
	s_cbranch_execnz .LBB176_20
; %bb.16:                               ;   in Loop: Header=BB176_9 Depth=1
	s_or_b32 exec_lo, exec_lo, s0
	s_delay_alu instid0(SALU_CYCLE_1)
	s_mov_b32 s0, exec_lo
	v_cmpx_gt_u64_e64 s[2:3], v[5:6]
	s_cbranch_execnz .LBB176_21
.LBB176_17:                             ;   in Loop: Header=BB176_9 Depth=1
	s_or_b32 exec_lo, exec_lo, s0
	s_delay_alu instid0(SALU_CYCLE_1)
	s_mov_b32 s0, exec_lo
	v_cmpx_gt_u64_e64 s[2:3], v[7:8]
	s_cbranch_execnz .LBB176_22
.LBB176_18:                             ;   in Loop: Header=BB176_9 Depth=1
	s_or_b32 exec_lo, exec_lo, s0
	s_delay_alu instid0(SALU_CYCLE_1)
	s_mov_b32 s0, exec_lo
	v_cmpx_gt_u64_e64 s[2:3], v[9:10]
	s_cbranch_execnz .LBB176_23
.LBB176_19:                             ;   in Loop: Header=BB176_9 Depth=1
	s_or_b32 exec_lo, exec_lo, s0
	s_delay_alu instid0(SALU_CYCLE_1)
	s_mov_b32 s0, exec_lo
	v_cmpx_gt_u64_e64 s[2:3], v[11:12]
	s_cbranch_execz .LBB176_8
	s_branch .LBB176_24
.LBB176_20:                             ;   in Loop: Header=BB176_9 Depth=1
	v_add_co_u32 v31, vcc_lo, v1, s8
	v_add_co_ci_u32_e32 v32, vcc_lo, 0, v2, vcc_lo
	global_load_b32 v29, v[31:32], off
	s_or_b32 exec_lo, exec_lo, s0
	s_delay_alu instid0(SALU_CYCLE_1)
	s_mov_b32 s0, exec_lo
	v_cmpx_gt_u64_e64 s[2:3], v[5:6]
	s_cbranch_execz .LBB176_17
.LBB176_21:                             ;   in Loop: Header=BB176_9 Depth=1
	v_add_co_u32 v5, vcc_lo, v13, s6
	v_add_co_ci_u32_e32 v6, vcc_lo, s7, v14, vcc_lo
	s_waitcnt vmcnt(0)
	global_store_b8 v[5:6], v28, off
	s_or_b32 exec_lo, exec_lo, s0
	s_delay_alu instid0(SALU_CYCLE_1)
	s_mov_b32 s0, exec_lo
	v_cmpx_gt_u64_e64 s[2:3], v[7:8]
	s_cbranch_execz .LBB176_18
.LBB176_22:                             ;   in Loop: Header=BB176_9 Depth=1
	v_add_co_u32 v5, vcc_lo, v25, s6
	v_add_co_ci_u32_e32 v6, vcc_lo, s7, v26, vcc_lo
	s_waitcnt vmcnt(0)
	global_store_b8 v[5:6], v27, off
	s_or_b32 exec_lo, exec_lo, s0
	s_delay_alu instid0(SALU_CYCLE_1)
	s_mov_b32 s0, exec_lo
	v_cmpx_gt_u64_e64 s[2:3], v[9:10]
	s_cbranch_execz .LBB176_19
.LBB176_23:                             ;   in Loop: Header=BB176_9 Depth=1
	v_add_co_u32 v5, vcc_lo, v20, s6
	v_add_co_ci_u32_e32 v6, vcc_lo, s7, v21, vcc_lo
	s_waitcnt vmcnt(0)
	global_store_b8 v[5:6], v30, off
	s_or_b32 exec_lo, exec_lo, s0
	s_delay_alu instid0(SALU_CYCLE_1)
	s_mov_b32 s0, exec_lo
	v_cmpx_gt_u64_e64 s[2:3], v[11:12]
	s_cbranch_execz .LBB176_8
.LBB176_24:                             ;   in Loop: Header=BB176_9 Depth=1
	v_add_co_u32 v5, vcc_lo, v15, s6
	v_add_co_ci_u32_e32 v6, vcc_lo, s7, v16, vcc_lo
	s_waitcnt vmcnt(0)
	global_store_b8 v[5:6], v29, off
	s_branch .LBB176_8
.LBB176_25:
	s_nop 0
	s_sendmsg sendmsg(MSG_DEALLOC_VGPRS)
	s_endpgm
	.section	.rodata,"a",@progbits
	.p2align	6, 0x0
	.amdhsa_kernel _ZN2at6native12_GLOBAL__N_125multi_tensor_apply_kernelINS1_18TensorListMetadataILi2EEENS1_11CopyFunctorIaiLi2ELi1ELi1EEEJNS0_4CopyIaiEEEEEvT_T0_DpT1_
		.amdhsa_group_segment_fixed_size 0
		.amdhsa_private_segment_fixed_size 0
		.amdhsa_kernarg_size 3408
		.amdhsa_user_sgpr_count 15
		.amdhsa_user_sgpr_dispatch_ptr 0
		.amdhsa_user_sgpr_queue_ptr 0
		.amdhsa_user_sgpr_kernarg_segment_ptr 1
		.amdhsa_user_sgpr_dispatch_id 0
		.amdhsa_user_sgpr_private_segment_size 0
		.amdhsa_wavefront_size32 1
		.amdhsa_uses_dynamic_stack 0
		.amdhsa_enable_private_segment 0
		.amdhsa_system_sgpr_workgroup_id_x 1
		.amdhsa_system_sgpr_workgroup_id_y 0
		.amdhsa_system_sgpr_workgroup_id_z 0
		.amdhsa_system_sgpr_workgroup_info 0
		.amdhsa_system_vgpr_workitem_id 0
		.amdhsa_next_free_vgpr 33
		.amdhsa_next_free_sgpr 20
		.amdhsa_reserve_vcc 1
		.amdhsa_float_round_mode_32 0
		.amdhsa_float_round_mode_16_64 0
		.amdhsa_float_denorm_mode_32 3
		.amdhsa_float_denorm_mode_16_64 3
		.amdhsa_dx10_clamp 1
		.amdhsa_ieee_mode 1
		.amdhsa_fp16_overflow 0
		.amdhsa_workgroup_processor_mode 1
		.amdhsa_memory_ordered 1
		.amdhsa_forward_progress 0
		.amdhsa_shared_vgpr_count 0
		.amdhsa_exception_fp_ieee_invalid_op 0
		.amdhsa_exception_fp_denorm_src 0
		.amdhsa_exception_fp_ieee_div_zero 0
		.amdhsa_exception_fp_ieee_overflow 0
		.amdhsa_exception_fp_ieee_underflow 0
		.amdhsa_exception_fp_ieee_inexact 0
		.amdhsa_exception_int_div_zero 0
	.end_amdhsa_kernel
	.section	.text._ZN2at6native12_GLOBAL__N_125multi_tensor_apply_kernelINS1_18TensorListMetadataILi2EEENS1_11CopyFunctorIaiLi2ELi1ELi1EEEJNS0_4CopyIaiEEEEEvT_T0_DpT1_,"axG",@progbits,_ZN2at6native12_GLOBAL__N_125multi_tensor_apply_kernelINS1_18TensorListMetadataILi2EEENS1_11CopyFunctorIaiLi2ELi1ELi1EEEJNS0_4CopyIaiEEEEEvT_T0_DpT1_,comdat
.Lfunc_end176:
	.size	_ZN2at6native12_GLOBAL__N_125multi_tensor_apply_kernelINS1_18TensorListMetadataILi2EEENS1_11CopyFunctorIaiLi2ELi1ELi1EEEJNS0_4CopyIaiEEEEEvT_T0_DpT1_, .Lfunc_end176-_ZN2at6native12_GLOBAL__N_125multi_tensor_apply_kernelINS1_18TensorListMetadataILi2EEENS1_11CopyFunctorIaiLi2ELi1ELi1EEEJNS0_4CopyIaiEEEEEvT_T0_DpT1_
                                        ; -- End function
	.section	.AMDGPU.csdata,"",@progbits
; Kernel info:
; codeLenInByte = 1424
; NumSgprs: 22
; NumVgprs: 33
; ScratchSize: 0
; MemoryBound: 0
; FloatMode: 240
; IeeeMode: 1
; LDSByteSize: 0 bytes/workgroup (compile time only)
; SGPRBlocks: 2
; VGPRBlocks: 4
; NumSGPRsForWavesPerEU: 22
; NumVGPRsForWavesPerEU: 33
; Occupancy: 16
; WaveLimiterHint : 0
; COMPUTE_PGM_RSRC2:SCRATCH_EN: 0
; COMPUTE_PGM_RSRC2:USER_SGPR: 15
; COMPUTE_PGM_RSRC2:TRAP_HANDLER: 0
; COMPUTE_PGM_RSRC2:TGID_X_EN: 1
; COMPUTE_PGM_RSRC2:TGID_Y_EN: 0
; COMPUTE_PGM_RSRC2:TGID_Z_EN: 0
; COMPUTE_PGM_RSRC2:TIDIG_COMP_CNT: 0
	.section	.text._ZN2at6native12_GLOBAL__N_125multi_tensor_apply_kernelINS1_18TensorListMetadataILi2EEENS1_11CopyFunctorIadLi2ELi1ELi1EEEJNS0_4CopyIadEEEEEvT_T0_DpT1_,"axG",@progbits,_ZN2at6native12_GLOBAL__N_125multi_tensor_apply_kernelINS1_18TensorListMetadataILi2EEENS1_11CopyFunctorIadLi2ELi1ELi1EEEJNS0_4CopyIadEEEEEvT_T0_DpT1_,comdat
	.globl	_ZN2at6native12_GLOBAL__N_125multi_tensor_apply_kernelINS1_18TensorListMetadataILi2EEENS1_11CopyFunctorIadLi2ELi1ELi1EEEJNS0_4CopyIadEEEEEvT_T0_DpT1_ ; -- Begin function _ZN2at6native12_GLOBAL__N_125multi_tensor_apply_kernelINS1_18TensorListMetadataILi2EEENS1_11CopyFunctorIadLi2ELi1ELi1EEEJNS0_4CopyIadEEEEEvT_T0_DpT1_
	.p2align	8
	.type	_ZN2at6native12_GLOBAL__N_125multi_tensor_apply_kernelINS1_18TensorListMetadataILi2EEENS1_11CopyFunctorIadLi2ELi1ELi1EEEJNS0_4CopyIadEEEEEvT_T0_DpT1_,@function
_ZN2at6native12_GLOBAL__N_125multi_tensor_apply_kernelINS1_18TensorListMetadataILi2EEENS1_11CopyFunctorIadLi2ELi1ELi1EEEJNS0_4CopyIadEEEEEvT_T0_DpT1_: ; @_ZN2at6native12_GLOBAL__N_125multi_tensor_apply_kernelINS1_18TensorListMetadataILi2EEENS1_11CopyFunctorIadLi2ELi1ELi1EEEJNS0_4CopyIadEEEEEvT_T0_DpT1_
; %bb.0:
	v_mov_b32_e32 v1, s15
	s_add_u32 s2, s0, s15
	s_mul_i32 s4, s15, 3
	s_addc_u32 s3, s1, 0
	s_mul_hi_u32 s5, s15, 3
	global_load_u8 v1, v1, s[0:1] offset:1536
	s_add_u32 s2, s2, s4
	s_addc_u32 s3, s3, s5
	s_mov_b32 s17, 0
	s_load_b32 s10, s[2:3], 0x740
	s_waitcnt lgkmcnt(0)
	s_ashr_i32 s11, s10, 31
	s_delay_alu instid0(SALU_CYCLE_1) | instskip(SKIP_2) | instid1(VALU_DEP_1)
	s_lshl_b64 s[8:9], s[10:11], 16
	s_waitcnt vmcnt(0)
	v_readfirstlane_b32 s4, v1
	s_lshl_b32 s4, s4, 3
	s_clause 0x2
	s_load_b64 s[6:7], s[0:1], s4 offset:0x200
	s_load_b64 s[2:3], s[0:1], s4 offset:0x400
	;; [unrolled: 1-line block ×3, first 2 shown]
	s_waitcnt lgkmcnt(0)
	s_add_u32 s14, s6, s8
	s_addc_u32 s15, s7, s9
	s_delay_alu instid0(SALU_CYCLE_1) | instskip(SKIP_2) | instid1(SALU_CYCLE_1)
	s_or_b64 s[4:5], s[2:3], s[14:15]
	s_and_b32 s5, s12, 31
	s_and_b32 s4, s4, 3
	s_or_b32 s16, s4, s5
	s_sub_u32 s4, s2, s8
	s_subb_u32 s5, s3, s9
	s_cmp_eq_u64 s[16:17], 0
	s_mov_b32 s2, -1
	s_cbranch_scc0 .LBB177_5
; %bb.1:
	v_dual_mov_b32 v2, 0 :: v_dual_lshlrev_b32 v1, 2, v0
	s_mov_b32 s16, exec_lo
	s_delay_alu instid0(VALU_DEP_1)
	v_cmpx_gt_i64_e64 s[4:5], v[1:2]
	s_cbranch_execz .LBB177_4
; %bb.2:
	s_load_b32 s17, s[0:1], 0xc5c
	v_lshlrev_b32_e32 v3, 5, v0
	s_lshl_b64 s[2:3], s[10:11], 19
	s_mov_b32 s18, 0
	s_waitcnt lgkmcnt(0)
	s_and_b32 s19, s17, 0xffff
	s_delay_alu instid0(SALU_CYCLE_1) | instskip(SKIP_3) | instid1(VALU_DEP_1)
	s_lshl_b32 s17, s19, 2
	s_add_u32 s2, s12, s2
	s_addc_u32 s3, s13, s3
	v_add_co_u32 v3, s2, s2, v3
	v_add_co_ci_u32_e64 v4, null, s3, 0, s2
	s_lshl_b32 s19, s19, 5
	s_set_inst_prefetch_distance 0x1
	.p2align	6
.LBB177_3:                              ; =>This Inner Loop Header: Depth=1
	s_clause 0x1
	global_load_b128 v[5:8], v[3:4], off
	global_load_b128 v[9:12], v[3:4], off offset:16
	v_add_co_u32 v3, s3, v3, s19
	s_delay_alu instid0(VALU_DEP_1)
	v_add_co_ci_u32_e64 v4, s3, 0, v4, s3
	s_waitcnt vmcnt(1)
	v_cvt_i32_f64_e32 v7, v[7:8]
	v_cvt_i32_f64_e32 v8, v[5:6]
	s_waitcnt vmcnt(0)
	v_cvt_i32_f64_e32 v11, v[11:12]
	v_cvt_i32_f64_e32 v9, v[9:10]
	v_add_co_u32 v5, vcc_lo, s14, v1
	v_add_co_ci_u32_e32 v6, vcc_lo, s15, v2, vcc_lo
	v_add_co_u32 v1, vcc_lo, s17, v1
	v_add_co_ci_u32_e32 v2, vcc_lo, 0, v2, vcc_lo
	s_delay_alu instid0(VALU_DEP_1) | instskip(SKIP_1) | instid1(VALU_DEP_1)
	v_cmp_le_i64_e32 vcc_lo, s[4:5], v[1:2]
	v_cmp_lt_u64_e64 s2, 0xffff, v[1:2]
	s_or_b32 s2, vcc_lo, s2
	s_delay_alu instid0(SALU_CYCLE_1) | instskip(NEXT) | instid1(SALU_CYCLE_1)
	s_and_b32 s2, exec_lo, s2
	s_or_b32 s18, s2, s18
	v_lshlrev_b16 v7, 8, v7
	v_and_b32_e32 v8, 0xff, v8
	v_lshlrev_b16 v10, 8, v11
	v_and_b32_e32 v9, 0xff, v9
	s_delay_alu instid0(VALU_DEP_3) | instskip(NEXT) | instid1(VALU_DEP_2)
	v_or_b32_e32 v7, v8, v7
	v_or_b32_e32 v8, v9, v10
	s_delay_alu instid0(VALU_DEP_2) | instskip(NEXT) | instid1(VALU_DEP_2)
	v_and_b32_e32 v7, 0xffff, v7
	v_lshlrev_b32_e32 v8, 16, v8
	s_delay_alu instid0(VALU_DEP_1)
	v_or_b32_e32 v7, v7, v8
	global_store_b32 v[5:6], v7, off
	s_and_not1_b32 exec_lo, exec_lo, s18
	s_cbranch_execnz .LBB177_3
.LBB177_4:
	s_set_inst_prefetch_distance 0x2
	s_or_b32 exec_lo, exec_lo, s16
	s_mov_b32 s2, 0
.LBB177_5:
	s_delay_alu instid0(SALU_CYCLE_1)
	s_and_not1_b32 vcc_lo, exec_lo, s2
	s_cbranch_vccnz .LBB177_25
; %bb.6:
	v_cmp_lt_i64_e64 s2, s[4:5], 1
	s_delay_alu instid0(VALU_DEP_1)
	s_and_b32 vcc_lo, exec_lo, s2
	s_cbranch_vccnz .LBB177_25
; %bb.7:
	s_load_b32 s0, s[0:1], 0xc5c
	v_cmp_gt_u64_e64 s1, 0x10000, s[4:5]
	v_add_co_u32 v5, s2, s8, v0
	v_lshlrev_b32_e32 v1, 3, v0
	v_add_co_ci_u32_e64 v6, null, s9, 0, s2
	s_delay_alu instid0(VALU_DEP_3) | instskip(NEXT) | instid1(VALU_DEP_2)
	v_add_co_u32 v21, vcc_lo, s6, v5
                                        ; implicit-def: $vgpr9_vgpr10
                                        ; implicit-def: $vgpr11_vgpr12
                                        ; implicit-def: $vgpr7_vgpr8
	v_add_co_ci_u32_e32 v22, vcc_lo, s7, v6, vcc_lo
	s_waitcnt lgkmcnt(0)
	s_and_b32 s0, s0, 0xffff
	s_and_b32 s1, s1, exec_lo
	s_cselect_b32 s3, s5, 0
	s_cselect_b32 s2, s4, 0x10000
	s_lshl_b64 s[10:11], s[10:11], 19
	s_lshl_b32 s14, s0, 1
	s_lshl_b32 s1, s0, 2
	s_add_u32 s12, s12, s10
	s_mul_i32 s15, s0, 3
	s_addc_u32 s13, s13, s11
	s_lshl_b32 s10, s0, 5
	v_add_co_u32 v1, s16, s12, v1
	s_add_u32 s11, s8, s15
	v_add_co_ci_u32_e64 v2, null, s13, 0, s16
	s_addc_u32 s16, s9, 0
	s_add_u32 s11, s6, s11
	s_addc_u32 s16, s7, s16
	v_add_co_u32 v23, s11, s11, v0
	s_delay_alu instid0(VALU_DEP_1)
	v_add_co_ci_u32_e64 v24, null, s16, 0, s11
	v_add_co_u32 v25, s11, s15, v0
	v_add_co_u32 v27, s15, v0, s0
	v_add_co_ci_u32_e64 v26, null, 0, 0, s11
	s_lshl_b32 s11, s0, 4
	s_add_u32 s8, s8, s14
	s_addc_u32 s9, s9, 0
	s_add_u32 s8, s6, s8
	v_lshlrev_b32_e32 v3, 3, v27
	s_addc_u32 s9, s7, s9
	v_add_co_u32 v28, s8, s8, v0
	s_delay_alu instid0(VALU_DEP_1)
	v_add_co_ci_u32_e64 v29, null, s9, 0, s8
	v_add_co_u32 v31, s8, s14, v0
	s_add_u32 s6, s6, s0
	v_add_co_ci_u32_e64 v32, null, 0, 0, s8
	v_add_co_u32 v3, s8, s12, v3
	s_addc_u32 s7, s7, 0
	v_add_co_u32 v33, vcc_lo, s6, v5
	v_add_co_ci_u32_e64 v30, null, 0, 0, s15
	v_add_co_ci_u32_e64 v4, null, s13, 0, s8
	v_add_co_ci_u32_e32 v34, vcc_lo, s7, v6, vcc_lo
	s_mul_i32 s8, s0, 24
	s_mov_b64 s[6:7], 0
                                        ; implicit-def: $vgpr5_vgpr6
	s_branch .LBB177_9
.LBB177_8:                              ;   in Loop: Header=BB177_9 Depth=1
	s_or_b32 exec_lo, exec_lo, s0
	s_add_u32 s6, s6, s1
	s_addc_u32 s7, s7, 0
	v_add_co_u32 v1, vcc_lo, v1, s10
	v_cmp_ge_i64_e64 s0, s[6:7], s[4:5]
	v_cmp_lt_u64_e64 s9, 0xffff, s[6:7]
	v_add_co_ci_u32_e32 v2, vcc_lo, 0, v2, vcc_lo
	v_add_co_u32 v3, vcc_lo, v3, s10
	v_add_co_ci_u32_e32 v4, vcc_lo, 0, v4, vcc_lo
	s_delay_alu instid0(VALU_DEP_4) | instskip(NEXT) | instid1(SALU_CYCLE_1)
	s_or_b32 s0, s0, s9
	s_and_b32 vcc_lo, exec_lo, s0
	s_cbranch_vccnz .LBB177_25
.LBB177_9:                              ; =>This Inner Loop Header: Depth=1
	v_add_co_u32 v13, s0, v0, s6
	s_delay_alu instid0(VALU_DEP_1) | instskip(NEXT) | instid1(VALU_DEP_1)
	v_add_co_ci_u32_e64 v14, null, 0, s7, s0
	v_cmp_gt_i64_e32 vcc_lo, s[4:5], v[13:14]
	v_cmp_gt_u64_e64 s0, 0x10000, v[13:14]
	s_delay_alu instid0(VALU_DEP_1) | instskip(NEXT) | instid1(SALU_CYCLE_1)
	s_and_b32 s9, vcc_lo, s0
	s_and_saveexec_b32 s0, s9
	s_cbranch_execz .LBB177_11
; %bb.10:                               ;   in Loop: Header=BB177_9 Depth=1
	global_load_b64 v[7:8], v[1:2], off
.LBB177_11:                             ;   in Loop: Header=BB177_9 Depth=1
	s_or_b32 exec_lo, exec_lo, s0
	v_add_co_u32 v15, vcc_lo, v27, s6
	v_add_co_ci_u32_e32 v16, vcc_lo, s7, v30, vcc_lo
	s_delay_alu instid0(VALU_DEP_1) | instskip(SKIP_1) | instid1(VALU_DEP_1)
	v_cmp_gt_i64_e32 vcc_lo, s[4:5], v[15:16]
	v_cmp_gt_u64_e64 s0, 0x10000, v[15:16]
	s_and_b32 s9, vcc_lo, s0
	s_delay_alu instid0(SALU_CYCLE_1)
	s_and_saveexec_b32 s0, s9
	s_cbranch_execz .LBB177_13
; %bb.12:                               ;   in Loop: Header=BB177_9 Depth=1
	global_load_b64 v[5:6], v[3:4], off
.LBB177_13:                             ;   in Loop: Header=BB177_9 Depth=1
	s_or_b32 exec_lo, exec_lo, s0
	v_add_co_u32 v17, vcc_lo, v31, s6
	v_add_co_ci_u32_e32 v18, vcc_lo, s7, v32, vcc_lo
	s_delay_alu instid0(VALU_DEP_1) | instskip(SKIP_1) | instid1(VALU_DEP_1)
	v_cmp_gt_i64_e32 vcc_lo, s[4:5], v[17:18]
	v_cmp_gt_u64_e64 s0, 0x10000, v[17:18]
	s_and_b32 s9, vcc_lo, s0
	s_delay_alu instid0(SALU_CYCLE_1)
	s_and_saveexec_b32 s0, s9
	s_cbranch_execz .LBB177_15
; %bb.14:                               ;   in Loop: Header=BB177_9 Depth=1
	s_waitcnt vmcnt(0)
	v_add_co_u32 v11, vcc_lo, v1, s11
	v_add_co_ci_u32_e32 v12, vcc_lo, 0, v2, vcc_lo
	global_load_b64 v[11:12], v[11:12], off
.LBB177_15:                             ;   in Loop: Header=BB177_9 Depth=1
	s_or_b32 exec_lo, exec_lo, s0
	v_add_co_u32 v19, vcc_lo, v25, s6
	v_add_co_ci_u32_e32 v20, vcc_lo, s7, v26, vcc_lo
	s_delay_alu instid0(VALU_DEP_1) | instskip(SKIP_1) | instid1(VALU_DEP_1)
	v_cmp_gt_i64_e32 vcc_lo, s[4:5], v[19:20]
	v_cmp_gt_u64_e64 s0, 0x10000, v[19:20]
	s_and_b32 s9, vcc_lo, s0
	s_delay_alu instid0(SALU_CYCLE_1)
	s_and_saveexec_b32 s0, s9
	s_cbranch_execnz .LBB177_20
; %bb.16:                               ;   in Loop: Header=BB177_9 Depth=1
	s_or_b32 exec_lo, exec_lo, s0
	s_delay_alu instid0(SALU_CYCLE_1)
	s_mov_b32 s0, exec_lo
	v_cmpx_gt_u64_e64 s[2:3], v[13:14]
	s_cbranch_execnz .LBB177_21
.LBB177_17:                             ;   in Loop: Header=BB177_9 Depth=1
	s_or_b32 exec_lo, exec_lo, s0
	s_delay_alu instid0(SALU_CYCLE_1)
	s_mov_b32 s0, exec_lo
	v_cmpx_gt_u64_e64 s[2:3], v[15:16]
	s_cbranch_execnz .LBB177_22
.LBB177_18:                             ;   in Loop: Header=BB177_9 Depth=1
	s_or_b32 exec_lo, exec_lo, s0
	s_delay_alu instid0(SALU_CYCLE_1)
	s_mov_b32 s0, exec_lo
	v_cmpx_gt_u64_e64 s[2:3], v[17:18]
	s_cbranch_execnz .LBB177_23
.LBB177_19:                             ;   in Loop: Header=BB177_9 Depth=1
	s_or_b32 exec_lo, exec_lo, s0
	s_delay_alu instid0(SALU_CYCLE_1)
	s_mov_b32 s0, exec_lo
	v_cmpx_gt_u64_e64 s[2:3], v[19:20]
	s_cbranch_execz .LBB177_8
	s_branch .LBB177_24
.LBB177_20:                             ;   in Loop: Header=BB177_9 Depth=1
	s_waitcnt vmcnt(0)
	v_add_co_u32 v9, vcc_lo, v1, s8
	v_add_co_ci_u32_e32 v10, vcc_lo, 0, v2, vcc_lo
	global_load_b64 v[9:10], v[9:10], off
	s_or_b32 exec_lo, exec_lo, s0
	s_delay_alu instid0(SALU_CYCLE_1)
	s_mov_b32 s0, exec_lo
	v_cmpx_gt_u64_e64 s[2:3], v[13:14]
	s_cbranch_execz .LBB177_17
.LBB177_21:                             ;   in Loop: Header=BB177_9 Depth=1
	s_waitcnt vmcnt(0)
	v_cvt_i32_f64_e32 v35, v[7:8]
	v_add_co_u32 v13, vcc_lo, v21, s6
	v_add_co_ci_u32_e32 v14, vcc_lo, s7, v22, vcc_lo
	global_store_b8 v[13:14], v35, off
	s_or_b32 exec_lo, exec_lo, s0
	s_delay_alu instid0(SALU_CYCLE_1)
	s_mov_b32 s0, exec_lo
	v_cmpx_gt_u64_e64 s[2:3], v[15:16]
	s_cbranch_execz .LBB177_18
.LBB177_22:                             ;   in Loop: Header=BB177_9 Depth=1
	s_waitcnt vmcnt(0)
	v_cvt_i32_f64_e32 v15, v[5:6]
	v_add_co_u32 v13, vcc_lo, v33, s6
	v_add_co_ci_u32_e32 v14, vcc_lo, s7, v34, vcc_lo
	global_store_b8 v[13:14], v15, off
	s_or_b32 exec_lo, exec_lo, s0
	s_delay_alu instid0(SALU_CYCLE_1)
	s_mov_b32 s0, exec_lo
	v_cmpx_gt_u64_e64 s[2:3], v[17:18]
	s_cbranch_execz .LBB177_19
.LBB177_23:                             ;   in Loop: Header=BB177_9 Depth=1
	s_waitcnt vmcnt(0)
	v_cvt_i32_f64_e32 v15, v[11:12]
	v_add_co_u32 v13, vcc_lo, v28, s6
	v_add_co_ci_u32_e32 v14, vcc_lo, s7, v29, vcc_lo
	global_store_b8 v[13:14], v15, off
	s_or_b32 exec_lo, exec_lo, s0
	s_delay_alu instid0(SALU_CYCLE_1)
	s_mov_b32 s0, exec_lo
	v_cmpx_gt_u64_e64 s[2:3], v[19:20]
	s_cbranch_execz .LBB177_8
.LBB177_24:                             ;   in Loop: Header=BB177_9 Depth=1
	s_waitcnt vmcnt(0)
	v_cvt_i32_f64_e32 v15, v[9:10]
	v_add_co_u32 v13, vcc_lo, v23, s6
	v_add_co_ci_u32_e32 v14, vcc_lo, s7, v24, vcc_lo
	global_store_b8 v[13:14], v15, off
	s_branch .LBB177_8
.LBB177_25:
	s_nop 0
	s_sendmsg sendmsg(MSG_DEALLOC_VGPRS)
	s_endpgm
	.section	.rodata,"a",@progbits
	.p2align	6, 0x0
	.amdhsa_kernel _ZN2at6native12_GLOBAL__N_125multi_tensor_apply_kernelINS1_18TensorListMetadataILi2EEENS1_11CopyFunctorIadLi2ELi1ELi1EEEJNS0_4CopyIadEEEEEvT_T0_DpT1_
		.amdhsa_group_segment_fixed_size 0
		.amdhsa_private_segment_fixed_size 0
		.amdhsa_kernarg_size 3408
		.amdhsa_user_sgpr_count 15
		.amdhsa_user_sgpr_dispatch_ptr 0
		.amdhsa_user_sgpr_queue_ptr 0
		.amdhsa_user_sgpr_kernarg_segment_ptr 1
		.amdhsa_user_sgpr_dispatch_id 0
		.amdhsa_user_sgpr_private_segment_size 0
		.amdhsa_wavefront_size32 1
		.amdhsa_uses_dynamic_stack 0
		.amdhsa_enable_private_segment 0
		.amdhsa_system_sgpr_workgroup_id_x 1
		.amdhsa_system_sgpr_workgroup_id_y 0
		.amdhsa_system_sgpr_workgroup_id_z 0
		.amdhsa_system_sgpr_workgroup_info 0
		.amdhsa_system_vgpr_workitem_id 0
		.amdhsa_next_free_vgpr 36
		.amdhsa_next_free_sgpr 20
		.amdhsa_reserve_vcc 1
		.amdhsa_float_round_mode_32 0
		.amdhsa_float_round_mode_16_64 0
		.amdhsa_float_denorm_mode_32 3
		.amdhsa_float_denorm_mode_16_64 3
		.amdhsa_dx10_clamp 1
		.amdhsa_ieee_mode 1
		.amdhsa_fp16_overflow 0
		.amdhsa_workgroup_processor_mode 1
		.amdhsa_memory_ordered 1
		.amdhsa_forward_progress 0
		.amdhsa_shared_vgpr_count 0
		.amdhsa_exception_fp_ieee_invalid_op 0
		.amdhsa_exception_fp_denorm_src 0
		.amdhsa_exception_fp_ieee_div_zero 0
		.amdhsa_exception_fp_ieee_overflow 0
		.amdhsa_exception_fp_ieee_underflow 0
		.amdhsa_exception_fp_ieee_inexact 0
		.amdhsa_exception_int_div_zero 0
	.end_amdhsa_kernel
	.section	.text._ZN2at6native12_GLOBAL__N_125multi_tensor_apply_kernelINS1_18TensorListMetadataILi2EEENS1_11CopyFunctorIadLi2ELi1ELi1EEEJNS0_4CopyIadEEEEEvT_T0_DpT1_,"axG",@progbits,_ZN2at6native12_GLOBAL__N_125multi_tensor_apply_kernelINS1_18TensorListMetadataILi2EEENS1_11CopyFunctorIadLi2ELi1ELi1EEEJNS0_4CopyIadEEEEEvT_T0_DpT1_,comdat
.Lfunc_end177:
	.size	_ZN2at6native12_GLOBAL__N_125multi_tensor_apply_kernelINS1_18TensorListMetadataILi2EEENS1_11CopyFunctorIadLi2ELi1ELi1EEEJNS0_4CopyIadEEEEEvT_T0_DpT1_, .Lfunc_end177-_ZN2at6native12_GLOBAL__N_125multi_tensor_apply_kernelINS1_18TensorListMetadataILi2EEENS1_11CopyFunctorIadLi2ELi1ELi1EEEJNS0_4CopyIadEEEEEvT_T0_DpT1_
                                        ; -- End function
	.section	.AMDGPU.csdata,"",@progbits
; Kernel info:
; codeLenInByte = 1480
; NumSgprs: 22
; NumVgprs: 36
; ScratchSize: 0
; MemoryBound: 0
; FloatMode: 240
; IeeeMode: 1
; LDSByteSize: 0 bytes/workgroup (compile time only)
; SGPRBlocks: 2
; VGPRBlocks: 4
; NumSGPRsForWavesPerEU: 22
; NumVGPRsForWavesPerEU: 36
; Occupancy: 16
; WaveLimiterHint : 0
; COMPUTE_PGM_RSRC2:SCRATCH_EN: 0
; COMPUTE_PGM_RSRC2:USER_SGPR: 15
; COMPUTE_PGM_RSRC2:TRAP_HANDLER: 0
; COMPUTE_PGM_RSRC2:TGID_X_EN: 1
; COMPUTE_PGM_RSRC2:TGID_Y_EN: 0
; COMPUTE_PGM_RSRC2:TGID_Z_EN: 0
; COMPUTE_PGM_RSRC2:TIDIG_COMP_CNT: 0
	.section	.text._ZN2at6native12_GLOBAL__N_125multi_tensor_apply_kernelINS1_18TensorListMetadataILi2EEENS1_11CopyFunctorIafLi2ELi1ELi1EEEJNS0_4CopyIafEEEEEvT_T0_DpT1_,"axG",@progbits,_ZN2at6native12_GLOBAL__N_125multi_tensor_apply_kernelINS1_18TensorListMetadataILi2EEENS1_11CopyFunctorIafLi2ELi1ELi1EEEJNS0_4CopyIafEEEEEvT_T0_DpT1_,comdat
	.globl	_ZN2at6native12_GLOBAL__N_125multi_tensor_apply_kernelINS1_18TensorListMetadataILi2EEENS1_11CopyFunctorIafLi2ELi1ELi1EEEJNS0_4CopyIafEEEEEvT_T0_DpT1_ ; -- Begin function _ZN2at6native12_GLOBAL__N_125multi_tensor_apply_kernelINS1_18TensorListMetadataILi2EEENS1_11CopyFunctorIafLi2ELi1ELi1EEEJNS0_4CopyIafEEEEEvT_T0_DpT1_
	.p2align	8
	.type	_ZN2at6native12_GLOBAL__N_125multi_tensor_apply_kernelINS1_18TensorListMetadataILi2EEENS1_11CopyFunctorIafLi2ELi1ELi1EEEJNS0_4CopyIafEEEEEvT_T0_DpT1_,@function
_ZN2at6native12_GLOBAL__N_125multi_tensor_apply_kernelINS1_18TensorListMetadataILi2EEENS1_11CopyFunctorIafLi2ELi1ELi1EEEJNS0_4CopyIafEEEEEvT_T0_DpT1_: ; @_ZN2at6native12_GLOBAL__N_125multi_tensor_apply_kernelINS1_18TensorListMetadataILi2EEENS1_11CopyFunctorIafLi2ELi1ELi1EEEJNS0_4CopyIafEEEEEvT_T0_DpT1_
; %bb.0:
	v_mov_b32_e32 v1, s15
	s_add_u32 s2, s0, s15
	s_mul_i32 s4, s15, 3
	s_addc_u32 s3, s1, 0
	s_mul_hi_u32 s5, s15, 3
	global_load_u8 v1, v1, s[0:1] offset:1536
	s_add_u32 s2, s2, s4
	s_addc_u32 s3, s3, s5
	s_mov_b32 s17, 0
	s_load_b32 s10, s[2:3], 0x740
	s_waitcnt lgkmcnt(0)
	s_ashr_i32 s11, s10, 31
	s_delay_alu instid0(SALU_CYCLE_1) | instskip(SKIP_2) | instid1(VALU_DEP_1)
	s_lshl_b64 s[8:9], s[10:11], 16
	s_waitcnt vmcnt(0)
	v_readfirstlane_b32 s4, v1
	s_lshl_b32 s4, s4, 3
	s_clause 0x2
	s_load_b64 s[6:7], s[0:1], s4 offset:0x200
	s_load_b64 s[2:3], s[0:1], s4 offset:0x400
	;; [unrolled: 1-line block ×3, first 2 shown]
	s_waitcnt lgkmcnt(0)
	s_add_u32 s14, s6, s8
	s_addc_u32 s15, s7, s9
	s_delay_alu instid0(SALU_CYCLE_1) | instskip(SKIP_2) | instid1(SALU_CYCLE_1)
	s_or_b64 s[4:5], s[2:3], s[14:15]
	s_and_b32 s5, s12, 15
	s_and_b32 s4, s4, 3
	s_or_b32 s16, s4, s5
	s_sub_u32 s4, s2, s8
	s_subb_u32 s5, s3, s9
	s_cmp_eq_u64 s[16:17], 0
	s_mov_b32 s2, -1
	s_cbranch_scc0 .LBB178_5
; %bb.1:
	v_dual_mov_b32 v2, 0 :: v_dual_lshlrev_b32 v1, 2, v0
	s_mov_b32 s16, exec_lo
	s_delay_alu instid0(VALU_DEP_1)
	v_cmpx_gt_i64_e64 s[4:5], v[1:2]
	s_cbranch_execz .LBB178_4
; %bb.2:
	s_load_b32 s17, s[0:1], 0xc5c
	v_lshlrev_b32_e32 v3, 4, v0
	s_lshl_b64 s[2:3], s[10:11], 18
	s_mov_b32 s18, 0
	s_waitcnt lgkmcnt(0)
	s_and_b32 s19, s17, 0xffff
	s_delay_alu instid0(SALU_CYCLE_1) | instskip(SKIP_3) | instid1(VALU_DEP_1)
	s_lshl_b32 s17, s19, 2
	s_add_u32 s2, s12, s2
	s_addc_u32 s3, s13, s3
	v_add_co_u32 v3, s2, s2, v3
	v_add_co_ci_u32_e64 v4, null, s3, 0, s2
	s_lshl_b32 s19, s19, 4
	s_set_inst_prefetch_distance 0x1
	.p2align	6
.LBB178_3:                              ; =>This Inner Loop Header: Depth=1
	global_load_b128 v[5:8], v[3:4], off
	v_add_co_u32 v9, vcc_lo, s14, v1
	v_add_co_ci_u32_e32 v10, vcc_lo, s15, v2, vcc_lo
	v_add_co_u32 v1, vcc_lo, s17, v1
	v_add_co_ci_u32_e32 v2, vcc_lo, 0, v2, vcc_lo
	v_add_co_u32 v3, s3, v3, s19
	s_delay_alu instid0(VALU_DEP_1) | instskip(NEXT) | instid1(VALU_DEP_3)
	v_add_co_ci_u32_e64 v4, s3, 0, v4, s3
	v_cmp_le_i64_e32 vcc_lo, s[4:5], v[1:2]
	v_cmp_lt_u64_e64 s2, 0xffff, v[1:2]
	s_delay_alu instid0(VALU_DEP_1) | instskip(NEXT) | instid1(SALU_CYCLE_1)
	s_or_b32 s2, vcc_lo, s2
	s_and_b32 s2, exec_lo, s2
	s_delay_alu instid0(SALU_CYCLE_1)
	s_or_b32 s18, s2, s18
	s_waitcnt vmcnt(0)
	v_cvt_i32_f32_e32 v6, v6
	v_cvt_i32_f32_e32 v5, v5
	;; [unrolled: 1-line block ×4, first 2 shown]
	s_delay_alu instid0(VALU_DEP_4) | instskip(NEXT) | instid1(VALU_DEP_4)
	v_lshlrev_b16 v6, 8, v6
	v_and_b32_e32 v5, 0xff, v5
	s_delay_alu instid0(VALU_DEP_4) | instskip(NEXT) | instid1(VALU_DEP_4)
	v_lshlrev_b16 v8, 8, v8
	v_and_b32_e32 v7, 0xff, v7
	s_delay_alu instid0(VALU_DEP_3) | instskip(NEXT) | instid1(VALU_DEP_2)
	v_or_b32_e32 v5, v5, v6
	v_or_b32_e32 v6, v7, v8
	s_delay_alu instid0(VALU_DEP_2) | instskip(NEXT) | instid1(VALU_DEP_2)
	v_and_b32_e32 v5, 0xffff, v5
	v_lshlrev_b32_e32 v6, 16, v6
	s_delay_alu instid0(VALU_DEP_1)
	v_or_b32_e32 v5, v5, v6
	global_store_b32 v[9:10], v5, off
	s_and_not1_b32 exec_lo, exec_lo, s18
	s_cbranch_execnz .LBB178_3
.LBB178_4:
	s_set_inst_prefetch_distance 0x2
	s_or_b32 exec_lo, exec_lo, s16
	s_mov_b32 s2, 0
.LBB178_5:
	s_delay_alu instid0(SALU_CYCLE_1)
	s_and_not1_b32 vcc_lo, exec_lo, s2
	s_cbranch_vccnz .LBB178_25
; %bb.6:
	v_cmp_lt_i64_e64 s2, s[4:5], 1
	s_delay_alu instid0(VALU_DEP_1)
	s_and_b32 vcc_lo, exec_lo, s2
	s_cbranch_vccnz .LBB178_25
; %bb.7:
	s_load_b32 s0, s[0:1], 0xc5c
	v_cmp_gt_u64_e64 s1, 0x10000, s[4:5]
	v_add_co_u32 v5, s2, s8, v0
	v_lshlrev_b32_e32 v1, 2, v0
	v_add_co_ci_u32_e64 v6, null, s9, 0, s2
	s_delay_alu instid0(VALU_DEP_3) | instskip(NEXT) | instid1(VALU_DEP_2)
	v_add_co_u32 v13, vcc_lo, s6, v5
                                        ; implicit-def: $vgpr29
                                        ; implicit-def: $vgpr30
                                        ; implicit-def: $vgpr27
                                        ; implicit-def: $vgpr28
	v_add_co_ci_u32_e32 v14, vcc_lo, s7, v6, vcc_lo
	s_waitcnt lgkmcnt(0)
	s_and_b32 s0, s0, 0xffff
	s_and_b32 s1, s1, exec_lo
	s_cselect_b32 s3, s5, 0
	s_cselect_b32 s2, s4, 0x10000
	s_lshl_b64 s[10:11], s[10:11], 18
	s_lshl_b32 s14, s0, 1
	s_lshl_b32 s1, s0, 2
	s_add_u32 s12, s12, s10
	s_mul_i32 s15, s0, 3
	s_addc_u32 s13, s13, s11
	s_lshl_b32 s10, s0, 4
	v_add_co_u32 v1, s16, s12, v1
	s_add_u32 s11, s8, s15
	v_add_co_ci_u32_e64 v2, null, s13, 0, s16
	s_addc_u32 s16, s9, 0
	s_add_u32 s11, s6, s11
	s_addc_u32 s16, s7, s16
	v_add_co_u32 v15, s11, s11, v0
	s_delay_alu instid0(VALU_DEP_1)
	v_add_co_ci_u32_e64 v16, null, s16, 0, s11
	v_add_co_u32 v17, s11, s15, v0
	v_add_co_u32 v19, s15, v0, s0
	v_add_co_ci_u32_e64 v18, null, 0, 0, s11
	s_lshl_b32 s11, s0, 3
	s_add_u32 s8, s8, s14
	s_addc_u32 s9, s9, 0
	s_add_u32 s8, s6, s8
	v_lshlrev_b32_e32 v3, 2, v19
	s_addc_u32 s9, s7, s9
	v_add_co_u32 v20, s8, s8, v0
	s_delay_alu instid0(VALU_DEP_1)
	v_add_co_ci_u32_e64 v21, null, s9, 0, s8
	v_add_co_u32 v23, s8, s14, v0
	s_add_u32 s6, s6, s0
	v_add_co_ci_u32_e64 v24, null, 0, 0, s8
	v_add_co_u32 v3, s8, s12, v3
	s_addc_u32 s7, s7, 0
	v_add_co_u32 v25, vcc_lo, s6, v5
	v_add_co_ci_u32_e64 v22, null, 0, 0, s15
	v_add_co_ci_u32_e64 v4, null, s13, 0, s8
	v_add_co_ci_u32_e32 v26, vcc_lo, s7, v6, vcc_lo
	s_mul_i32 s8, s0, 12
	s_mov_b64 s[6:7], 0
	s_branch .LBB178_9
.LBB178_8:                              ;   in Loop: Header=BB178_9 Depth=1
	s_or_b32 exec_lo, exec_lo, s0
	s_add_u32 s6, s6, s1
	s_addc_u32 s7, s7, 0
	v_add_co_u32 v1, vcc_lo, v1, s10
	v_cmp_ge_i64_e64 s0, s[6:7], s[4:5]
	v_cmp_lt_u64_e64 s9, 0xffff, s[6:7]
	v_add_co_ci_u32_e32 v2, vcc_lo, 0, v2, vcc_lo
	v_add_co_u32 v3, vcc_lo, v3, s10
	v_add_co_ci_u32_e32 v4, vcc_lo, 0, v4, vcc_lo
	s_delay_alu instid0(VALU_DEP_4) | instskip(NEXT) | instid1(SALU_CYCLE_1)
	s_or_b32 s0, s0, s9
	s_and_b32 vcc_lo, exec_lo, s0
	s_cbranch_vccnz .LBB178_25
.LBB178_9:                              ; =>This Inner Loop Header: Depth=1
	v_add_co_u32 v5, s0, v0, s6
	s_delay_alu instid0(VALU_DEP_1) | instskip(NEXT) | instid1(VALU_DEP_1)
	v_add_co_ci_u32_e64 v6, null, 0, s7, s0
	v_cmp_gt_i64_e32 vcc_lo, s[4:5], v[5:6]
	v_cmp_gt_u64_e64 s0, 0x10000, v[5:6]
	s_delay_alu instid0(VALU_DEP_1) | instskip(NEXT) | instid1(SALU_CYCLE_1)
	s_and_b32 s9, vcc_lo, s0
	s_and_saveexec_b32 s0, s9
	s_cbranch_execz .LBB178_11
; %bb.10:                               ;   in Loop: Header=BB178_9 Depth=1
	global_load_b32 v28, v[1:2], off
.LBB178_11:                             ;   in Loop: Header=BB178_9 Depth=1
	s_or_b32 exec_lo, exec_lo, s0
	v_add_co_u32 v7, vcc_lo, v19, s6
	v_add_co_ci_u32_e32 v8, vcc_lo, s7, v22, vcc_lo
	s_delay_alu instid0(VALU_DEP_1) | instskip(SKIP_1) | instid1(VALU_DEP_1)
	v_cmp_gt_i64_e32 vcc_lo, s[4:5], v[7:8]
	v_cmp_gt_u64_e64 s0, 0x10000, v[7:8]
	s_and_b32 s9, vcc_lo, s0
	s_delay_alu instid0(SALU_CYCLE_1)
	s_and_saveexec_b32 s0, s9
	s_cbranch_execz .LBB178_13
; %bb.12:                               ;   in Loop: Header=BB178_9 Depth=1
	global_load_b32 v27, v[3:4], off
.LBB178_13:                             ;   in Loop: Header=BB178_9 Depth=1
	s_or_b32 exec_lo, exec_lo, s0
	v_add_co_u32 v9, vcc_lo, v23, s6
	v_add_co_ci_u32_e32 v10, vcc_lo, s7, v24, vcc_lo
	s_delay_alu instid0(VALU_DEP_1) | instskip(SKIP_1) | instid1(VALU_DEP_1)
	v_cmp_gt_i64_e32 vcc_lo, s[4:5], v[9:10]
	v_cmp_gt_u64_e64 s0, 0x10000, v[9:10]
	s_and_b32 s9, vcc_lo, s0
	s_delay_alu instid0(SALU_CYCLE_1)
	s_and_saveexec_b32 s0, s9
	s_cbranch_execz .LBB178_15
; %bb.14:                               ;   in Loop: Header=BB178_9 Depth=1
	v_add_co_u32 v11, vcc_lo, v1, s11
	v_add_co_ci_u32_e32 v12, vcc_lo, 0, v2, vcc_lo
	global_load_b32 v30, v[11:12], off
.LBB178_15:                             ;   in Loop: Header=BB178_9 Depth=1
	s_or_b32 exec_lo, exec_lo, s0
	v_add_co_u32 v11, vcc_lo, v17, s6
	v_add_co_ci_u32_e32 v12, vcc_lo, s7, v18, vcc_lo
	s_delay_alu instid0(VALU_DEP_1) | instskip(SKIP_1) | instid1(VALU_DEP_1)
	v_cmp_gt_i64_e32 vcc_lo, s[4:5], v[11:12]
	v_cmp_gt_u64_e64 s0, 0x10000, v[11:12]
	s_and_b32 s9, vcc_lo, s0
	s_delay_alu instid0(SALU_CYCLE_1)
	s_and_saveexec_b32 s0, s9
	s_cbranch_execnz .LBB178_20
; %bb.16:                               ;   in Loop: Header=BB178_9 Depth=1
	s_or_b32 exec_lo, exec_lo, s0
	s_delay_alu instid0(SALU_CYCLE_1)
	s_mov_b32 s0, exec_lo
	v_cmpx_gt_u64_e64 s[2:3], v[5:6]
	s_cbranch_execnz .LBB178_21
.LBB178_17:                             ;   in Loop: Header=BB178_9 Depth=1
	s_or_b32 exec_lo, exec_lo, s0
	s_delay_alu instid0(SALU_CYCLE_1)
	s_mov_b32 s0, exec_lo
	v_cmpx_gt_u64_e64 s[2:3], v[7:8]
	s_cbranch_execnz .LBB178_22
.LBB178_18:                             ;   in Loop: Header=BB178_9 Depth=1
	s_or_b32 exec_lo, exec_lo, s0
	s_delay_alu instid0(SALU_CYCLE_1)
	s_mov_b32 s0, exec_lo
	v_cmpx_gt_u64_e64 s[2:3], v[9:10]
	s_cbranch_execnz .LBB178_23
.LBB178_19:                             ;   in Loop: Header=BB178_9 Depth=1
	s_or_b32 exec_lo, exec_lo, s0
	s_delay_alu instid0(SALU_CYCLE_1)
	s_mov_b32 s0, exec_lo
	v_cmpx_gt_u64_e64 s[2:3], v[11:12]
	s_cbranch_execz .LBB178_8
	s_branch .LBB178_24
.LBB178_20:                             ;   in Loop: Header=BB178_9 Depth=1
	v_add_co_u32 v31, vcc_lo, v1, s8
	v_add_co_ci_u32_e32 v32, vcc_lo, 0, v2, vcc_lo
	global_load_b32 v29, v[31:32], off
	s_or_b32 exec_lo, exec_lo, s0
	s_delay_alu instid0(SALU_CYCLE_1)
	s_mov_b32 s0, exec_lo
	v_cmpx_gt_u64_e64 s[2:3], v[5:6]
	s_cbranch_execz .LBB178_17
.LBB178_21:                             ;   in Loop: Header=BB178_9 Depth=1
	v_add_co_u32 v5, vcc_lo, v13, s6
	v_add_co_ci_u32_e32 v6, vcc_lo, s7, v14, vcc_lo
	s_waitcnt vmcnt(0)
	v_cvt_i32_f32_e32 v31, v28
	global_store_b8 v[5:6], v31, off
	s_or_b32 exec_lo, exec_lo, s0
	s_delay_alu instid0(SALU_CYCLE_1)
	s_mov_b32 s0, exec_lo
	v_cmpx_gt_u64_e64 s[2:3], v[7:8]
	s_cbranch_execz .LBB178_18
.LBB178_22:                             ;   in Loop: Header=BB178_9 Depth=1
	v_add_co_u32 v5, vcc_lo, v25, s6
	s_waitcnt vmcnt(0)
	v_cvt_i32_f32_e32 v7, v27
	v_add_co_ci_u32_e32 v6, vcc_lo, s7, v26, vcc_lo
	global_store_b8 v[5:6], v7, off
	s_or_b32 exec_lo, exec_lo, s0
	s_delay_alu instid0(SALU_CYCLE_1)
	s_mov_b32 s0, exec_lo
	v_cmpx_gt_u64_e64 s[2:3], v[9:10]
	s_cbranch_execz .LBB178_19
.LBB178_23:                             ;   in Loop: Header=BB178_9 Depth=1
	v_add_co_u32 v5, vcc_lo, v20, s6
	s_waitcnt vmcnt(0)
	v_cvt_i32_f32_e32 v7, v30
	v_add_co_ci_u32_e32 v6, vcc_lo, s7, v21, vcc_lo
	global_store_b8 v[5:6], v7, off
	s_or_b32 exec_lo, exec_lo, s0
	s_delay_alu instid0(SALU_CYCLE_1)
	s_mov_b32 s0, exec_lo
	v_cmpx_gt_u64_e64 s[2:3], v[11:12]
	s_cbranch_execz .LBB178_8
.LBB178_24:                             ;   in Loop: Header=BB178_9 Depth=1
	v_add_co_u32 v5, vcc_lo, v15, s6
	s_waitcnt vmcnt(0)
	v_cvt_i32_f32_e32 v7, v29
	v_add_co_ci_u32_e32 v6, vcc_lo, s7, v16, vcc_lo
	global_store_b8 v[5:6], v7, off
	s_branch .LBB178_8
.LBB178_25:
	s_nop 0
	s_sendmsg sendmsg(MSG_DEALLOC_VGPRS)
	s_endpgm
	.section	.rodata,"a",@progbits
	.p2align	6, 0x0
	.amdhsa_kernel _ZN2at6native12_GLOBAL__N_125multi_tensor_apply_kernelINS1_18TensorListMetadataILi2EEENS1_11CopyFunctorIafLi2ELi1ELi1EEEJNS0_4CopyIafEEEEEvT_T0_DpT1_
		.amdhsa_group_segment_fixed_size 0
		.amdhsa_private_segment_fixed_size 0
		.amdhsa_kernarg_size 3408
		.amdhsa_user_sgpr_count 15
		.amdhsa_user_sgpr_dispatch_ptr 0
		.amdhsa_user_sgpr_queue_ptr 0
		.amdhsa_user_sgpr_kernarg_segment_ptr 1
		.amdhsa_user_sgpr_dispatch_id 0
		.amdhsa_user_sgpr_private_segment_size 0
		.amdhsa_wavefront_size32 1
		.amdhsa_uses_dynamic_stack 0
		.amdhsa_enable_private_segment 0
		.amdhsa_system_sgpr_workgroup_id_x 1
		.amdhsa_system_sgpr_workgroup_id_y 0
		.amdhsa_system_sgpr_workgroup_id_z 0
		.amdhsa_system_sgpr_workgroup_info 0
		.amdhsa_system_vgpr_workitem_id 0
		.amdhsa_next_free_vgpr 33
		.amdhsa_next_free_sgpr 20
		.amdhsa_reserve_vcc 1
		.amdhsa_float_round_mode_32 0
		.amdhsa_float_round_mode_16_64 0
		.amdhsa_float_denorm_mode_32 3
		.amdhsa_float_denorm_mode_16_64 3
		.amdhsa_dx10_clamp 1
		.amdhsa_ieee_mode 1
		.amdhsa_fp16_overflow 0
		.amdhsa_workgroup_processor_mode 1
		.amdhsa_memory_ordered 1
		.amdhsa_forward_progress 0
		.amdhsa_shared_vgpr_count 0
		.amdhsa_exception_fp_ieee_invalid_op 0
		.amdhsa_exception_fp_denorm_src 0
		.amdhsa_exception_fp_ieee_div_zero 0
		.amdhsa_exception_fp_ieee_overflow 0
		.amdhsa_exception_fp_ieee_underflow 0
		.amdhsa_exception_fp_ieee_inexact 0
		.amdhsa_exception_int_div_zero 0
	.end_amdhsa_kernel
	.section	.text._ZN2at6native12_GLOBAL__N_125multi_tensor_apply_kernelINS1_18TensorListMetadataILi2EEENS1_11CopyFunctorIafLi2ELi1ELi1EEEJNS0_4CopyIafEEEEEvT_T0_DpT1_,"axG",@progbits,_ZN2at6native12_GLOBAL__N_125multi_tensor_apply_kernelINS1_18TensorListMetadataILi2EEENS1_11CopyFunctorIafLi2ELi1ELi1EEEJNS0_4CopyIafEEEEEvT_T0_DpT1_,comdat
.Lfunc_end178:
	.size	_ZN2at6native12_GLOBAL__N_125multi_tensor_apply_kernelINS1_18TensorListMetadataILi2EEENS1_11CopyFunctorIafLi2ELi1ELi1EEEJNS0_4CopyIafEEEEEvT_T0_DpT1_, .Lfunc_end178-_ZN2at6native12_GLOBAL__N_125multi_tensor_apply_kernelINS1_18TensorListMetadataILi2EEENS1_11CopyFunctorIafLi2ELi1ELi1EEEJNS0_4CopyIafEEEEEvT_T0_DpT1_
                                        ; -- End function
	.section	.AMDGPU.csdata,"",@progbits
; Kernel info:
; codeLenInByte = 1464
; NumSgprs: 22
; NumVgprs: 33
; ScratchSize: 0
; MemoryBound: 0
; FloatMode: 240
; IeeeMode: 1
; LDSByteSize: 0 bytes/workgroup (compile time only)
; SGPRBlocks: 2
; VGPRBlocks: 4
; NumSGPRsForWavesPerEU: 22
; NumVGPRsForWavesPerEU: 33
; Occupancy: 16
; WaveLimiterHint : 0
; COMPUTE_PGM_RSRC2:SCRATCH_EN: 0
; COMPUTE_PGM_RSRC2:USER_SGPR: 15
; COMPUTE_PGM_RSRC2:TRAP_HANDLER: 0
; COMPUTE_PGM_RSRC2:TGID_X_EN: 1
; COMPUTE_PGM_RSRC2:TGID_Y_EN: 0
; COMPUTE_PGM_RSRC2:TGID_Z_EN: 0
; COMPUTE_PGM_RSRC2:TIDIG_COMP_CNT: 0
	.section	.text._ZN2at6native12_GLOBAL__N_125multi_tensor_apply_kernelINS1_18TensorListMetadataILi2EEENS1_11CopyFunctorIaN3c107complexIdEELi2ELi1ELi1EEEJNS0_4CopyIaS8_EEEEEvT_T0_DpT1_,"axG",@progbits,_ZN2at6native12_GLOBAL__N_125multi_tensor_apply_kernelINS1_18TensorListMetadataILi2EEENS1_11CopyFunctorIaN3c107complexIdEELi2ELi1ELi1EEEJNS0_4CopyIaS8_EEEEEvT_T0_DpT1_,comdat
	.globl	_ZN2at6native12_GLOBAL__N_125multi_tensor_apply_kernelINS1_18TensorListMetadataILi2EEENS1_11CopyFunctorIaN3c107complexIdEELi2ELi1ELi1EEEJNS0_4CopyIaS8_EEEEEvT_T0_DpT1_ ; -- Begin function _ZN2at6native12_GLOBAL__N_125multi_tensor_apply_kernelINS1_18TensorListMetadataILi2EEENS1_11CopyFunctorIaN3c107complexIdEELi2ELi1ELi1EEEJNS0_4CopyIaS8_EEEEEvT_T0_DpT1_
	.p2align	8
	.type	_ZN2at6native12_GLOBAL__N_125multi_tensor_apply_kernelINS1_18TensorListMetadataILi2EEENS1_11CopyFunctorIaN3c107complexIdEELi2ELi1ELi1EEEJNS0_4CopyIaS8_EEEEEvT_T0_DpT1_,@function
_ZN2at6native12_GLOBAL__N_125multi_tensor_apply_kernelINS1_18TensorListMetadataILi2EEENS1_11CopyFunctorIaN3c107complexIdEELi2ELi1ELi1EEEJNS0_4CopyIaS8_EEEEEvT_T0_DpT1_: ; @_ZN2at6native12_GLOBAL__N_125multi_tensor_apply_kernelINS1_18TensorListMetadataILi2EEENS1_11CopyFunctorIaN3c107complexIdEELi2ELi1ELi1EEEJNS0_4CopyIaS8_EEEEEvT_T0_DpT1_
; %bb.0:
	v_mov_b32_e32 v1, s15
	s_add_u32 s2, s0, s15
	s_mul_i32 s4, s15, 3
	s_addc_u32 s3, s1, 0
	s_mul_hi_u32 s5, s15, 3
	global_load_u8 v1, v1, s[0:1] offset:1536
	s_add_u32 s2, s2, s4
	s_addc_u32 s3, s3, s5
	s_mov_b32 s17, 0
	s_load_b32 s10, s[2:3], 0x740
	s_waitcnt lgkmcnt(0)
	s_ashr_i32 s11, s10, 31
	s_delay_alu instid0(SALU_CYCLE_1) | instskip(SKIP_2) | instid1(VALU_DEP_1)
	s_lshl_b64 s[8:9], s[10:11], 16
	s_waitcnt vmcnt(0)
	v_readfirstlane_b32 s4, v1
	s_lshl_b32 s4, s4, 3
	s_clause 0x2
	s_load_b64 s[6:7], s[0:1], s4 offset:0x200
	s_load_b64 s[2:3], s[0:1], s4 offset:0x400
	s_load_b64 s[12:13], s[0:1], s4 offset:0x0
	s_waitcnt lgkmcnt(0)
	s_add_u32 s14, s6, s8
	s_addc_u32 s15, s7, s9
	s_delay_alu instid0(SALU_CYCLE_1) | instskip(SKIP_2) | instid1(SALU_CYCLE_1)
	s_or_b64 s[4:5], s[2:3], s[14:15]
	s_and_b32 s5, s12, 63
	s_and_b32 s4, s4, 3
	s_or_b32 s16, s4, s5
	s_sub_u32 s4, s2, s8
	s_subb_u32 s5, s3, s9
	s_cmp_eq_u64 s[16:17], 0
	s_mov_b32 s2, -1
	s_cbranch_scc0 .LBB179_5
; %bb.1:
	v_dual_mov_b32 v2, 0 :: v_dual_lshlrev_b32 v1, 2, v0
	s_mov_b32 s16, exec_lo
	s_delay_alu instid0(VALU_DEP_1)
	v_cmpx_gt_i64_e64 s[4:5], v[1:2]
	s_cbranch_execz .LBB179_4
; %bb.2:
	s_load_b32 s17, s[0:1], 0xc5c
	v_lshlrev_b32_e32 v3, 6, v0
	s_lshl_b64 s[2:3], s[10:11], 20
	s_mov_b32 s18, 0
	s_waitcnt lgkmcnt(0)
	s_and_b32 s19, s17, 0xffff
	s_delay_alu instid0(SALU_CYCLE_1) | instskip(SKIP_3) | instid1(VALU_DEP_1)
	s_lshl_b32 s17, s19, 2
	s_add_u32 s2, s12, s2
	s_addc_u32 s3, s13, s3
	v_add_co_u32 v3, s2, s2, v3
	v_add_co_ci_u32_e64 v4, null, s3, 0, s2
	s_lshl_b32 s19, s19, 6
	s_set_inst_prefetch_distance 0x1
	.p2align	6
.LBB179_3:                              ; =>This Inner Loop Header: Depth=1
	s_clause 0x3
	global_load_b64 v[5:6], v[3:4], off offset:16
	global_load_b64 v[7:8], v[3:4], off
	global_load_b64 v[9:10], v[3:4], off offset:48
	global_load_b64 v[11:12], v[3:4], off offset:32
	v_add_co_u32 v3, s3, v3, s19
	s_delay_alu instid0(VALU_DEP_1)
	v_add_co_ci_u32_e64 v4, s3, 0, v4, s3
	s_waitcnt vmcnt(3)
	v_cvt_i32_f64_e32 v13, v[5:6]
	s_waitcnt vmcnt(2)
	v_cvt_i32_f64_e32 v7, v[7:8]
	;; [unrolled: 2-line block ×4, first 2 shown]
	v_add_co_u32 v5, vcc_lo, s14, v1
	v_add_co_ci_u32_e32 v6, vcc_lo, s15, v2, vcc_lo
	v_add_co_u32 v1, vcc_lo, s17, v1
	v_add_co_ci_u32_e32 v2, vcc_lo, 0, v2, vcc_lo
	s_delay_alu instid0(VALU_DEP_1) | instskip(SKIP_1) | instid1(VALU_DEP_1)
	v_cmp_le_i64_e32 vcc_lo, s[4:5], v[1:2]
	v_cmp_lt_u64_e64 s2, 0xffff, v[1:2]
	s_or_b32 s2, vcc_lo, s2
	s_delay_alu instid0(SALU_CYCLE_1) | instskip(NEXT) | instid1(SALU_CYCLE_1)
	s_and_b32 s2, exec_lo, s2
	s_or_b32 s18, s2, s18
	v_lshlrev_b16 v10, 8, v13
	v_and_b32_e32 v7, 0xff, v7
	v_lshlrev_b16 v8, 8, v8
	v_and_b32_e32 v9, 0xff, v9
	s_delay_alu instid0(VALU_DEP_3) | instskip(NEXT) | instid1(VALU_DEP_2)
	v_or_b32_e32 v7, v7, v10
	v_or_b32_e32 v8, v9, v8
	s_delay_alu instid0(VALU_DEP_2) | instskip(NEXT) | instid1(VALU_DEP_2)
	v_and_b32_e32 v7, 0xffff, v7
	v_lshlrev_b32_e32 v8, 16, v8
	s_delay_alu instid0(VALU_DEP_1)
	v_or_b32_e32 v7, v7, v8
	global_store_b32 v[5:6], v7, off
	s_and_not1_b32 exec_lo, exec_lo, s18
	s_cbranch_execnz .LBB179_3
.LBB179_4:
	s_set_inst_prefetch_distance 0x2
	s_or_b32 exec_lo, exec_lo, s16
	s_mov_b32 s2, 0
.LBB179_5:
	s_delay_alu instid0(SALU_CYCLE_1)
	s_and_not1_b32 vcc_lo, exec_lo, s2
	s_cbranch_vccnz .LBB179_25
; %bb.6:
	v_cmp_lt_i64_e64 s2, s[4:5], 1
	s_delay_alu instid0(VALU_DEP_1)
	s_and_b32 vcc_lo, exec_lo, s2
	s_cbranch_vccnz .LBB179_25
; %bb.7:
	s_load_b32 s0, s[0:1], 0xc5c
	v_cmp_gt_u64_e64 s1, 0x10000, s[4:5]
	v_add_co_u32 v7, s2, s8, v0
	v_lshlrev_b32_e32 v1, 4, v0
	v_add_co_ci_u32_e64 v8, null, s9, 0, s2
	v_mov_b32_e32 v5, 0
	v_mov_b32_e32 v6, 0
	v_add_co_u32 v21, vcc_lo, s6, v7
	s_delay_alu instid0(VALU_DEP_4) | instskip(NEXT) | instid1(VALU_DEP_3)
	v_add_co_ci_u32_e32 v22, vcc_lo, s7, v8, vcc_lo
	v_dual_mov_b32 v12, v6 :: v_dual_mov_b32 v11, v5
	v_dual_mov_b32 v10, v6 :: v_dual_mov_b32 v9, v5
	s_waitcnt lgkmcnt(0)
	s_and_b32 s0, s0, 0xffff
	s_and_b32 s1, s1, exec_lo
	s_cselect_b32 s3, s5, 0
	s_cselect_b32 s2, s4, 0x10000
	s_lshl_b64 s[10:11], s[10:11], 20
	s_lshl_b32 s14, s0, 1
	s_lshl_b32 s1, s0, 2
	s_add_u32 s12, s12, s10
	s_mul_i32 s15, s0, 3
	s_addc_u32 s13, s13, s11
	s_lshl_b32 s10, s0, 6
	v_add_co_u32 v1, s16, s12, v1
	s_add_u32 s11, s8, s15
	v_add_co_ci_u32_e64 v2, null, s13, 0, s16
	s_addc_u32 s16, s9, 0
	s_add_u32 s11, s6, s11
	s_addc_u32 s16, s7, s16
	v_add_co_u32 v23, s11, s11, v0
	s_delay_alu instid0(VALU_DEP_1)
	v_add_co_ci_u32_e64 v24, null, s16, 0, s11
	v_add_co_u32 v25, s11, s15, v0
	v_add_co_u32 v27, s15, v0, s0
	v_add_co_ci_u32_e64 v26, null, 0, 0, s11
	s_lshl_b32 s11, s0, 5
	s_add_u32 s8, s8, s14
	s_addc_u32 s9, s9, 0
	s_add_u32 s8, s6, s8
	s_addc_u32 s9, s7, s9
	v_lshlrev_b32_e32 v3, 4, v27
	v_add_co_u32 v28, s8, s8, v0
	s_add_u32 s6, s6, s0
	v_add_co_ci_u32_e64 v29, null, s9, 0, s8
	v_add_co_u32 v31, s8, s14, v0
	s_addc_u32 s7, s7, 0
	v_add_co_u32 v33, vcc_lo, s6, v7
	v_add_co_ci_u32_e64 v32, null, 0, 0, s8
	v_add_co_u32 v3, s8, s12, v3
	v_add_co_ci_u32_e32 v34, vcc_lo, s7, v8, vcc_lo
	v_dual_mov_b32 v8, v6 :: v_dual_mov_b32 v7, v5
	v_add_co_ci_u32_e64 v30, null, 0, 0, s15
	v_add_co_ci_u32_e64 v4, null, s13, 0, s8
	s_mul_i32 s8, s0, 48
	s_mov_b64 s[6:7], 0
	s_branch .LBB179_9
.LBB179_8:                              ;   in Loop: Header=BB179_9 Depth=1
	s_or_b32 exec_lo, exec_lo, s0
	s_add_u32 s6, s6, s1
	s_addc_u32 s7, s7, 0
	v_add_co_u32 v1, vcc_lo, v1, s10
	v_cmp_ge_i64_e64 s0, s[6:7], s[4:5]
	v_cmp_lt_u64_e64 s9, 0xffff, s[6:7]
	v_add_co_ci_u32_e32 v2, vcc_lo, 0, v2, vcc_lo
	v_add_co_u32 v3, vcc_lo, v3, s10
	v_add_co_ci_u32_e32 v4, vcc_lo, 0, v4, vcc_lo
	s_delay_alu instid0(VALU_DEP_4) | instskip(NEXT) | instid1(SALU_CYCLE_1)
	s_or_b32 s0, s0, s9
	s_and_b32 vcc_lo, exec_lo, s0
	s_cbranch_vccnz .LBB179_25
.LBB179_9:                              ; =>This Inner Loop Header: Depth=1
	v_add_co_u32 v13, s0, v0, s6
	s_delay_alu instid0(VALU_DEP_1) | instskip(NEXT) | instid1(VALU_DEP_1)
	v_add_co_ci_u32_e64 v14, null, 0, s7, s0
	v_cmp_gt_i64_e32 vcc_lo, s[4:5], v[13:14]
	v_cmp_gt_u64_e64 s0, 0x10000, v[13:14]
	s_delay_alu instid0(VALU_DEP_1) | instskip(NEXT) | instid1(SALU_CYCLE_1)
	s_and_b32 s9, vcc_lo, s0
	s_and_saveexec_b32 s0, s9
	s_cbranch_execz .LBB179_11
; %bb.10:                               ;   in Loop: Header=BB179_9 Depth=1
	global_load_b64 v[9:10], v[1:2], off
.LBB179_11:                             ;   in Loop: Header=BB179_9 Depth=1
	s_or_b32 exec_lo, exec_lo, s0
	v_add_co_u32 v15, vcc_lo, v27, s6
	v_add_co_ci_u32_e32 v16, vcc_lo, s7, v30, vcc_lo
	s_delay_alu instid0(VALU_DEP_1) | instskip(SKIP_1) | instid1(VALU_DEP_1)
	v_cmp_gt_i64_e32 vcc_lo, s[4:5], v[15:16]
	v_cmp_gt_u64_e64 s0, 0x10000, v[15:16]
	s_and_b32 s9, vcc_lo, s0
	s_delay_alu instid0(SALU_CYCLE_1)
	s_and_saveexec_b32 s0, s9
	s_cbranch_execz .LBB179_13
; %bb.12:                               ;   in Loop: Header=BB179_9 Depth=1
	global_load_b64 v[7:8], v[3:4], off
.LBB179_13:                             ;   in Loop: Header=BB179_9 Depth=1
	s_or_b32 exec_lo, exec_lo, s0
	v_add_co_u32 v17, vcc_lo, v31, s6
	v_add_co_ci_u32_e32 v18, vcc_lo, s7, v32, vcc_lo
	s_delay_alu instid0(VALU_DEP_1) | instskip(SKIP_1) | instid1(VALU_DEP_1)
	v_cmp_gt_i64_e32 vcc_lo, s[4:5], v[17:18]
	v_cmp_gt_u64_e64 s0, 0x10000, v[17:18]
	s_and_b32 s9, vcc_lo, s0
	s_delay_alu instid0(SALU_CYCLE_1)
	s_and_saveexec_b32 s0, s9
	s_cbranch_execz .LBB179_15
; %bb.14:                               ;   in Loop: Header=BB179_9 Depth=1
	s_waitcnt vmcnt(0)
	v_add_co_u32 v11, vcc_lo, v1, s11
	v_add_co_ci_u32_e32 v12, vcc_lo, 0, v2, vcc_lo
	global_load_b64 v[11:12], v[11:12], off
.LBB179_15:                             ;   in Loop: Header=BB179_9 Depth=1
	s_or_b32 exec_lo, exec_lo, s0
	v_add_co_u32 v19, vcc_lo, v25, s6
	v_add_co_ci_u32_e32 v20, vcc_lo, s7, v26, vcc_lo
	s_delay_alu instid0(VALU_DEP_1) | instskip(SKIP_1) | instid1(VALU_DEP_1)
	v_cmp_gt_i64_e32 vcc_lo, s[4:5], v[19:20]
	v_cmp_gt_u64_e64 s0, 0x10000, v[19:20]
	s_and_b32 s9, vcc_lo, s0
	s_delay_alu instid0(SALU_CYCLE_1)
	s_and_saveexec_b32 s0, s9
	s_cbranch_execnz .LBB179_20
; %bb.16:                               ;   in Loop: Header=BB179_9 Depth=1
	s_or_b32 exec_lo, exec_lo, s0
	s_delay_alu instid0(SALU_CYCLE_1)
	s_mov_b32 s0, exec_lo
	v_cmpx_gt_u64_e64 s[2:3], v[13:14]
	s_cbranch_execnz .LBB179_21
.LBB179_17:                             ;   in Loop: Header=BB179_9 Depth=1
	s_or_b32 exec_lo, exec_lo, s0
	s_delay_alu instid0(SALU_CYCLE_1)
	s_mov_b32 s0, exec_lo
	v_cmpx_gt_u64_e64 s[2:3], v[15:16]
	s_cbranch_execnz .LBB179_22
.LBB179_18:                             ;   in Loop: Header=BB179_9 Depth=1
	s_or_b32 exec_lo, exec_lo, s0
	s_delay_alu instid0(SALU_CYCLE_1)
	s_mov_b32 s0, exec_lo
	v_cmpx_gt_u64_e64 s[2:3], v[17:18]
	s_cbranch_execnz .LBB179_23
.LBB179_19:                             ;   in Loop: Header=BB179_9 Depth=1
	s_or_b32 exec_lo, exec_lo, s0
	s_delay_alu instid0(SALU_CYCLE_1)
	s_mov_b32 s0, exec_lo
	v_cmpx_gt_u64_e64 s[2:3], v[19:20]
	s_cbranch_execz .LBB179_8
	s_branch .LBB179_24
.LBB179_20:                             ;   in Loop: Header=BB179_9 Depth=1
	s_waitcnt vmcnt(0)
	v_add_co_u32 v5, vcc_lo, v1, s8
	v_add_co_ci_u32_e32 v6, vcc_lo, 0, v2, vcc_lo
	global_load_b64 v[5:6], v[5:6], off
	s_or_b32 exec_lo, exec_lo, s0
	s_delay_alu instid0(SALU_CYCLE_1)
	s_mov_b32 s0, exec_lo
	v_cmpx_gt_u64_e64 s[2:3], v[13:14]
	s_cbranch_execz .LBB179_17
.LBB179_21:                             ;   in Loop: Header=BB179_9 Depth=1
	s_waitcnt vmcnt(0)
	v_cvt_i32_f64_e32 v35, v[9:10]
	v_add_co_u32 v13, vcc_lo, v21, s6
	v_add_co_ci_u32_e32 v14, vcc_lo, s7, v22, vcc_lo
	global_store_b8 v[13:14], v35, off
	s_or_b32 exec_lo, exec_lo, s0
	s_delay_alu instid0(SALU_CYCLE_1)
	s_mov_b32 s0, exec_lo
	v_cmpx_gt_u64_e64 s[2:3], v[15:16]
	s_cbranch_execz .LBB179_18
.LBB179_22:                             ;   in Loop: Header=BB179_9 Depth=1
	s_waitcnt vmcnt(0)
	v_cvt_i32_f64_e32 v15, v[7:8]
	v_add_co_u32 v13, vcc_lo, v33, s6
	v_add_co_ci_u32_e32 v14, vcc_lo, s7, v34, vcc_lo
	global_store_b8 v[13:14], v15, off
	s_or_b32 exec_lo, exec_lo, s0
	s_delay_alu instid0(SALU_CYCLE_1)
	s_mov_b32 s0, exec_lo
	v_cmpx_gt_u64_e64 s[2:3], v[17:18]
	s_cbranch_execz .LBB179_19
.LBB179_23:                             ;   in Loop: Header=BB179_9 Depth=1
	s_waitcnt vmcnt(0)
	v_cvt_i32_f64_e32 v15, v[11:12]
	v_add_co_u32 v13, vcc_lo, v28, s6
	v_add_co_ci_u32_e32 v14, vcc_lo, s7, v29, vcc_lo
	global_store_b8 v[13:14], v15, off
	s_or_b32 exec_lo, exec_lo, s0
	s_delay_alu instid0(SALU_CYCLE_1)
	s_mov_b32 s0, exec_lo
	v_cmpx_gt_u64_e64 s[2:3], v[19:20]
	s_cbranch_execz .LBB179_8
.LBB179_24:                             ;   in Loop: Header=BB179_9 Depth=1
	s_waitcnt vmcnt(0)
	v_cvt_i32_f64_e32 v15, v[5:6]
	v_add_co_u32 v13, vcc_lo, v23, s6
	v_add_co_ci_u32_e32 v14, vcc_lo, s7, v24, vcc_lo
	global_store_b8 v[13:14], v15, off
	s_branch .LBB179_8
.LBB179_25:
	s_nop 0
	s_sendmsg sendmsg(MSG_DEALLOC_VGPRS)
	s_endpgm
	.section	.rodata,"a",@progbits
	.p2align	6, 0x0
	.amdhsa_kernel _ZN2at6native12_GLOBAL__N_125multi_tensor_apply_kernelINS1_18TensorListMetadataILi2EEENS1_11CopyFunctorIaN3c107complexIdEELi2ELi1ELi1EEEJNS0_4CopyIaS8_EEEEEvT_T0_DpT1_
		.amdhsa_group_segment_fixed_size 0
		.amdhsa_private_segment_fixed_size 0
		.amdhsa_kernarg_size 3408
		.amdhsa_user_sgpr_count 15
		.amdhsa_user_sgpr_dispatch_ptr 0
		.amdhsa_user_sgpr_queue_ptr 0
		.amdhsa_user_sgpr_kernarg_segment_ptr 1
		.amdhsa_user_sgpr_dispatch_id 0
		.amdhsa_user_sgpr_private_segment_size 0
		.amdhsa_wavefront_size32 1
		.amdhsa_uses_dynamic_stack 0
		.amdhsa_enable_private_segment 0
		.amdhsa_system_sgpr_workgroup_id_x 1
		.amdhsa_system_sgpr_workgroup_id_y 0
		.amdhsa_system_sgpr_workgroup_id_z 0
		.amdhsa_system_sgpr_workgroup_info 0
		.amdhsa_system_vgpr_workitem_id 0
		.amdhsa_next_free_vgpr 36
		.amdhsa_next_free_sgpr 20
		.amdhsa_reserve_vcc 1
		.amdhsa_float_round_mode_32 0
		.amdhsa_float_round_mode_16_64 0
		.amdhsa_float_denorm_mode_32 3
		.amdhsa_float_denorm_mode_16_64 3
		.amdhsa_dx10_clamp 1
		.amdhsa_ieee_mode 1
		.amdhsa_fp16_overflow 0
		.amdhsa_workgroup_processor_mode 1
		.amdhsa_memory_ordered 1
		.amdhsa_forward_progress 0
		.amdhsa_shared_vgpr_count 0
		.amdhsa_exception_fp_ieee_invalid_op 0
		.amdhsa_exception_fp_denorm_src 0
		.amdhsa_exception_fp_ieee_div_zero 0
		.amdhsa_exception_fp_ieee_overflow 0
		.amdhsa_exception_fp_ieee_underflow 0
		.amdhsa_exception_fp_ieee_inexact 0
		.amdhsa_exception_int_div_zero 0
	.end_amdhsa_kernel
	.section	.text._ZN2at6native12_GLOBAL__N_125multi_tensor_apply_kernelINS1_18TensorListMetadataILi2EEENS1_11CopyFunctorIaN3c107complexIdEELi2ELi1ELi1EEEJNS0_4CopyIaS8_EEEEEvT_T0_DpT1_,"axG",@progbits,_ZN2at6native12_GLOBAL__N_125multi_tensor_apply_kernelINS1_18TensorListMetadataILi2EEENS1_11CopyFunctorIaN3c107complexIdEELi2ELi1ELi1EEEJNS0_4CopyIaS8_EEEEEvT_T0_DpT1_,comdat
.Lfunc_end179:
	.size	_ZN2at6native12_GLOBAL__N_125multi_tensor_apply_kernelINS1_18TensorListMetadataILi2EEENS1_11CopyFunctorIaN3c107complexIdEELi2ELi1ELi1EEEJNS0_4CopyIaS8_EEEEEvT_T0_DpT1_, .Lfunc_end179-_ZN2at6native12_GLOBAL__N_125multi_tensor_apply_kernelINS1_18TensorListMetadataILi2EEENS1_11CopyFunctorIaN3c107complexIdEELi2ELi1ELi1EEEJNS0_4CopyIaS8_EEEEEvT_T0_DpT1_
                                        ; -- End function
	.section	.AMDGPU.csdata,"",@progbits
; Kernel info:
; codeLenInByte = 1532
; NumSgprs: 22
; NumVgprs: 36
; ScratchSize: 0
; MemoryBound: 0
; FloatMode: 240
; IeeeMode: 1
; LDSByteSize: 0 bytes/workgroup (compile time only)
; SGPRBlocks: 2
; VGPRBlocks: 4
; NumSGPRsForWavesPerEU: 22
; NumVGPRsForWavesPerEU: 36
; Occupancy: 16
; WaveLimiterHint : 0
; COMPUTE_PGM_RSRC2:SCRATCH_EN: 0
; COMPUTE_PGM_RSRC2:USER_SGPR: 15
; COMPUTE_PGM_RSRC2:TRAP_HANDLER: 0
; COMPUTE_PGM_RSRC2:TGID_X_EN: 1
; COMPUTE_PGM_RSRC2:TGID_Y_EN: 0
; COMPUTE_PGM_RSRC2:TGID_Z_EN: 0
; COMPUTE_PGM_RSRC2:TIDIG_COMP_CNT: 0
	.section	.text._ZN2at6native12_GLOBAL__N_125multi_tensor_apply_kernelINS1_18TensorListMetadataILi2EEENS1_11CopyFunctorIaN3c107complexIfEELi2ELi1ELi1EEEJNS0_4CopyIaS8_EEEEEvT_T0_DpT1_,"axG",@progbits,_ZN2at6native12_GLOBAL__N_125multi_tensor_apply_kernelINS1_18TensorListMetadataILi2EEENS1_11CopyFunctorIaN3c107complexIfEELi2ELi1ELi1EEEJNS0_4CopyIaS8_EEEEEvT_T0_DpT1_,comdat
	.globl	_ZN2at6native12_GLOBAL__N_125multi_tensor_apply_kernelINS1_18TensorListMetadataILi2EEENS1_11CopyFunctorIaN3c107complexIfEELi2ELi1ELi1EEEJNS0_4CopyIaS8_EEEEEvT_T0_DpT1_ ; -- Begin function _ZN2at6native12_GLOBAL__N_125multi_tensor_apply_kernelINS1_18TensorListMetadataILi2EEENS1_11CopyFunctorIaN3c107complexIfEELi2ELi1ELi1EEEJNS0_4CopyIaS8_EEEEEvT_T0_DpT1_
	.p2align	8
	.type	_ZN2at6native12_GLOBAL__N_125multi_tensor_apply_kernelINS1_18TensorListMetadataILi2EEENS1_11CopyFunctorIaN3c107complexIfEELi2ELi1ELi1EEEJNS0_4CopyIaS8_EEEEEvT_T0_DpT1_,@function
_ZN2at6native12_GLOBAL__N_125multi_tensor_apply_kernelINS1_18TensorListMetadataILi2EEENS1_11CopyFunctorIaN3c107complexIfEELi2ELi1ELi1EEEJNS0_4CopyIaS8_EEEEEvT_T0_DpT1_: ; @_ZN2at6native12_GLOBAL__N_125multi_tensor_apply_kernelINS1_18TensorListMetadataILi2EEENS1_11CopyFunctorIaN3c107complexIfEELi2ELi1ELi1EEEJNS0_4CopyIaS8_EEEEEvT_T0_DpT1_
; %bb.0:
	v_mov_b32_e32 v1, s15
	s_add_u32 s2, s0, s15
	s_mul_i32 s4, s15, 3
	s_addc_u32 s3, s1, 0
	s_mul_hi_u32 s5, s15, 3
	global_load_u8 v1, v1, s[0:1] offset:1536
	s_add_u32 s2, s2, s4
	s_addc_u32 s3, s3, s5
	s_mov_b32 s17, 0
	s_load_b32 s10, s[2:3], 0x740
	s_waitcnt lgkmcnt(0)
	s_ashr_i32 s11, s10, 31
	s_delay_alu instid0(SALU_CYCLE_1) | instskip(SKIP_2) | instid1(VALU_DEP_1)
	s_lshl_b64 s[8:9], s[10:11], 16
	s_waitcnt vmcnt(0)
	v_readfirstlane_b32 s4, v1
	s_lshl_b32 s4, s4, 3
	s_clause 0x2
	s_load_b64 s[6:7], s[0:1], s4 offset:0x200
	s_load_b64 s[2:3], s[0:1], s4 offset:0x400
	;; [unrolled: 1-line block ×3, first 2 shown]
	s_waitcnt lgkmcnt(0)
	s_add_u32 s14, s6, s8
	s_addc_u32 s15, s7, s9
	s_delay_alu instid0(SALU_CYCLE_1) | instskip(SKIP_2) | instid1(SALU_CYCLE_1)
	s_or_b64 s[4:5], s[2:3], s[14:15]
	s_and_b32 s5, s12, 31
	s_and_b32 s4, s4, 3
	s_or_b32 s16, s4, s5
	s_sub_u32 s4, s2, s8
	s_subb_u32 s5, s3, s9
	s_cmp_eq_u64 s[16:17], 0
	s_mov_b32 s2, -1
	s_cbranch_scc0 .LBB180_5
; %bb.1:
	v_dual_mov_b32 v2, 0 :: v_dual_lshlrev_b32 v1, 2, v0
	s_mov_b32 s16, exec_lo
	s_delay_alu instid0(VALU_DEP_1)
	v_cmpx_gt_i64_e64 s[4:5], v[1:2]
	s_cbranch_execz .LBB180_4
; %bb.2:
	s_load_b32 s17, s[0:1], 0xc5c
	v_lshlrev_b32_e32 v3, 5, v0
	s_lshl_b64 s[2:3], s[10:11], 19
	s_mov_b32 s18, 0
	s_waitcnt lgkmcnt(0)
	s_and_b32 s19, s17, 0xffff
	s_delay_alu instid0(SALU_CYCLE_1) | instskip(SKIP_3) | instid1(VALU_DEP_1)
	s_lshl_b32 s17, s19, 2
	s_add_u32 s2, s12, s2
	s_addc_u32 s3, s13, s3
	v_add_co_u32 v3, s2, s2, v3
	v_add_co_ci_u32_e64 v4, null, s3, 0, s2
	s_lshl_b32 s19, s19, 5
	s_set_inst_prefetch_distance 0x1
	.p2align	6
.LBB180_3:                              ; =>This Inner Loop Header: Depth=1
	s_clause 0x3
	global_load_b32 v7, v[3:4], off offset:8
	global_load_b32 v8, v[3:4], off
	global_load_b32 v9, v[3:4], off offset:24
	global_load_b32 v10, v[3:4], off offset:16
	v_add_co_u32 v5, vcc_lo, s14, v1
	v_add_co_ci_u32_e32 v6, vcc_lo, s15, v2, vcc_lo
	v_add_co_u32 v1, vcc_lo, s17, v1
	v_add_co_ci_u32_e32 v2, vcc_lo, 0, v2, vcc_lo
	v_add_co_u32 v3, s3, v3, s19
	s_delay_alu instid0(VALU_DEP_1) | instskip(NEXT) | instid1(VALU_DEP_3)
	v_add_co_ci_u32_e64 v4, s3, 0, v4, s3
	v_cmp_le_i64_e32 vcc_lo, s[4:5], v[1:2]
	v_cmp_lt_u64_e64 s2, 0xffff, v[1:2]
	s_delay_alu instid0(VALU_DEP_1) | instskip(NEXT) | instid1(SALU_CYCLE_1)
	s_or_b32 s2, vcc_lo, s2
	s_and_b32 s2, exec_lo, s2
	s_delay_alu instid0(SALU_CYCLE_1)
	s_or_b32 s18, s2, s18
	s_waitcnt vmcnt(3)
	v_cvt_i32_f32_e32 v7, v7
	s_waitcnt vmcnt(2)
	v_cvt_i32_f32_e32 v8, v8
	;; [unrolled: 2-line block ×4, first 2 shown]
	v_lshlrev_b16 v7, 8, v7
	v_and_b32_e32 v8, 0xff, v8
	v_lshlrev_b16 v9, 8, v9
	s_delay_alu instid0(VALU_DEP_4) | instskip(NEXT) | instid1(VALU_DEP_3)
	v_and_b32_e32 v10, 0xff, v10
	v_or_b32_e32 v7, v8, v7
	s_delay_alu instid0(VALU_DEP_2) | instskip(NEXT) | instid1(VALU_DEP_2)
	v_or_b32_e32 v8, v10, v9
	v_and_b32_e32 v7, 0xffff, v7
	s_delay_alu instid0(VALU_DEP_2) | instskip(NEXT) | instid1(VALU_DEP_1)
	v_lshlrev_b32_e32 v8, 16, v8
	v_or_b32_e32 v7, v7, v8
	global_store_b32 v[5:6], v7, off
	s_and_not1_b32 exec_lo, exec_lo, s18
	s_cbranch_execnz .LBB180_3
.LBB180_4:
	s_set_inst_prefetch_distance 0x2
	s_or_b32 exec_lo, exec_lo, s16
	s_mov_b32 s2, 0
.LBB180_5:
	s_delay_alu instid0(SALU_CYCLE_1)
	s_and_not1_b32 vcc_lo, exec_lo, s2
	s_cbranch_vccnz .LBB180_25
; %bb.6:
	v_cmp_lt_i64_e64 s2, s[4:5], 1
	s_delay_alu instid0(VALU_DEP_1)
	s_and_b32 vcc_lo, exec_lo, s2
	s_cbranch_vccnz .LBB180_25
; %bb.7:
	s_load_b32 s0, s[0:1], 0xc5c
	v_cmp_gt_u64_e64 s1, 0x10000, s[4:5]
	v_add_co_u32 v5, s2, s8, v0
	v_dual_mov_b32 v28, 0 :: v_dual_lshlrev_b32 v1, 3, v0
	v_add_co_ci_u32_e64 v6, null, s9, 0, s2
	s_delay_alu instid0(VALU_DEP_3) | instskip(SKIP_1) | instid1(VALU_DEP_3)
	v_add_co_u32 v14, vcc_lo, s6, v5
	v_dual_mov_b32 v13, 0 :: v_dual_mov_b32 v30, 0
	v_add_co_ci_u32_e32 v15, vcc_lo, s7, v6, vcc_lo
	v_mov_b32_e32 v29, 0
	s_waitcnt lgkmcnt(0)
	s_and_b32 s0, s0, 0xffff
	s_and_b32 s1, s1, exec_lo
	s_cselect_b32 s3, s5, 0
	s_cselect_b32 s2, s4, 0x10000
	s_lshl_b64 s[10:11], s[10:11], 19
	s_lshl_b32 s14, s0, 1
	s_lshl_b32 s1, s0, 2
	s_add_u32 s12, s12, s10
	s_mul_i32 s15, s0, 3
	s_addc_u32 s13, s13, s11
	s_lshl_b32 s10, s0, 5
	v_add_co_u32 v1, s16, s12, v1
	s_add_u32 s11, s8, s15
	v_add_co_ci_u32_e64 v2, null, s13, 0, s16
	s_addc_u32 s16, s9, 0
	s_add_u32 s11, s6, s11
	s_addc_u32 s16, s7, s16
	v_add_co_u32 v16, s11, s11, v0
	s_delay_alu instid0(VALU_DEP_1)
	v_add_co_ci_u32_e64 v17, null, s16, 0, s11
	v_add_co_u32 v18, s11, s15, v0
	v_add_co_u32 v20, s15, v0, s0
	v_add_co_ci_u32_e64 v19, null, 0, 0, s11
	s_lshl_b32 s11, s0, 4
	s_add_u32 s8, s8, s14
	s_addc_u32 s9, s9, 0
	s_add_u32 s8, s6, s8
	v_lshlrev_b32_e32 v3, 3, v20
	s_addc_u32 s9, s7, s9
	v_add_co_u32 v21, s8, s8, v0
	s_delay_alu instid0(VALU_DEP_1)
	v_add_co_ci_u32_e64 v22, null, s9, 0, s8
	v_add_co_u32 v24, s8, s14, v0
	s_add_u32 s6, s6, s0
	v_add_co_ci_u32_e64 v25, null, 0, 0, s8
	v_add_co_u32 v3, s8, s12, v3
	s_addc_u32 s7, s7, 0
	v_add_co_u32 v26, vcc_lo, s6, v5
	v_add_co_ci_u32_e64 v23, null, 0, 0, s15
	v_add_co_ci_u32_e64 v4, null, s13, 0, s8
	v_add_co_ci_u32_e32 v27, vcc_lo, s7, v6, vcc_lo
	s_mul_i32 s8, s0, 24
	s_mov_b64 s[6:7], 0
	s_branch .LBB180_9
.LBB180_8:                              ;   in Loop: Header=BB180_9 Depth=1
	s_or_b32 exec_lo, exec_lo, s0
	s_add_u32 s6, s6, s1
	s_addc_u32 s7, s7, 0
	v_add_co_u32 v1, vcc_lo, v1, s10
	v_cmp_ge_i64_e64 s0, s[6:7], s[4:5]
	v_cmp_lt_u64_e64 s9, 0xffff, s[6:7]
	v_add_co_ci_u32_e32 v2, vcc_lo, 0, v2, vcc_lo
	v_add_co_u32 v3, vcc_lo, v3, s10
	v_add_co_ci_u32_e32 v4, vcc_lo, 0, v4, vcc_lo
	s_delay_alu instid0(VALU_DEP_4) | instskip(NEXT) | instid1(SALU_CYCLE_1)
	s_or_b32 s0, s0, s9
	s_and_b32 vcc_lo, exec_lo, s0
	s_cbranch_vccnz .LBB180_25
.LBB180_9:                              ; =>This Inner Loop Header: Depth=1
	v_add_co_u32 v5, s0, v0, s6
	s_delay_alu instid0(VALU_DEP_1) | instskip(NEXT) | instid1(VALU_DEP_1)
	v_add_co_ci_u32_e64 v6, null, 0, s7, s0
	v_cmp_gt_i64_e32 vcc_lo, s[4:5], v[5:6]
	v_cmp_gt_u64_e64 s0, 0x10000, v[5:6]
	s_delay_alu instid0(VALU_DEP_1) | instskip(NEXT) | instid1(SALU_CYCLE_1)
	s_and_b32 s9, vcc_lo, s0
	s_and_saveexec_b32 s0, s9
	s_cbranch_execz .LBB180_11
; %bb.10:                               ;   in Loop: Header=BB180_9 Depth=1
	global_load_b32 v29, v[1:2], off
.LBB180_11:                             ;   in Loop: Header=BB180_9 Depth=1
	s_or_b32 exec_lo, exec_lo, s0
	v_add_co_u32 v7, vcc_lo, v20, s6
	v_add_co_ci_u32_e32 v8, vcc_lo, s7, v23, vcc_lo
	s_delay_alu instid0(VALU_DEP_1) | instskip(SKIP_1) | instid1(VALU_DEP_1)
	v_cmp_gt_i64_e32 vcc_lo, s[4:5], v[7:8]
	v_cmp_gt_u64_e64 s0, 0x10000, v[7:8]
	s_and_b32 s9, vcc_lo, s0
	s_delay_alu instid0(SALU_CYCLE_1)
	s_and_saveexec_b32 s0, s9
	s_cbranch_execz .LBB180_13
; %bb.12:                               ;   in Loop: Header=BB180_9 Depth=1
	global_load_b32 v28, v[3:4], off
.LBB180_13:                             ;   in Loop: Header=BB180_9 Depth=1
	s_or_b32 exec_lo, exec_lo, s0
	v_add_co_u32 v9, vcc_lo, v24, s6
	v_add_co_ci_u32_e32 v10, vcc_lo, s7, v25, vcc_lo
	s_delay_alu instid0(VALU_DEP_1) | instskip(SKIP_1) | instid1(VALU_DEP_1)
	v_cmp_gt_i64_e32 vcc_lo, s[4:5], v[9:10]
	v_cmp_gt_u64_e64 s0, 0x10000, v[9:10]
	s_and_b32 s9, vcc_lo, s0
	s_delay_alu instid0(SALU_CYCLE_1)
	s_and_saveexec_b32 s0, s9
	s_cbranch_execz .LBB180_15
; %bb.14:                               ;   in Loop: Header=BB180_9 Depth=1
	v_add_co_u32 v11, vcc_lo, v1, s11
	v_add_co_ci_u32_e32 v12, vcc_lo, 0, v2, vcc_lo
	global_load_b32 v30, v[11:12], off
.LBB180_15:                             ;   in Loop: Header=BB180_9 Depth=1
	s_or_b32 exec_lo, exec_lo, s0
	v_add_co_u32 v11, vcc_lo, v18, s6
	v_add_co_ci_u32_e32 v12, vcc_lo, s7, v19, vcc_lo
	s_delay_alu instid0(VALU_DEP_1) | instskip(SKIP_1) | instid1(VALU_DEP_1)
	v_cmp_gt_i64_e32 vcc_lo, s[4:5], v[11:12]
	v_cmp_gt_u64_e64 s0, 0x10000, v[11:12]
	s_and_b32 s9, vcc_lo, s0
	s_delay_alu instid0(SALU_CYCLE_1)
	s_and_saveexec_b32 s0, s9
	s_cbranch_execnz .LBB180_20
; %bb.16:                               ;   in Loop: Header=BB180_9 Depth=1
	s_or_b32 exec_lo, exec_lo, s0
	s_delay_alu instid0(SALU_CYCLE_1)
	s_mov_b32 s0, exec_lo
	v_cmpx_gt_u64_e64 s[2:3], v[5:6]
	s_cbranch_execnz .LBB180_21
.LBB180_17:                             ;   in Loop: Header=BB180_9 Depth=1
	s_or_b32 exec_lo, exec_lo, s0
	s_delay_alu instid0(SALU_CYCLE_1)
	s_mov_b32 s0, exec_lo
	v_cmpx_gt_u64_e64 s[2:3], v[7:8]
	s_cbranch_execnz .LBB180_22
.LBB180_18:                             ;   in Loop: Header=BB180_9 Depth=1
	s_or_b32 exec_lo, exec_lo, s0
	s_delay_alu instid0(SALU_CYCLE_1)
	s_mov_b32 s0, exec_lo
	v_cmpx_gt_u64_e64 s[2:3], v[9:10]
	s_cbranch_execnz .LBB180_23
.LBB180_19:                             ;   in Loop: Header=BB180_9 Depth=1
	s_or_b32 exec_lo, exec_lo, s0
	s_delay_alu instid0(SALU_CYCLE_1)
	s_mov_b32 s0, exec_lo
	v_cmpx_gt_u64_e64 s[2:3], v[11:12]
	s_cbranch_execz .LBB180_8
	s_branch .LBB180_24
.LBB180_20:                             ;   in Loop: Header=BB180_9 Depth=1
	v_add_co_u32 v31, vcc_lo, v1, s8
	v_add_co_ci_u32_e32 v32, vcc_lo, 0, v2, vcc_lo
	global_load_b32 v13, v[31:32], off
	s_or_b32 exec_lo, exec_lo, s0
	s_delay_alu instid0(SALU_CYCLE_1)
	s_mov_b32 s0, exec_lo
	v_cmpx_gt_u64_e64 s[2:3], v[5:6]
	s_cbranch_execz .LBB180_17
.LBB180_21:                             ;   in Loop: Header=BB180_9 Depth=1
	v_add_co_u32 v5, vcc_lo, v14, s6
	v_add_co_ci_u32_e32 v6, vcc_lo, s7, v15, vcc_lo
	s_waitcnt vmcnt(0)
	v_cvt_i32_f32_e32 v31, v29
	global_store_b8 v[5:6], v31, off
	s_or_b32 exec_lo, exec_lo, s0
	s_delay_alu instid0(SALU_CYCLE_1)
	s_mov_b32 s0, exec_lo
	v_cmpx_gt_u64_e64 s[2:3], v[7:8]
	s_cbranch_execz .LBB180_18
.LBB180_22:                             ;   in Loop: Header=BB180_9 Depth=1
	v_add_co_u32 v5, vcc_lo, v26, s6
	s_waitcnt vmcnt(0)
	v_cvt_i32_f32_e32 v7, v28
	v_add_co_ci_u32_e32 v6, vcc_lo, s7, v27, vcc_lo
	global_store_b8 v[5:6], v7, off
	s_or_b32 exec_lo, exec_lo, s0
	s_delay_alu instid0(SALU_CYCLE_1)
	s_mov_b32 s0, exec_lo
	v_cmpx_gt_u64_e64 s[2:3], v[9:10]
	s_cbranch_execz .LBB180_19
.LBB180_23:                             ;   in Loop: Header=BB180_9 Depth=1
	v_add_co_u32 v5, vcc_lo, v21, s6
	s_waitcnt vmcnt(0)
	v_cvt_i32_f32_e32 v7, v30
	v_add_co_ci_u32_e32 v6, vcc_lo, s7, v22, vcc_lo
	global_store_b8 v[5:6], v7, off
	s_or_b32 exec_lo, exec_lo, s0
	s_delay_alu instid0(SALU_CYCLE_1)
	s_mov_b32 s0, exec_lo
	v_cmpx_gt_u64_e64 s[2:3], v[11:12]
	s_cbranch_execz .LBB180_8
.LBB180_24:                             ;   in Loop: Header=BB180_9 Depth=1
	v_add_co_u32 v5, vcc_lo, v16, s6
	s_waitcnt vmcnt(0)
	v_cvt_i32_f32_e32 v7, v13
	v_add_co_ci_u32_e32 v6, vcc_lo, s7, v17, vcc_lo
	global_store_b8 v[5:6], v7, off
	s_branch .LBB180_8
.LBB180_25:
	s_nop 0
	s_sendmsg sendmsg(MSG_DEALLOC_VGPRS)
	s_endpgm
	.section	.rodata,"a",@progbits
	.p2align	6, 0x0
	.amdhsa_kernel _ZN2at6native12_GLOBAL__N_125multi_tensor_apply_kernelINS1_18TensorListMetadataILi2EEENS1_11CopyFunctorIaN3c107complexIfEELi2ELi1ELi1EEEJNS0_4CopyIaS8_EEEEEvT_T0_DpT1_
		.amdhsa_group_segment_fixed_size 0
		.amdhsa_private_segment_fixed_size 0
		.amdhsa_kernarg_size 3408
		.amdhsa_user_sgpr_count 15
		.amdhsa_user_sgpr_dispatch_ptr 0
		.amdhsa_user_sgpr_queue_ptr 0
		.amdhsa_user_sgpr_kernarg_segment_ptr 1
		.amdhsa_user_sgpr_dispatch_id 0
		.amdhsa_user_sgpr_private_segment_size 0
		.amdhsa_wavefront_size32 1
		.amdhsa_uses_dynamic_stack 0
		.amdhsa_enable_private_segment 0
		.amdhsa_system_sgpr_workgroup_id_x 1
		.amdhsa_system_sgpr_workgroup_id_y 0
		.amdhsa_system_sgpr_workgroup_id_z 0
		.amdhsa_system_sgpr_workgroup_info 0
		.amdhsa_system_vgpr_workitem_id 0
		.amdhsa_next_free_vgpr 33
		.amdhsa_next_free_sgpr 20
		.amdhsa_reserve_vcc 1
		.amdhsa_float_round_mode_32 0
		.amdhsa_float_round_mode_16_64 0
		.amdhsa_float_denorm_mode_32 3
		.amdhsa_float_denorm_mode_16_64 3
		.amdhsa_dx10_clamp 1
		.amdhsa_ieee_mode 1
		.amdhsa_fp16_overflow 0
		.amdhsa_workgroup_processor_mode 1
		.amdhsa_memory_ordered 1
		.amdhsa_forward_progress 0
		.amdhsa_shared_vgpr_count 0
		.amdhsa_exception_fp_ieee_invalid_op 0
		.amdhsa_exception_fp_denorm_src 0
		.amdhsa_exception_fp_ieee_div_zero 0
		.amdhsa_exception_fp_ieee_overflow 0
		.amdhsa_exception_fp_ieee_underflow 0
		.amdhsa_exception_fp_ieee_inexact 0
		.amdhsa_exception_int_div_zero 0
	.end_amdhsa_kernel
	.section	.text._ZN2at6native12_GLOBAL__N_125multi_tensor_apply_kernelINS1_18TensorListMetadataILi2EEENS1_11CopyFunctorIaN3c107complexIfEELi2ELi1ELi1EEEJNS0_4CopyIaS8_EEEEEvT_T0_DpT1_,"axG",@progbits,_ZN2at6native12_GLOBAL__N_125multi_tensor_apply_kernelINS1_18TensorListMetadataILi2EEENS1_11CopyFunctorIaN3c107complexIfEELi2ELi1ELi1EEEJNS0_4CopyIaS8_EEEEEvT_T0_DpT1_,comdat
.Lfunc_end180:
	.size	_ZN2at6native12_GLOBAL__N_125multi_tensor_apply_kernelINS1_18TensorListMetadataILi2EEENS1_11CopyFunctorIaN3c107complexIfEELi2ELi1ELi1EEEJNS0_4CopyIaS8_EEEEEvT_T0_DpT1_, .Lfunc_end180-_ZN2at6native12_GLOBAL__N_125multi_tensor_apply_kernelINS1_18TensorListMetadataILi2EEENS1_11CopyFunctorIaN3c107complexIfEELi2ELi1ELi1EEEJNS0_4CopyIaS8_EEEEEvT_T0_DpT1_
                                        ; -- End function
	.section	.AMDGPU.csdata,"",@progbits
; Kernel info:
; codeLenInByte = 1512
; NumSgprs: 22
; NumVgprs: 33
; ScratchSize: 0
; MemoryBound: 0
; FloatMode: 240
; IeeeMode: 1
; LDSByteSize: 0 bytes/workgroup (compile time only)
; SGPRBlocks: 2
; VGPRBlocks: 4
; NumSGPRsForWavesPerEU: 22
; NumVGPRsForWavesPerEU: 33
; Occupancy: 16
; WaveLimiterHint : 0
; COMPUTE_PGM_RSRC2:SCRATCH_EN: 0
; COMPUTE_PGM_RSRC2:USER_SGPR: 15
; COMPUTE_PGM_RSRC2:TRAP_HANDLER: 0
; COMPUTE_PGM_RSRC2:TGID_X_EN: 1
; COMPUTE_PGM_RSRC2:TGID_Y_EN: 0
; COMPUTE_PGM_RSRC2:TGID_Z_EN: 0
; COMPUTE_PGM_RSRC2:TIDIG_COMP_CNT: 0
	.section	.text._ZN2at6native12_GLOBAL__N_125multi_tensor_apply_kernelINS1_18TensorListMetadataILi2EEENS1_11CopyFunctorIaN3c104HalfELi2ELi1ELi1EEEJNS0_4CopyIaS7_EEEEEvT_T0_DpT1_,"axG",@progbits,_ZN2at6native12_GLOBAL__N_125multi_tensor_apply_kernelINS1_18TensorListMetadataILi2EEENS1_11CopyFunctorIaN3c104HalfELi2ELi1ELi1EEEJNS0_4CopyIaS7_EEEEEvT_T0_DpT1_,comdat
	.globl	_ZN2at6native12_GLOBAL__N_125multi_tensor_apply_kernelINS1_18TensorListMetadataILi2EEENS1_11CopyFunctorIaN3c104HalfELi2ELi1ELi1EEEJNS0_4CopyIaS7_EEEEEvT_T0_DpT1_ ; -- Begin function _ZN2at6native12_GLOBAL__N_125multi_tensor_apply_kernelINS1_18TensorListMetadataILi2EEENS1_11CopyFunctorIaN3c104HalfELi2ELi1ELi1EEEJNS0_4CopyIaS7_EEEEEvT_T0_DpT1_
	.p2align	8
	.type	_ZN2at6native12_GLOBAL__N_125multi_tensor_apply_kernelINS1_18TensorListMetadataILi2EEENS1_11CopyFunctorIaN3c104HalfELi2ELi1ELi1EEEJNS0_4CopyIaS7_EEEEEvT_T0_DpT1_,@function
_ZN2at6native12_GLOBAL__N_125multi_tensor_apply_kernelINS1_18TensorListMetadataILi2EEENS1_11CopyFunctorIaN3c104HalfELi2ELi1ELi1EEEJNS0_4CopyIaS7_EEEEEvT_T0_DpT1_: ; @_ZN2at6native12_GLOBAL__N_125multi_tensor_apply_kernelINS1_18TensorListMetadataILi2EEENS1_11CopyFunctorIaN3c104HalfELi2ELi1ELi1EEEJNS0_4CopyIaS7_EEEEEvT_T0_DpT1_
; %bb.0:
	v_mov_b32_e32 v1, s15
	s_add_u32 s2, s0, s15
	s_mul_i32 s4, s15, 3
	s_addc_u32 s3, s1, 0
	s_mul_hi_u32 s5, s15, 3
	global_load_u8 v1, v1, s[0:1] offset:1536
	s_add_u32 s2, s2, s4
	s_addc_u32 s3, s3, s5
	s_mov_b32 s17, 0
	s_load_b32 s10, s[2:3], 0x740
	s_waitcnt lgkmcnt(0)
	s_ashr_i32 s11, s10, 31
	s_delay_alu instid0(SALU_CYCLE_1) | instskip(SKIP_2) | instid1(VALU_DEP_1)
	s_lshl_b64 s[8:9], s[10:11], 16
	s_waitcnt vmcnt(0)
	v_readfirstlane_b32 s4, v1
	s_lshl_b32 s4, s4, 3
	s_clause 0x2
	s_load_b64 s[6:7], s[0:1], s4 offset:0x200
	s_load_b64 s[2:3], s[0:1], s4 offset:0x400
	;; [unrolled: 1-line block ×3, first 2 shown]
	s_waitcnt lgkmcnt(0)
	s_add_u32 s14, s6, s8
	s_addc_u32 s15, s7, s9
	s_delay_alu instid0(SALU_CYCLE_1) | instskip(SKIP_2) | instid1(SALU_CYCLE_1)
	s_or_b64 s[4:5], s[2:3], s[14:15]
	s_and_b32 s5, s12, 7
	s_and_b32 s4, s4, 3
	s_or_b32 s16, s4, s5
	s_sub_u32 s4, s2, s8
	s_subb_u32 s5, s3, s9
	s_cmp_eq_u64 s[16:17], 0
	s_mov_b32 s2, -1
	s_cbranch_scc0 .LBB181_5
; %bb.1:
	v_dual_mov_b32 v2, 0 :: v_dual_lshlrev_b32 v1, 2, v0
	s_mov_b32 s16, exec_lo
	s_delay_alu instid0(VALU_DEP_1)
	v_cmpx_gt_i64_e64 s[4:5], v[1:2]
	s_cbranch_execz .LBB181_4
; %bb.2:
	s_load_b32 s17, s[0:1], 0xc5c
	v_lshlrev_b32_e32 v3, 3, v0
	s_lshl_b64 s[2:3], s[10:11], 17
	s_mov_b32 s18, 0
	s_waitcnt lgkmcnt(0)
	s_and_b32 s19, s17, 0xffff
	s_delay_alu instid0(SALU_CYCLE_1) | instskip(SKIP_3) | instid1(VALU_DEP_1)
	s_lshl_b32 s17, s19, 2
	s_add_u32 s2, s12, s2
	s_addc_u32 s3, s13, s3
	v_add_co_u32 v3, s2, s2, v3
	v_add_co_ci_u32_e64 v4, null, s3, 0, s2
	s_lshl_b32 s19, s19, 3
	s_set_inst_prefetch_distance 0x1
	.p2align	6
.LBB181_3:                              ; =>This Inner Loop Header: Depth=1
	global_load_b64 v[5:6], v[3:4], off
	v_add_co_u32 v7, vcc_lo, s14, v1
	v_add_co_ci_u32_e32 v8, vcc_lo, s15, v2, vcc_lo
	v_add_co_u32 v1, vcc_lo, s17, v1
	v_add_co_ci_u32_e32 v2, vcc_lo, 0, v2, vcc_lo
	v_add_co_u32 v3, s3, v3, s19
	s_delay_alu instid0(VALU_DEP_1) | instskip(NEXT) | instid1(VALU_DEP_3)
	v_add_co_ci_u32_e64 v4, s3, 0, v4, s3
	v_cmp_le_i64_e32 vcc_lo, s[4:5], v[1:2]
	v_cmp_lt_u64_e64 s2, 0xffff, v[1:2]
	s_delay_alu instid0(VALU_DEP_1) | instskip(NEXT) | instid1(SALU_CYCLE_1)
	s_or_b32 s2, vcc_lo, s2
	s_and_b32 s2, exec_lo, s2
	s_delay_alu instid0(SALU_CYCLE_1)
	s_or_b32 s18, s2, s18
	s_waitcnt vmcnt(0)
	v_lshrrev_b32_e32 v9, 16, v5
	v_lshrrev_b32_e32 v10, 16, v6
	v_cvt_i16_f16_e32 v5, v5
	v_cvt_i16_f16_e32 v6, v6
	s_delay_alu instid0(VALU_DEP_4) | instskip(NEXT) | instid1(VALU_DEP_4)
	v_cvt_i16_f16_e32 v9, v9
	v_cvt_i16_f16_e32 v10, v10
	s_delay_alu instid0(VALU_DEP_4) | instskip(NEXT) | instid1(VALU_DEP_4)
	v_and_b32_e32 v5, 0xff, v5
	v_and_b32_e32 v6, 0xff, v6
	s_delay_alu instid0(VALU_DEP_4) | instskip(NEXT) | instid1(VALU_DEP_4)
	v_lshlrev_b16 v9, 8, v9
	v_lshlrev_b16 v10, 8, v10
	s_delay_alu instid0(VALU_DEP_2) | instskip(NEXT) | instid1(VALU_DEP_2)
	v_or_b32_e32 v5, v5, v9
	v_or_b32_e32 v6, v6, v10
	s_delay_alu instid0(VALU_DEP_2) | instskip(NEXT) | instid1(VALU_DEP_2)
	v_and_b32_e32 v5, 0xffff, v5
	v_lshlrev_b32_e32 v6, 16, v6
	s_delay_alu instid0(VALU_DEP_1)
	v_or_b32_e32 v5, v5, v6
	global_store_b32 v[7:8], v5, off
	s_and_not1_b32 exec_lo, exec_lo, s18
	s_cbranch_execnz .LBB181_3
.LBB181_4:
	s_set_inst_prefetch_distance 0x2
	s_or_b32 exec_lo, exec_lo, s16
	s_mov_b32 s2, 0
.LBB181_5:
	s_delay_alu instid0(SALU_CYCLE_1)
	s_and_not1_b32 vcc_lo, exec_lo, s2
	s_cbranch_vccnz .LBB181_25
; %bb.6:
	v_cmp_lt_i64_e64 s2, s[4:5], 1
	s_delay_alu instid0(VALU_DEP_1)
	s_and_b32 vcc_lo, exec_lo, s2
	s_cbranch_vccnz .LBB181_25
; %bb.7:
	s_load_b32 s0, s[0:1], 0xc5c
	v_cmp_gt_u64_e64 s1, 0x10000, s[4:5]
	v_add_co_u32 v5, s2, s8, v0
	v_lshlrev_b32_e32 v1, 1, v0
	v_add_co_ci_u32_e64 v6, null, s9, 0, s2
	s_delay_alu instid0(VALU_DEP_3) | instskip(NEXT) | instid1(VALU_DEP_2)
	v_add_co_u32 v13, vcc_lo, s6, v5
                                        ; implicit-def: $vgpr29
                                        ; implicit-def: $vgpr30
                                        ; implicit-def: $vgpr27
                                        ; implicit-def: $vgpr28
	v_add_co_ci_u32_e32 v14, vcc_lo, s7, v6, vcc_lo
	s_waitcnt lgkmcnt(0)
	s_and_b32 s0, s0, 0xffff
	s_and_b32 s1, s1, exec_lo
	s_cselect_b32 s3, s5, 0
	s_cselect_b32 s2, s4, 0x10000
	s_lshl_b64 s[10:11], s[10:11], 17
	s_lshl_b32 s14, s0, 1
	s_lshl_b32 s1, s0, 2
	s_add_u32 s12, s12, s10
	s_mul_i32 s15, s0, 3
	s_addc_u32 s11, s13, s11
	s_lshl_b32 s10, s0, 3
	v_add_co_u32 v1, s16, s12, v1
	s_add_u32 s13, s8, s15
	v_add_co_ci_u32_e64 v2, null, s11, 0, s16
	s_addc_u32 s16, s9, 0
	s_add_u32 s13, s6, s13
	s_addc_u32 s16, s7, s16
	v_add_co_u32 v15, s13, s13, v0
	s_delay_alu instid0(VALU_DEP_1) | instskip(SKIP_1) | instid1(VALU_DEP_1)
	v_add_co_ci_u32_e64 v16, null, s16, 0, s13
	v_add_co_u32 v17, s13, s15, v0
	v_add_co_ci_u32_e64 v18, null, 0, 0, s13
	v_add_co_u32 v19, s13, v0, s0
	s_add_u32 s8, s8, s14
	s_addc_u32 s9, s9, 0
	s_add_u32 s8, s6, s8
	s_delay_alu instid0(VALU_DEP_1) | instskip(SKIP_2) | instid1(VALU_DEP_1)
	v_lshlrev_b32_e32 v3, 1, v19
	s_addc_u32 s9, s7, s9
	v_add_co_u32 v20, s8, s8, v0
	v_add_co_ci_u32_e64 v21, null, s9, 0, s8
	v_add_co_u32 v23, s8, s14, v0
	s_add_u32 s6, s6, s0
	v_add_co_ci_u32_e64 v24, null, 0, 0, s8
	v_add_co_u32 v3, s8, s12, v3
	s_addc_u32 s7, s7, 0
	v_add_co_u32 v25, vcc_lo, s6, v5
	v_add_co_ci_u32_e64 v22, null, 0, 0, s13
	v_add_co_ci_u32_e64 v4, null, s11, 0, s8
	v_add_co_ci_u32_e32 v26, vcc_lo, s7, v6, vcc_lo
	s_mul_i32 s8, s0, 6
	s_mov_b64 s[6:7], 0
	s_branch .LBB181_9
.LBB181_8:                              ;   in Loop: Header=BB181_9 Depth=1
	s_or_b32 exec_lo, exec_lo, s0
	s_add_u32 s6, s6, s1
	s_addc_u32 s7, s7, 0
	v_add_co_u32 v1, vcc_lo, v1, s10
	v_cmp_ge_i64_e64 s0, s[6:7], s[4:5]
	v_cmp_lt_u64_e64 s9, 0xffff, s[6:7]
	v_add_co_ci_u32_e32 v2, vcc_lo, 0, v2, vcc_lo
	v_add_co_u32 v3, vcc_lo, v3, s10
	v_add_co_ci_u32_e32 v4, vcc_lo, 0, v4, vcc_lo
	s_delay_alu instid0(VALU_DEP_4) | instskip(NEXT) | instid1(SALU_CYCLE_1)
	s_or_b32 s0, s0, s9
	s_and_b32 vcc_lo, exec_lo, s0
	s_cbranch_vccnz .LBB181_25
.LBB181_9:                              ; =>This Inner Loop Header: Depth=1
	v_add_co_u32 v5, s0, v0, s6
	s_delay_alu instid0(VALU_DEP_1) | instskip(NEXT) | instid1(VALU_DEP_1)
	v_add_co_ci_u32_e64 v6, null, 0, s7, s0
	v_cmp_gt_i64_e32 vcc_lo, s[4:5], v[5:6]
	v_cmp_gt_u64_e64 s0, 0x10000, v[5:6]
	s_delay_alu instid0(VALU_DEP_1) | instskip(NEXT) | instid1(SALU_CYCLE_1)
	s_and_b32 s9, vcc_lo, s0
	s_and_saveexec_b32 s0, s9
	s_cbranch_execz .LBB181_11
; %bb.10:                               ;   in Loop: Header=BB181_9 Depth=1
	global_load_u16 v28, v[1:2], off
.LBB181_11:                             ;   in Loop: Header=BB181_9 Depth=1
	s_or_b32 exec_lo, exec_lo, s0
	v_add_co_u32 v7, vcc_lo, v19, s6
	v_add_co_ci_u32_e32 v8, vcc_lo, s7, v22, vcc_lo
	s_delay_alu instid0(VALU_DEP_1) | instskip(SKIP_1) | instid1(VALU_DEP_1)
	v_cmp_gt_i64_e32 vcc_lo, s[4:5], v[7:8]
	v_cmp_gt_u64_e64 s0, 0x10000, v[7:8]
	s_and_b32 s9, vcc_lo, s0
	s_delay_alu instid0(SALU_CYCLE_1)
	s_and_saveexec_b32 s0, s9
	s_cbranch_execz .LBB181_13
; %bb.12:                               ;   in Loop: Header=BB181_9 Depth=1
	global_load_u16 v27, v[3:4], off
.LBB181_13:                             ;   in Loop: Header=BB181_9 Depth=1
	s_or_b32 exec_lo, exec_lo, s0
	v_add_co_u32 v9, vcc_lo, v23, s6
	v_add_co_ci_u32_e32 v10, vcc_lo, s7, v24, vcc_lo
	s_delay_alu instid0(VALU_DEP_1) | instskip(SKIP_1) | instid1(VALU_DEP_1)
	v_cmp_gt_i64_e32 vcc_lo, s[4:5], v[9:10]
	v_cmp_gt_u64_e64 s0, 0x10000, v[9:10]
	s_and_b32 s9, vcc_lo, s0
	s_delay_alu instid0(SALU_CYCLE_1)
	s_and_saveexec_b32 s0, s9
	s_cbranch_execz .LBB181_15
; %bb.14:                               ;   in Loop: Header=BB181_9 Depth=1
	v_add_co_u32 v11, vcc_lo, v1, s1
	v_add_co_ci_u32_e32 v12, vcc_lo, 0, v2, vcc_lo
	global_load_u16 v30, v[11:12], off
.LBB181_15:                             ;   in Loop: Header=BB181_9 Depth=1
	s_or_b32 exec_lo, exec_lo, s0
	v_add_co_u32 v11, vcc_lo, v17, s6
	v_add_co_ci_u32_e32 v12, vcc_lo, s7, v18, vcc_lo
	s_delay_alu instid0(VALU_DEP_1) | instskip(SKIP_1) | instid1(VALU_DEP_1)
	v_cmp_gt_i64_e32 vcc_lo, s[4:5], v[11:12]
	v_cmp_gt_u64_e64 s0, 0x10000, v[11:12]
	s_and_b32 s9, vcc_lo, s0
	s_delay_alu instid0(SALU_CYCLE_1)
	s_and_saveexec_b32 s0, s9
	s_cbranch_execnz .LBB181_20
; %bb.16:                               ;   in Loop: Header=BB181_9 Depth=1
	s_or_b32 exec_lo, exec_lo, s0
	s_delay_alu instid0(SALU_CYCLE_1)
	s_mov_b32 s0, exec_lo
	v_cmpx_gt_u64_e64 s[2:3], v[5:6]
	s_cbranch_execnz .LBB181_21
.LBB181_17:                             ;   in Loop: Header=BB181_9 Depth=1
	s_or_b32 exec_lo, exec_lo, s0
	s_delay_alu instid0(SALU_CYCLE_1)
	s_mov_b32 s0, exec_lo
	v_cmpx_gt_u64_e64 s[2:3], v[7:8]
	s_cbranch_execnz .LBB181_22
.LBB181_18:                             ;   in Loop: Header=BB181_9 Depth=1
	s_or_b32 exec_lo, exec_lo, s0
	s_delay_alu instid0(SALU_CYCLE_1)
	s_mov_b32 s0, exec_lo
	v_cmpx_gt_u64_e64 s[2:3], v[9:10]
	s_cbranch_execnz .LBB181_23
.LBB181_19:                             ;   in Loop: Header=BB181_9 Depth=1
	s_or_b32 exec_lo, exec_lo, s0
	s_delay_alu instid0(SALU_CYCLE_1)
	s_mov_b32 s0, exec_lo
	v_cmpx_gt_u64_e64 s[2:3], v[11:12]
	s_cbranch_execz .LBB181_8
	s_branch .LBB181_24
.LBB181_20:                             ;   in Loop: Header=BB181_9 Depth=1
	v_add_co_u32 v31, vcc_lo, v1, s8
	v_add_co_ci_u32_e32 v32, vcc_lo, 0, v2, vcc_lo
	global_load_u16 v29, v[31:32], off
	s_or_b32 exec_lo, exec_lo, s0
	s_delay_alu instid0(SALU_CYCLE_1)
	s_mov_b32 s0, exec_lo
	v_cmpx_gt_u64_e64 s[2:3], v[5:6]
	s_cbranch_execz .LBB181_17
.LBB181_21:                             ;   in Loop: Header=BB181_9 Depth=1
	v_add_co_u32 v5, vcc_lo, v13, s6
	v_add_co_ci_u32_e32 v6, vcc_lo, s7, v14, vcc_lo
	s_waitcnt vmcnt(0)
	v_cvt_i16_f16_e32 v31, v28
	global_store_b8 v[5:6], v31, off
	s_or_b32 exec_lo, exec_lo, s0
	s_delay_alu instid0(SALU_CYCLE_1)
	s_mov_b32 s0, exec_lo
	v_cmpx_gt_u64_e64 s[2:3], v[7:8]
	s_cbranch_execz .LBB181_18
.LBB181_22:                             ;   in Loop: Header=BB181_9 Depth=1
	v_add_co_u32 v5, vcc_lo, v25, s6
	s_waitcnt vmcnt(0)
	v_cvt_i16_f16_e32 v7, v27
	v_add_co_ci_u32_e32 v6, vcc_lo, s7, v26, vcc_lo
	global_store_b8 v[5:6], v7, off
	s_or_b32 exec_lo, exec_lo, s0
	s_delay_alu instid0(SALU_CYCLE_1)
	s_mov_b32 s0, exec_lo
	v_cmpx_gt_u64_e64 s[2:3], v[9:10]
	s_cbranch_execz .LBB181_19
.LBB181_23:                             ;   in Loop: Header=BB181_9 Depth=1
	v_add_co_u32 v5, vcc_lo, v20, s6
	s_waitcnt vmcnt(0)
	v_cvt_i16_f16_e32 v7, v30
	v_add_co_ci_u32_e32 v6, vcc_lo, s7, v21, vcc_lo
	global_store_b8 v[5:6], v7, off
	s_or_b32 exec_lo, exec_lo, s0
	s_delay_alu instid0(SALU_CYCLE_1)
	s_mov_b32 s0, exec_lo
	v_cmpx_gt_u64_e64 s[2:3], v[11:12]
	s_cbranch_execz .LBB181_8
.LBB181_24:                             ;   in Loop: Header=BB181_9 Depth=1
	v_add_co_u32 v5, vcc_lo, v15, s6
	s_waitcnt vmcnt(0)
	v_cvt_i16_f16_e32 v7, v29
	v_add_co_ci_u32_e32 v6, vcc_lo, s7, v16, vcc_lo
	global_store_b8 v[5:6], v7, off
	s_branch .LBB181_8
.LBB181_25:
	s_nop 0
	s_sendmsg sendmsg(MSG_DEALLOC_VGPRS)
	s_endpgm
	.section	.rodata,"a",@progbits
	.p2align	6, 0x0
	.amdhsa_kernel _ZN2at6native12_GLOBAL__N_125multi_tensor_apply_kernelINS1_18TensorListMetadataILi2EEENS1_11CopyFunctorIaN3c104HalfELi2ELi1ELi1EEEJNS0_4CopyIaS7_EEEEEvT_T0_DpT1_
		.amdhsa_group_segment_fixed_size 0
		.amdhsa_private_segment_fixed_size 0
		.amdhsa_kernarg_size 3408
		.amdhsa_user_sgpr_count 15
		.amdhsa_user_sgpr_dispatch_ptr 0
		.amdhsa_user_sgpr_queue_ptr 0
		.amdhsa_user_sgpr_kernarg_segment_ptr 1
		.amdhsa_user_sgpr_dispatch_id 0
		.amdhsa_user_sgpr_private_segment_size 0
		.amdhsa_wavefront_size32 1
		.amdhsa_uses_dynamic_stack 0
		.amdhsa_enable_private_segment 0
		.amdhsa_system_sgpr_workgroup_id_x 1
		.amdhsa_system_sgpr_workgroup_id_y 0
		.amdhsa_system_sgpr_workgroup_id_z 0
		.amdhsa_system_sgpr_workgroup_info 0
		.amdhsa_system_vgpr_workitem_id 0
		.amdhsa_next_free_vgpr 33
		.amdhsa_next_free_sgpr 20
		.amdhsa_reserve_vcc 1
		.amdhsa_float_round_mode_32 0
		.amdhsa_float_round_mode_16_64 0
		.amdhsa_float_denorm_mode_32 3
		.amdhsa_float_denorm_mode_16_64 3
		.amdhsa_dx10_clamp 1
		.amdhsa_ieee_mode 1
		.amdhsa_fp16_overflow 0
		.amdhsa_workgroup_processor_mode 1
		.amdhsa_memory_ordered 1
		.amdhsa_forward_progress 0
		.amdhsa_shared_vgpr_count 0
		.amdhsa_exception_fp_ieee_invalid_op 0
		.amdhsa_exception_fp_denorm_src 0
		.amdhsa_exception_fp_ieee_div_zero 0
		.amdhsa_exception_fp_ieee_overflow 0
		.amdhsa_exception_fp_ieee_underflow 0
		.amdhsa_exception_fp_ieee_inexact 0
		.amdhsa_exception_int_div_zero 0
	.end_amdhsa_kernel
	.section	.text._ZN2at6native12_GLOBAL__N_125multi_tensor_apply_kernelINS1_18TensorListMetadataILi2EEENS1_11CopyFunctorIaN3c104HalfELi2ELi1ELi1EEEJNS0_4CopyIaS7_EEEEEvT_T0_DpT1_,"axG",@progbits,_ZN2at6native12_GLOBAL__N_125multi_tensor_apply_kernelINS1_18TensorListMetadataILi2EEENS1_11CopyFunctorIaN3c104HalfELi2ELi1ELi1EEEJNS0_4CopyIaS7_EEEEEvT_T0_DpT1_,comdat
.Lfunc_end181:
	.size	_ZN2at6native12_GLOBAL__N_125multi_tensor_apply_kernelINS1_18TensorListMetadataILi2EEENS1_11CopyFunctorIaN3c104HalfELi2ELi1ELi1EEEJNS0_4CopyIaS7_EEEEEvT_T0_DpT1_, .Lfunc_end181-_ZN2at6native12_GLOBAL__N_125multi_tensor_apply_kernelINS1_18TensorListMetadataILi2EEENS1_11CopyFunctorIaN3c104HalfELi2ELi1ELi1EEEJNS0_4CopyIaS7_EEEEEvT_T0_DpT1_
                                        ; -- End function
	.section	.AMDGPU.csdata,"",@progbits
; Kernel info:
; codeLenInByte = 1472
; NumSgprs: 22
; NumVgprs: 33
; ScratchSize: 0
; MemoryBound: 0
; FloatMode: 240
; IeeeMode: 1
; LDSByteSize: 0 bytes/workgroup (compile time only)
; SGPRBlocks: 2
; VGPRBlocks: 4
; NumSGPRsForWavesPerEU: 22
; NumVGPRsForWavesPerEU: 33
; Occupancy: 16
; WaveLimiterHint : 0
; COMPUTE_PGM_RSRC2:SCRATCH_EN: 0
; COMPUTE_PGM_RSRC2:USER_SGPR: 15
; COMPUTE_PGM_RSRC2:TRAP_HANDLER: 0
; COMPUTE_PGM_RSRC2:TGID_X_EN: 1
; COMPUTE_PGM_RSRC2:TGID_Y_EN: 0
; COMPUTE_PGM_RSRC2:TGID_Z_EN: 0
; COMPUTE_PGM_RSRC2:TIDIG_COMP_CNT: 0
	.section	.text._ZN2at6native12_GLOBAL__N_125multi_tensor_apply_kernelINS1_18TensorListMetadataILi2EEENS1_11CopyFunctorIaN3c108BFloat16ELi2ELi1ELi1EEEJNS0_4CopyIaS7_EEEEEvT_T0_DpT1_,"axG",@progbits,_ZN2at6native12_GLOBAL__N_125multi_tensor_apply_kernelINS1_18TensorListMetadataILi2EEENS1_11CopyFunctorIaN3c108BFloat16ELi2ELi1ELi1EEEJNS0_4CopyIaS7_EEEEEvT_T0_DpT1_,comdat
	.globl	_ZN2at6native12_GLOBAL__N_125multi_tensor_apply_kernelINS1_18TensorListMetadataILi2EEENS1_11CopyFunctorIaN3c108BFloat16ELi2ELi1ELi1EEEJNS0_4CopyIaS7_EEEEEvT_T0_DpT1_ ; -- Begin function _ZN2at6native12_GLOBAL__N_125multi_tensor_apply_kernelINS1_18TensorListMetadataILi2EEENS1_11CopyFunctorIaN3c108BFloat16ELi2ELi1ELi1EEEJNS0_4CopyIaS7_EEEEEvT_T0_DpT1_
	.p2align	8
	.type	_ZN2at6native12_GLOBAL__N_125multi_tensor_apply_kernelINS1_18TensorListMetadataILi2EEENS1_11CopyFunctorIaN3c108BFloat16ELi2ELi1ELi1EEEJNS0_4CopyIaS7_EEEEEvT_T0_DpT1_,@function
_ZN2at6native12_GLOBAL__N_125multi_tensor_apply_kernelINS1_18TensorListMetadataILi2EEENS1_11CopyFunctorIaN3c108BFloat16ELi2ELi1ELi1EEEJNS0_4CopyIaS7_EEEEEvT_T0_DpT1_: ; @_ZN2at6native12_GLOBAL__N_125multi_tensor_apply_kernelINS1_18TensorListMetadataILi2EEENS1_11CopyFunctorIaN3c108BFloat16ELi2ELi1ELi1EEEJNS0_4CopyIaS7_EEEEEvT_T0_DpT1_
; %bb.0:
	v_mov_b32_e32 v1, s15
	s_add_u32 s2, s0, s15
	s_mul_i32 s4, s15, 3
	s_addc_u32 s3, s1, 0
	s_mul_hi_u32 s5, s15, 3
	global_load_u8 v1, v1, s[0:1] offset:1536
	s_add_u32 s2, s2, s4
	s_addc_u32 s3, s3, s5
	s_mov_b32 s17, 0
	s_load_b32 s10, s[2:3], 0x740
	s_waitcnt lgkmcnt(0)
	s_ashr_i32 s11, s10, 31
	s_delay_alu instid0(SALU_CYCLE_1) | instskip(SKIP_2) | instid1(VALU_DEP_1)
	s_lshl_b64 s[8:9], s[10:11], 16
	s_waitcnt vmcnt(0)
	v_readfirstlane_b32 s4, v1
	s_lshl_b32 s4, s4, 3
	s_clause 0x2
	s_load_b64 s[6:7], s[0:1], s4 offset:0x200
	s_load_b64 s[2:3], s[0:1], s4 offset:0x400
	;; [unrolled: 1-line block ×3, first 2 shown]
	s_waitcnt lgkmcnt(0)
	s_add_u32 s14, s6, s8
	s_addc_u32 s15, s7, s9
	s_delay_alu instid0(SALU_CYCLE_1) | instskip(SKIP_2) | instid1(SALU_CYCLE_1)
	s_or_b64 s[4:5], s[2:3], s[14:15]
	s_and_b32 s5, s12, 7
	s_and_b32 s4, s4, 3
	s_or_b32 s16, s4, s5
	s_sub_u32 s4, s2, s8
	s_subb_u32 s5, s3, s9
	s_cmp_eq_u64 s[16:17], 0
	s_mov_b32 s2, -1
	s_cbranch_scc0 .LBB182_5
; %bb.1:
	v_dual_mov_b32 v2, 0 :: v_dual_lshlrev_b32 v1, 2, v0
	s_mov_b32 s16, exec_lo
	s_delay_alu instid0(VALU_DEP_1)
	v_cmpx_gt_i64_e64 s[4:5], v[1:2]
	s_cbranch_execz .LBB182_4
; %bb.2:
	s_load_b32 s17, s[0:1], 0xc5c
	v_lshlrev_b32_e32 v3, 3, v0
	s_lshl_b64 s[2:3], s[10:11], 17
	s_waitcnt lgkmcnt(0)
	s_and_b32 s19, s17, 0xffff
	s_add_u32 s2, s12, s2
	s_addc_u32 s3, s13, s3
	v_add_co_u32 v3, s2, s2, v3
	s_delay_alu instid0(VALU_DEP_1)
	v_add_co_ci_u32_e64 v4, null, s3, 0, s2
	s_mov_b32 s17, 0
	s_lshl_b32 s18, s19, 3
	s_lshl_b32 s19, s19, 2
.LBB182_3:                              ; =>This Inner Loop Header: Depth=1
	global_load_b64 v[5:6], v[3:4], off
	v_add_co_u32 v7, vcc_lo, s14, v1
	v_add_co_ci_u32_e32 v8, vcc_lo, s15, v2, vcc_lo
	v_add_co_u32 v1, vcc_lo, s19, v1
	v_add_co_ci_u32_e32 v2, vcc_lo, 0, v2, vcc_lo
	v_add_co_u32 v3, s3, v3, s18
	s_delay_alu instid0(VALU_DEP_1) | instskip(NEXT) | instid1(VALU_DEP_3)
	v_add_co_ci_u32_e64 v4, s3, 0, v4, s3
	v_cmp_le_i64_e32 vcc_lo, s[4:5], v[1:2]
	v_cmp_lt_u64_e64 s2, 0xffff, v[1:2]
	s_delay_alu instid0(VALU_DEP_1) | instskip(NEXT) | instid1(SALU_CYCLE_1)
	s_or_b32 s2, vcc_lo, s2
	s_and_b32 s2, exec_lo, s2
	s_delay_alu instid0(SALU_CYCLE_1)
	s_or_b32 s17, s2, s17
	s_waitcnt vmcnt(0)
	v_alignbit_b32 v9, v6, v5, 16
	v_and_b32_e32 v10, 0xffff0000, v5
	v_lshlrev_b32_e32 v5, 16, v5
	v_and_b32_e32 v6, 0xffff0000, v6
	s_delay_alu instid0(VALU_DEP_4) | instskip(NEXT) | instid1(VALU_DEP_4)
	v_and_b32_e32 v9, 0xffff0000, v9
	v_cvt_i32_f32_e32 v10, v10
	s_delay_alu instid0(VALU_DEP_4) | instskip(NEXT) | instid1(VALU_DEP_4)
	v_cvt_i32_f32_e32 v5, v5
	v_cvt_i32_f32_e32 v6, v6
	s_delay_alu instid0(VALU_DEP_4) | instskip(NEXT) | instid1(VALU_DEP_4)
	v_cvt_i32_f32_e32 v9, v9
	v_lshlrev_b16 v10, 8, v10
	s_delay_alu instid0(VALU_DEP_4) | instskip(NEXT) | instid1(VALU_DEP_4)
	v_and_b32_e32 v5, 0xff, v5
	v_lshlrev_b16 v6, 8, v6
	s_delay_alu instid0(VALU_DEP_4) | instskip(NEXT) | instid1(VALU_DEP_3)
	v_and_b32_e32 v9, 0xff, v9
	v_or_b32_e32 v5, v5, v10
	s_delay_alu instid0(VALU_DEP_2) | instskip(NEXT) | instid1(VALU_DEP_2)
	v_or_b32_e32 v6, v9, v6
	v_and_b32_e32 v5, 0xffff, v5
	s_delay_alu instid0(VALU_DEP_2) | instskip(NEXT) | instid1(VALU_DEP_1)
	v_lshlrev_b32_e32 v6, 16, v6
	v_or_b32_e32 v5, v5, v6
	global_store_b32 v[7:8], v5, off
	s_and_not1_b32 exec_lo, exec_lo, s17
	s_cbranch_execnz .LBB182_3
.LBB182_4:
	s_or_b32 exec_lo, exec_lo, s16
	s_mov_b32 s2, 0
.LBB182_5:
	s_delay_alu instid0(SALU_CYCLE_1)
	s_and_not1_b32 vcc_lo, exec_lo, s2
	s_cbranch_vccnz .LBB182_25
; %bb.6:
	v_cmp_lt_i64_e64 s2, s[4:5], 1
	s_delay_alu instid0(VALU_DEP_1)
	s_and_b32 vcc_lo, exec_lo, s2
	s_cbranch_vccnz .LBB182_25
; %bb.7:
	s_load_b32 s0, s[0:1], 0xc5c
	v_cmp_gt_u64_e64 s1, 0x10000, s[4:5]
	v_add_co_u32 v5, s2, s8, v0
	v_lshlrev_b32_e32 v1, 1, v0
	v_add_co_ci_u32_e64 v6, null, s9, 0, s2
	s_delay_alu instid0(VALU_DEP_3) | instskip(NEXT) | instid1(VALU_DEP_2)
	v_add_co_u32 v13, vcc_lo, s6, v5
                                        ; implicit-def: $vgpr29
                                        ; implicit-def: $vgpr30
                                        ; implicit-def: $vgpr27
                                        ; implicit-def: $vgpr28
	v_add_co_ci_u32_e32 v14, vcc_lo, s7, v6, vcc_lo
	s_waitcnt lgkmcnt(0)
	s_and_b32 s0, s0, 0xffff
	s_and_b32 s1, s1, exec_lo
	s_cselect_b32 s3, s5, 0
	s_cselect_b32 s2, s4, 0x10000
	s_lshl_b64 s[10:11], s[10:11], 17
	s_lshl_b32 s14, s0, 1
	s_lshl_b32 s1, s0, 2
	s_add_u32 s12, s12, s10
	s_mul_i32 s15, s0, 3
	s_addc_u32 s11, s13, s11
	s_lshl_b32 s10, s0, 3
	v_add_co_u32 v1, s16, s12, v1
	s_add_u32 s13, s8, s15
	v_add_co_ci_u32_e64 v2, null, s11, 0, s16
	s_addc_u32 s16, s9, 0
	s_add_u32 s13, s6, s13
	s_addc_u32 s16, s7, s16
	v_add_co_u32 v15, s13, s13, v0
	s_delay_alu instid0(VALU_DEP_1) | instskip(SKIP_1) | instid1(VALU_DEP_1)
	v_add_co_ci_u32_e64 v16, null, s16, 0, s13
	v_add_co_u32 v17, s13, s15, v0
	v_add_co_ci_u32_e64 v18, null, 0, 0, s13
	v_add_co_u32 v19, s13, v0, s0
	s_add_u32 s8, s8, s14
	s_addc_u32 s9, s9, 0
	s_add_u32 s8, s6, s8
	s_delay_alu instid0(VALU_DEP_1) | instskip(SKIP_2) | instid1(VALU_DEP_1)
	v_lshlrev_b32_e32 v3, 1, v19
	s_addc_u32 s9, s7, s9
	v_add_co_u32 v20, s8, s8, v0
	v_add_co_ci_u32_e64 v21, null, s9, 0, s8
	v_add_co_u32 v23, s8, s14, v0
	s_add_u32 s6, s6, s0
	v_add_co_ci_u32_e64 v24, null, 0, 0, s8
	v_add_co_u32 v3, s8, s12, v3
	s_addc_u32 s7, s7, 0
	v_add_co_u32 v25, vcc_lo, s6, v5
	v_add_co_ci_u32_e64 v22, null, 0, 0, s13
	v_add_co_ci_u32_e64 v4, null, s11, 0, s8
	v_add_co_ci_u32_e32 v26, vcc_lo, s7, v6, vcc_lo
	s_mul_i32 s8, s0, 6
	s_mov_b64 s[6:7], 0
	s_branch .LBB182_9
.LBB182_8:                              ;   in Loop: Header=BB182_9 Depth=1
	s_or_b32 exec_lo, exec_lo, s0
	s_add_u32 s6, s6, s1
	s_addc_u32 s7, s7, 0
	v_add_co_u32 v1, vcc_lo, v1, s10
	v_cmp_ge_i64_e64 s0, s[6:7], s[4:5]
	v_cmp_lt_u64_e64 s9, 0xffff, s[6:7]
	v_add_co_ci_u32_e32 v2, vcc_lo, 0, v2, vcc_lo
	v_add_co_u32 v3, vcc_lo, v3, s10
	v_add_co_ci_u32_e32 v4, vcc_lo, 0, v4, vcc_lo
	s_delay_alu instid0(VALU_DEP_4) | instskip(NEXT) | instid1(SALU_CYCLE_1)
	s_or_b32 s0, s0, s9
	s_and_b32 vcc_lo, exec_lo, s0
	s_cbranch_vccnz .LBB182_25
.LBB182_9:                              ; =>This Inner Loop Header: Depth=1
	v_add_co_u32 v5, s0, v0, s6
	s_delay_alu instid0(VALU_DEP_1) | instskip(NEXT) | instid1(VALU_DEP_1)
	v_add_co_ci_u32_e64 v6, null, 0, s7, s0
	v_cmp_gt_i64_e32 vcc_lo, s[4:5], v[5:6]
	v_cmp_gt_u64_e64 s0, 0x10000, v[5:6]
	s_delay_alu instid0(VALU_DEP_1) | instskip(NEXT) | instid1(SALU_CYCLE_1)
	s_and_b32 s9, vcc_lo, s0
	s_and_saveexec_b32 s0, s9
	s_cbranch_execz .LBB182_11
; %bb.10:                               ;   in Loop: Header=BB182_9 Depth=1
	global_load_u16 v28, v[1:2], off
.LBB182_11:                             ;   in Loop: Header=BB182_9 Depth=1
	s_or_b32 exec_lo, exec_lo, s0
	v_add_co_u32 v7, vcc_lo, v19, s6
	v_add_co_ci_u32_e32 v8, vcc_lo, s7, v22, vcc_lo
	s_delay_alu instid0(VALU_DEP_1) | instskip(SKIP_1) | instid1(VALU_DEP_1)
	v_cmp_gt_i64_e32 vcc_lo, s[4:5], v[7:8]
	v_cmp_gt_u64_e64 s0, 0x10000, v[7:8]
	s_and_b32 s9, vcc_lo, s0
	s_delay_alu instid0(SALU_CYCLE_1)
	s_and_saveexec_b32 s0, s9
	s_cbranch_execz .LBB182_13
; %bb.12:                               ;   in Loop: Header=BB182_9 Depth=1
	global_load_u16 v27, v[3:4], off
.LBB182_13:                             ;   in Loop: Header=BB182_9 Depth=1
	s_or_b32 exec_lo, exec_lo, s0
	v_add_co_u32 v9, vcc_lo, v23, s6
	v_add_co_ci_u32_e32 v10, vcc_lo, s7, v24, vcc_lo
	s_delay_alu instid0(VALU_DEP_1) | instskip(SKIP_1) | instid1(VALU_DEP_1)
	v_cmp_gt_i64_e32 vcc_lo, s[4:5], v[9:10]
	v_cmp_gt_u64_e64 s0, 0x10000, v[9:10]
	s_and_b32 s9, vcc_lo, s0
	s_delay_alu instid0(SALU_CYCLE_1)
	s_and_saveexec_b32 s0, s9
	s_cbranch_execz .LBB182_15
; %bb.14:                               ;   in Loop: Header=BB182_9 Depth=1
	v_add_co_u32 v11, vcc_lo, v1, s1
	v_add_co_ci_u32_e32 v12, vcc_lo, 0, v2, vcc_lo
	global_load_u16 v30, v[11:12], off
.LBB182_15:                             ;   in Loop: Header=BB182_9 Depth=1
	s_or_b32 exec_lo, exec_lo, s0
	v_add_co_u32 v11, vcc_lo, v17, s6
	v_add_co_ci_u32_e32 v12, vcc_lo, s7, v18, vcc_lo
	s_delay_alu instid0(VALU_DEP_1) | instskip(SKIP_1) | instid1(VALU_DEP_1)
	v_cmp_gt_i64_e32 vcc_lo, s[4:5], v[11:12]
	v_cmp_gt_u64_e64 s0, 0x10000, v[11:12]
	s_and_b32 s9, vcc_lo, s0
	s_delay_alu instid0(SALU_CYCLE_1)
	s_and_saveexec_b32 s0, s9
	s_cbranch_execnz .LBB182_20
; %bb.16:                               ;   in Loop: Header=BB182_9 Depth=1
	s_or_b32 exec_lo, exec_lo, s0
	s_delay_alu instid0(SALU_CYCLE_1)
	s_mov_b32 s0, exec_lo
	v_cmpx_gt_u64_e64 s[2:3], v[5:6]
	s_cbranch_execnz .LBB182_21
.LBB182_17:                             ;   in Loop: Header=BB182_9 Depth=1
	s_or_b32 exec_lo, exec_lo, s0
	s_delay_alu instid0(SALU_CYCLE_1)
	s_mov_b32 s0, exec_lo
	v_cmpx_gt_u64_e64 s[2:3], v[7:8]
	s_cbranch_execnz .LBB182_22
.LBB182_18:                             ;   in Loop: Header=BB182_9 Depth=1
	s_or_b32 exec_lo, exec_lo, s0
	s_delay_alu instid0(SALU_CYCLE_1)
	s_mov_b32 s0, exec_lo
	v_cmpx_gt_u64_e64 s[2:3], v[9:10]
	s_cbranch_execnz .LBB182_23
.LBB182_19:                             ;   in Loop: Header=BB182_9 Depth=1
	s_or_b32 exec_lo, exec_lo, s0
	s_delay_alu instid0(SALU_CYCLE_1)
	s_mov_b32 s0, exec_lo
	v_cmpx_gt_u64_e64 s[2:3], v[11:12]
	s_cbranch_execz .LBB182_8
	s_branch .LBB182_24
.LBB182_20:                             ;   in Loop: Header=BB182_9 Depth=1
	v_add_co_u32 v31, vcc_lo, v1, s8
	v_add_co_ci_u32_e32 v32, vcc_lo, 0, v2, vcc_lo
	global_load_u16 v29, v[31:32], off
	s_or_b32 exec_lo, exec_lo, s0
	s_delay_alu instid0(SALU_CYCLE_1)
	s_mov_b32 s0, exec_lo
	v_cmpx_gt_u64_e64 s[2:3], v[5:6]
	s_cbranch_execz .LBB182_17
.LBB182_21:                             ;   in Loop: Header=BB182_9 Depth=1
	s_waitcnt vmcnt(0)
	v_lshlrev_b32_e32 v31, 16, v28
	v_add_co_u32 v5, vcc_lo, v13, s6
	v_add_co_ci_u32_e32 v6, vcc_lo, s7, v14, vcc_lo
	s_delay_alu instid0(VALU_DEP_3) | instskip(SKIP_2) | instid1(SALU_CYCLE_1)
	v_cvt_i32_f32_e32 v31, v31
	global_store_b8 v[5:6], v31, off
	s_or_b32 exec_lo, exec_lo, s0
	s_mov_b32 s0, exec_lo
	v_cmpx_gt_u64_e64 s[2:3], v[7:8]
	s_cbranch_execz .LBB182_18
.LBB182_22:                             ;   in Loop: Header=BB182_9 Depth=1
	s_waitcnt vmcnt(0)
	v_lshlrev_b32_e32 v5, 16, v27
	s_delay_alu instid0(VALU_DEP_1) | instskip(SKIP_4) | instid1(SALU_CYCLE_1)
	v_cvt_i32_f32_e32 v7, v5
	v_add_co_u32 v5, vcc_lo, v25, s6
	v_add_co_ci_u32_e32 v6, vcc_lo, s7, v26, vcc_lo
	global_store_b8 v[5:6], v7, off
	s_or_b32 exec_lo, exec_lo, s0
	s_mov_b32 s0, exec_lo
	v_cmpx_gt_u64_e64 s[2:3], v[9:10]
	s_cbranch_execz .LBB182_19
.LBB182_23:                             ;   in Loop: Header=BB182_9 Depth=1
	s_waitcnt vmcnt(0)
	v_lshlrev_b32_e32 v5, 16, v30
	s_delay_alu instid0(VALU_DEP_1) | instskip(SKIP_4) | instid1(SALU_CYCLE_1)
	v_cvt_i32_f32_e32 v7, v5
	v_add_co_u32 v5, vcc_lo, v20, s6
	v_add_co_ci_u32_e32 v6, vcc_lo, s7, v21, vcc_lo
	global_store_b8 v[5:6], v7, off
	s_or_b32 exec_lo, exec_lo, s0
	s_mov_b32 s0, exec_lo
	v_cmpx_gt_u64_e64 s[2:3], v[11:12]
	s_cbranch_execz .LBB182_8
.LBB182_24:                             ;   in Loop: Header=BB182_9 Depth=1
	s_waitcnt vmcnt(0)
	v_lshlrev_b32_e32 v5, 16, v29
	s_delay_alu instid0(VALU_DEP_1)
	v_cvt_i32_f32_e32 v7, v5
	v_add_co_u32 v5, vcc_lo, v15, s6
	v_add_co_ci_u32_e32 v6, vcc_lo, s7, v16, vcc_lo
	global_store_b8 v[5:6], v7, off
	s_branch .LBB182_8
.LBB182_25:
	s_nop 0
	s_sendmsg sendmsg(MSG_DEALLOC_VGPRS)
	s_endpgm
	.section	.rodata,"a",@progbits
	.p2align	6, 0x0
	.amdhsa_kernel _ZN2at6native12_GLOBAL__N_125multi_tensor_apply_kernelINS1_18TensorListMetadataILi2EEENS1_11CopyFunctorIaN3c108BFloat16ELi2ELi1ELi1EEEJNS0_4CopyIaS7_EEEEEvT_T0_DpT1_
		.amdhsa_group_segment_fixed_size 0
		.amdhsa_private_segment_fixed_size 0
		.amdhsa_kernarg_size 3408
		.amdhsa_user_sgpr_count 15
		.amdhsa_user_sgpr_dispatch_ptr 0
		.amdhsa_user_sgpr_queue_ptr 0
		.amdhsa_user_sgpr_kernarg_segment_ptr 1
		.amdhsa_user_sgpr_dispatch_id 0
		.amdhsa_user_sgpr_private_segment_size 0
		.amdhsa_wavefront_size32 1
		.amdhsa_uses_dynamic_stack 0
		.amdhsa_enable_private_segment 0
		.amdhsa_system_sgpr_workgroup_id_x 1
		.amdhsa_system_sgpr_workgroup_id_y 0
		.amdhsa_system_sgpr_workgroup_id_z 0
		.amdhsa_system_sgpr_workgroup_info 0
		.amdhsa_system_vgpr_workitem_id 0
		.amdhsa_next_free_vgpr 33
		.amdhsa_next_free_sgpr 20
		.amdhsa_reserve_vcc 1
		.amdhsa_float_round_mode_32 0
		.amdhsa_float_round_mode_16_64 0
		.amdhsa_float_denorm_mode_32 3
		.amdhsa_float_denorm_mode_16_64 3
		.amdhsa_dx10_clamp 1
		.amdhsa_ieee_mode 1
		.amdhsa_fp16_overflow 0
		.amdhsa_workgroup_processor_mode 1
		.amdhsa_memory_ordered 1
		.amdhsa_forward_progress 0
		.amdhsa_shared_vgpr_count 0
		.amdhsa_exception_fp_ieee_invalid_op 0
		.amdhsa_exception_fp_denorm_src 0
		.amdhsa_exception_fp_ieee_div_zero 0
		.amdhsa_exception_fp_ieee_overflow 0
		.amdhsa_exception_fp_ieee_underflow 0
		.amdhsa_exception_fp_ieee_inexact 0
		.amdhsa_exception_int_div_zero 0
	.end_amdhsa_kernel
	.section	.text._ZN2at6native12_GLOBAL__N_125multi_tensor_apply_kernelINS1_18TensorListMetadataILi2EEENS1_11CopyFunctorIaN3c108BFloat16ELi2ELi1ELi1EEEJNS0_4CopyIaS7_EEEEEvT_T0_DpT1_,"axG",@progbits,_ZN2at6native12_GLOBAL__N_125multi_tensor_apply_kernelINS1_18TensorListMetadataILi2EEENS1_11CopyFunctorIaN3c108BFloat16ELi2ELi1ELi1EEEJNS0_4CopyIaS7_EEEEEvT_T0_DpT1_,comdat
.Lfunc_end182:
	.size	_ZN2at6native12_GLOBAL__N_125multi_tensor_apply_kernelINS1_18TensorListMetadataILi2EEENS1_11CopyFunctorIaN3c108BFloat16ELi2ELi1ELi1EEEJNS0_4CopyIaS7_EEEEEvT_T0_DpT1_, .Lfunc_end182-_ZN2at6native12_GLOBAL__N_125multi_tensor_apply_kernelINS1_18TensorListMetadataILi2EEENS1_11CopyFunctorIaN3c108BFloat16ELi2ELi1ELi1EEEJNS0_4CopyIaS7_EEEEEvT_T0_DpT1_
                                        ; -- End function
	.section	.AMDGPU.csdata,"",@progbits
; Kernel info:
; codeLenInByte = 1516
; NumSgprs: 22
; NumVgprs: 33
; ScratchSize: 0
; MemoryBound: 0
; FloatMode: 240
; IeeeMode: 1
; LDSByteSize: 0 bytes/workgroup (compile time only)
; SGPRBlocks: 2
; VGPRBlocks: 4
; NumSGPRsForWavesPerEU: 22
; NumVGPRsForWavesPerEU: 33
; Occupancy: 16
; WaveLimiterHint : 0
; COMPUTE_PGM_RSRC2:SCRATCH_EN: 0
; COMPUTE_PGM_RSRC2:USER_SGPR: 15
; COMPUTE_PGM_RSRC2:TRAP_HANDLER: 0
; COMPUTE_PGM_RSRC2:TGID_X_EN: 1
; COMPUTE_PGM_RSRC2:TGID_Y_EN: 0
; COMPUTE_PGM_RSRC2:TGID_Z_EN: 0
; COMPUTE_PGM_RSRC2:TIDIG_COMP_CNT: 0
	.section	.text._ZN2at6native12_GLOBAL__N_125multi_tensor_apply_kernelINS1_18TensorListMetadataILi2EEENS1_11CopyFunctorIabLi2ELi1ELi1EEEJNS0_4CopyIabEEEEEvT_T0_DpT1_,"axG",@progbits,_ZN2at6native12_GLOBAL__N_125multi_tensor_apply_kernelINS1_18TensorListMetadataILi2EEENS1_11CopyFunctorIabLi2ELi1ELi1EEEJNS0_4CopyIabEEEEEvT_T0_DpT1_,comdat
	.globl	_ZN2at6native12_GLOBAL__N_125multi_tensor_apply_kernelINS1_18TensorListMetadataILi2EEENS1_11CopyFunctorIabLi2ELi1ELi1EEEJNS0_4CopyIabEEEEEvT_T0_DpT1_ ; -- Begin function _ZN2at6native12_GLOBAL__N_125multi_tensor_apply_kernelINS1_18TensorListMetadataILi2EEENS1_11CopyFunctorIabLi2ELi1ELi1EEEJNS0_4CopyIabEEEEEvT_T0_DpT1_
	.p2align	8
	.type	_ZN2at6native12_GLOBAL__N_125multi_tensor_apply_kernelINS1_18TensorListMetadataILi2EEENS1_11CopyFunctorIabLi2ELi1ELi1EEEJNS0_4CopyIabEEEEEvT_T0_DpT1_,@function
_ZN2at6native12_GLOBAL__N_125multi_tensor_apply_kernelINS1_18TensorListMetadataILi2EEENS1_11CopyFunctorIabLi2ELi1ELi1EEEJNS0_4CopyIabEEEEEvT_T0_DpT1_: ; @_ZN2at6native12_GLOBAL__N_125multi_tensor_apply_kernelINS1_18TensorListMetadataILi2EEENS1_11CopyFunctorIabLi2ELi1ELi1EEEJNS0_4CopyIabEEEEEvT_T0_DpT1_
; %bb.0:
	v_mov_b32_e32 v1, s15
	s_add_u32 s2, s0, s15
	s_mul_i32 s4, s15, 3
	s_addc_u32 s3, s1, 0
	s_mul_hi_u32 s5, s15, 3
	global_load_u8 v1, v1, s[0:1] offset:1536
	s_add_u32 s2, s2, s4
	s_addc_u32 s3, s3, s5
	s_load_b32 s2, s[2:3], 0x740
	s_waitcnt vmcnt(0)
	v_readfirstlane_b32 s4, v1
	s_delay_alu instid0(VALU_DEP_1)
	s_lshl_b32 s3, s4, 3
	s_clause 0x2
	s_load_b64 s[6:7], s[0:1], s3 offset:0x0
	s_load_b64 s[8:9], s[0:1], s3 offset:0x200
	;; [unrolled: 1-line block ×3, first 2 shown]
	s_waitcnt lgkmcnt(0)
	s_ashr_i32 s3, s2, 31
	s_delay_alu instid0(SALU_CYCLE_1) | instskip(NEXT) | instid1(SALU_CYCLE_1)
	s_lshl_b64 s[10:11], s[2:3], 16
	s_add_u32 s3, s6, s10
	s_addc_u32 s14, s7, s11
	s_add_u32 s12, s8, s10
	s_addc_u32 s13, s9, s11
	s_delay_alu instid0(SALU_CYCLE_1) | instskip(NEXT) | instid1(SALU_CYCLE_1)
	s_or_b64 s[16:17], s[4:5], s[12:13]
	s_or_b32 s2, s3, s16
	s_delay_alu instid0(SALU_CYCLE_1)
	s_and_b32 s2, s2, 3
	s_sub_u32 s4, s4, s10
	s_subb_u32 s5, s5, s11
	s_cmp_eq_u32 s2, 0
	s_mov_b32 s2, -1
	s_cbranch_scc0 .LBB183_5
; %bb.1:
	v_dual_mov_b32 v2, 0 :: v_dual_lshlrev_b32 v1, 2, v0
	s_mov_b32 s15, exec_lo
	s_delay_alu instid0(VALU_DEP_1)
	v_cmpx_gt_i64_e64 s[4:5], v[1:2]
	s_cbranch_execz .LBB183_4
; %bb.2:
	s_load_b32 s2, s[0:1], 0xc5c
	s_mov_b32 s17, 0
	s_waitcnt lgkmcnt(0)
	s_and_b32 s2, s2, 0xffff
	s_delay_alu instid0(SALU_CYCLE_1)
	s_lshl_b32 s16, s2, 2
	.p2align	6
.LBB183_3:                              ; =>This Inner Loop Header: Depth=1
	v_add_co_u32 v3, vcc_lo, s3, v1
	v_add_co_ci_u32_e32 v4, vcc_lo, s14, v2, vcc_lo
	global_load_b32 v5, v[3:4], off
	v_add_co_u32 v3, vcc_lo, s12, v1
	v_add_co_ci_u32_e32 v4, vcc_lo, s13, v2, vcc_lo
	v_add_co_u32 v1, vcc_lo, s16, v1
	v_add_co_ci_u32_e32 v2, vcc_lo, 0, v2, vcc_lo
	s_delay_alu instid0(VALU_DEP_1) | instskip(SKIP_1) | instid1(VALU_DEP_1)
	v_cmp_le_i64_e32 vcc_lo, s[4:5], v[1:2]
	v_cmp_lt_u64_e64 s2, 0xffff, v[1:2]
	s_or_b32 s2, vcc_lo, s2
	s_delay_alu instid0(SALU_CYCLE_1) | instskip(NEXT) | instid1(SALU_CYCLE_1)
	s_and_b32 s2, exec_lo, s2
	s_or_b32 s17, s2, s17
	s_waitcnt vmcnt(0)
	global_store_b32 v[3:4], v5, off
	s_and_not1_b32 exec_lo, exec_lo, s17
	s_cbranch_execnz .LBB183_3
.LBB183_4:
	s_or_b32 exec_lo, exec_lo, s15
	s_mov_b32 s2, 0
.LBB183_5:
	s_delay_alu instid0(SALU_CYCLE_1)
	s_and_not1_b32 vcc_lo, exec_lo, s2
	s_cbranch_vccnz .LBB183_25
; %bb.6:
	v_cmp_lt_i64_e64 s2, s[4:5], 1
	s_delay_alu instid0(VALU_DEP_1)
	s_and_b32 vcc_lo, exec_lo, s2
	s_cbranch_vccnz .LBB183_25
; %bb.7:
	s_load_b32 s0, s[0:1], 0xc5c
	v_add_co_u32 v1, s1, s10, v0
	s_delay_alu instid0(VALU_DEP_1) | instskip(SKIP_1) | instid1(VALU_DEP_3)
	v_add_co_ci_u32_e64 v2, null, s11, 0, s1
	v_cmp_gt_u64_e64 s1, 0x10000, s[4:5]
	v_add_co_u32 v9, vcc_lo, s6, v1
	s_delay_alu instid0(VALU_DEP_3)
	v_add_co_ci_u32_e32 v10, vcc_lo, s7, v2, vcc_lo
	v_add_co_u32 v11, vcc_lo, s8, v1
	v_add_co_ci_u32_e32 v12, vcc_lo, s9, v2, vcc_lo
                                        ; implicit-def: $vgpr31
                                        ; implicit-def: $vgpr32
                                        ; implicit-def: $vgpr33
                                        ; implicit-def: $vgpr34
	s_waitcnt lgkmcnt(0)
	s_and_b32 s0, s0, 0xffff
	s_and_b32 s1, s1, exec_lo
	s_mul_i32 s13, s0, 3
	s_cselect_b32 s3, s5, 0
	s_cselect_b32 s2, s4, 0x10000
	s_lshl_b32 s12, s0, 1
	s_lshl_b32 s1, s0, 2
	s_add_u32 s14, s10, s13
	s_addc_u32 s15, s11, 0
	v_add_co_u32 v3, s14, s14, v0
	s_delay_alu instid0(VALU_DEP_1) | instskip(SKIP_1) | instid1(VALU_DEP_2)
	v_add_co_ci_u32_e64 v4, null, s15, 0, s14
	s_add_u32 s10, s10, s12
	v_add_co_u32 v13, vcc_lo, s6, v3
	s_delay_alu instid0(VALU_DEP_2)
	v_add_co_ci_u32_e32 v14, vcc_lo, s7, v4, vcc_lo
	v_add_co_u32 v15, vcc_lo, s8, v3
	s_addc_u32 s11, s11, 0
	v_add_co_u32 v3, s10, s10, v0
	v_add_co_ci_u32_e32 v16, vcc_lo, s9, v4, vcc_lo
	v_add_co_ci_u32_e64 v4, null, s11, 0, s10
	s_delay_alu instid0(VALU_DEP_3) | instskip(SKIP_1) | instid1(VALU_DEP_3)
	v_add_co_u32 v19, vcc_lo, s6, v3
	v_add_co_u32 v17, s10, s13, v0
	v_add_co_ci_u32_e32 v20, vcc_lo, s7, v4, vcc_lo
	v_add_co_u32 v21, vcc_lo, s8, v3
	v_add_co_ci_u32_e32 v22, vcc_lo, s9, v4, vcc_lo
	v_add_co_u32 v1, vcc_lo, v1, s0
	v_add_co_ci_u32_e32 v2, vcc_lo, 0, v2, vcc_lo
	v_add_co_ci_u32_e64 v18, null, 0, 0, s10
	s_delay_alu instid0(VALU_DEP_3) | instskip(NEXT) | instid1(VALU_DEP_3)
	v_add_co_u32 v25, vcc_lo, s6, v1
	v_add_co_ci_u32_e32 v26, vcc_lo, s7, v2, vcc_lo
	v_add_co_u32 v23, s10, s12, v0
	v_add_co_u32 v27, vcc_lo, s8, v1
	v_add_co_u32 v29, s0, v0, s0
	v_add_co_ci_u32_e64 v24, null, 0, 0, s10
	v_add_co_ci_u32_e32 v28, vcc_lo, s9, v2, vcc_lo
	v_add_co_ci_u32_e64 v30, null, 0, 0, s0
	s_mov_b64 s[6:7], 0
	s_branch .LBB183_9
.LBB183_8:                              ;   in Loop: Header=BB183_9 Depth=1
	s_or_b32 exec_lo, exec_lo, s0
	s_add_u32 s6, s6, s1
	s_addc_u32 s7, s7, 0
	s_delay_alu instid0(SALU_CYCLE_1) | instskip(SKIP_1) | instid1(VALU_DEP_1)
	v_cmp_ge_i64_e64 s0, s[6:7], s[4:5]
	v_cmp_lt_u64_e64 s8, 0xffff, s[6:7]
	s_or_b32 s0, s0, s8
	s_delay_alu instid0(SALU_CYCLE_1)
	s_and_b32 vcc_lo, exec_lo, s0
	s_cbranch_vccnz .LBB183_25
.LBB183_9:                              ; =>This Inner Loop Header: Depth=1
	v_add_co_u32 v1, s0, v0, s6
	s_delay_alu instid0(VALU_DEP_1) | instskip(NEXT) | instid1(VALU_DEP_1)
	v_add_co_ci_u32_e64 v2, null, 0, s7, s0
	v_cmp_gt_i64_e32 vcc_lo, s[4:5], v[1:2]
	v_cmp_gt_u64_e64 s0, 0x10000, v[1:2]
	s_delay_alu instid0(VALU_DEP_1) | instskip(NEXT) | instid1(SALU_CYCLE_1)
	s_and_b32 s8, vcc_lo, s0
	s_and_saveexec_b32 s0, s8
	s_cbranch_execz .LBB183_11
; %bb.10:                               ;   in Loop: Header=BB183_9 Depth=1
	v_add_co_u32 v3, vcc_lo, v9, s6
	v_add_co_ci_u32_e32 v4, vcc_lo, s7, v10, vcc_lo
	global_load_u8 v31, v[3:4], off
.LBB183_11:                             ;   in Loop: Header=BB183_9 Depth=1
	s_or_b32 exec_lo, exec_lo, s0
	v_add_co_u32 v3, vcc_lo, v29, s6
	v_add_co_ci_u32_e32 v4, vcc_lo, s7, v30, vcc_lo
	s_delay_alu instid0(VALU_DEP_1) | instskip(SKIP_1) | instid1(VALU_DEP_1)
	v_cmp_gt_i64_e32 vcc_lo, s[4:5], v[3:4]
	v_cmp_gt_u64_e64 s0, 0x10000, v[3:4]
	s_and_b32 s8, vcc_lo, s0
	s_delay_alu instid0(SALU_CYCLE_1)
	s_and_saveexec_b32 s0, s8
	s_cbranch_execz .LBB183_13
; %bb.12:                               ;   in Loop: Header=BB183_9 Depth=1
	v_add_co_u32 v5, vcc_lo, v25, s6
	v_add_co_ci_u32_e32 v6, vcc_lo, s7, v26, vcc_lo
	global_load_u8 v32, v[5:6], off
.LBB183_13:                             ;   in Loop: Header=BB183_9 Depth=1
	s_or_b32 exec_lo, exec_lo, s0
	v_add_co_u32 v5, vcc_lo, v23, s6
	v_add_co_ci_u32_e32 v6, vcc_lo, s7, v24, vcc_lo
	s_delay_alu instid0(VALU_DEP_1) | instskip(SKIP_1) | instid1(VALU_DEP_1)
	v_cmp_gt_i64_e32 vcc_lo, s[4:5], v[5:6]
	v_cmp_gt_u64_e64 s0, 0x10000, v[5:6]
	s_and_b32 s8, vcc_lo, s0
	s_delay_alu instid0(SALU_CYCLE_1)
	;; [unrolled: 15-line block ×3, first 2 shown]
	s_and_saveexec_b32 s0, s8
	s_cbranch_execnz .LBB183_20
; %bb.16:                               ;   in Loop: Header=BB183_9 Depth=1
	s_or_b32 exec_lo, exec_lo, s0
	s_delay_alu instid0(SALU_CYCLE_1)
	s_mov_b32 s0, exec_lo
	v_cmpx_gt_u64_e64 s[2:3], v[1:2]
	s_cbranch_execnz .LBB183_21
.LBB183_17:                             ;   in Loop: Header=BB183_9 Depth=1
	s_or_b32 exec_lo, exec_lo, s0
	s_delay_alu instid0(SALU_CYCLE_1)
	s_mov_b32 s0, exec_lo
	v_cmpx_gt_u64_e64 s[2:3], v[3:4]
	s_cbranch_execnz .LBB183_22
.LBB183_18:                             ;   in Loop: Header=BB183_9 Depth=1
	s_or_b32 exec_lo, exec_lo, s0
	s_delay_alu instid0(SALU_CYCLE_1)
	s_mov_b32 s0, exec_lo
	v_cmpx_gt_u64_e64 s[2:3], v[5:6]
	s_cbranch_execnz .LBB183_23
.LBB183_19:                             ;   in Loop: Header=BB183_9 Depth=1
	s_or_b32 exec_lo, exec_lo, s0
	s_delay_alu instid0(SALU_CYCLE_1)
	s_mov_b32 s0, exec_lo
	v_cmpx_gt_u64_e64 s[2:3], v[7:8]
	s_cbranch_execz .LBB183_8
	s_branch .LBB183_24
.LBB183_20:                             ;   in Loop: Header=BB183_9 Depth=1
	s_waitcnt vmcnt(0)
	v_add_co_u32 v34, vcc_lo, v13, s6
	v_add_co_ci_u32_e32 v35, vcc_lo, s7, v14, vcc_lo
	global_load_u8 v34, v[34:35], off
	s_or_b32 exec_lo, exec_lo, s0
	s_delay_alu instid0(SALU_CYCLE_1)
	s_mov_b32 s0, exec_lo
	v_cmpx_gt_u64_e64 s[2:3], v[1:2]
	s_cbranch_execz .LBB183_17
.LBB183_21:                             ;   in Loop: Header=BB183_9 Depth=1
	v_add_co_u32 v1, vcc_lo, v11, s6
	v_add_co_ci_u32_e32 v2, vcc_lo, s7, v12, vcc_lo
	s_waitcnt vmcnt(0)
	global_store_b8 v[1:2], v31, off
	s_or_b32 exec_lo, exec_lo, s0
	s_delay_alu instid0(SALU_CYCLE_1)
	s_mov_b32 s0, exec_lo
	v_cmpx_gt_u64_e64 s[2:3], v[3:4]
	s_cbranch_execz .LBB183_18
.LBB183_22:                             ;   in Loop: Header=BB183_9 Depth=1
	v_add_co_u32 v1, vcc_lo, v27, s6
	v_add_co_ci_u32_e32 v2, vcc_lo, s7, v28, vcc_lo
	s_waitcnt vmcnt(0)
	global_store_b8 v[1:2], v32, off
	s_or_b32 exec_lo, exec_lo, s0
	s_delay_alu instid0(SALU_CYCLE_1)
	s_mov_b32 s0, exec_lo
	v_cmpx_gt_u64_e64 s[2:3], v[5:6]
	s_cbranch_execz .LBB183_19
.LBB183_23:                             ;   in Loop: Header=BB183_9 Depth=1
	v_add_co_u32 v1, vcc_lo, v21, s6
	v_add_co_ci_u32_e32 v2, vcc_lo, s7, v22, vcc_lo
	s_waitcnt vmcnt(0)
	global_store_b8 v[1:2], v33, off
	s_or_b32 exec_lo, exec_lo, s0
	s_delay_alu instid0(SALU_CYCLE_1)
	s_mov_b32 s0, exec_lo
	v_cmpx_gt_u64_e64 s[2:3], v[7:8]
	s_cbranch_execz .LBB183_8
.LBB183_24:                             ;   in Loop: Header=BB183_9 Depth=1
	v_add_co_u32 v1, vcc_lo, v15, s6
	v_add_co_ci_u32_e32 v2, vcc_lo, s7, v16, vcc_lo
	s_waitcnt vmcnt(0)
	global_store_b8 v[1:2], v34, off
	s_branch .LBB183_8
.LBB183_25:
	s_nop 0
	s_sendmsg sendmsg(MSG_DEALLOC_VGPRS)
	s_endpgm
	.section	.rodata,"a",@progbits
	.p2align	6, 0x0
	.amdhsa_kernel _ZN2at6native12_GLOBAL__N_125multi_tensor_apply_kernelINS1_18TensorListMetadataILi2EEENS1_11CopyFunctorIabLi2ELi1ELi1EEEJNS0_4CopyIabEEEEEvT_T0_DpT1_
		.amdhsa_group_segment_fixed_size 0
		.amdhsa_private_segment_fixed_size 0
		.amdhsa_kernarg_size 3408
		.amdhsa_user_sgpr_count 15
		.amdhsa_user_sgpr_dispatch_ptr 0
		.amdhsa_user_sgpr_queue_ptr 0
		.amdhsa_user_sgpr_kernarg_segment_ptr 1
		.amdhsa_user_sgpr_dispatch_id 0
		.amdhsa_user_sgpr_private_segment_size 0
		.amdhsa_wavefront_size32 1
		.amdhsa_uses_dynamic_stack 0
		.amdhsa_enable_private_segment 0
		.amdhsa_system_sgpr_workgroup_id_x 1
		.amdhsa_system_sgpr_workgroup_id_y 0
		.amdhsa_system_sgpr_workgroup_id_z 0
		.amdhsa_system_sgpr_workgroup_info 0
		.amdhsa_system_vgpr_workitem_id 0
		.amdhsa_next_free_vgpr 36
		.amdhsa_next_free_sgpr 18
		.amdhsa_reserve_vcc 1
		.amdhsa_float_round_mode_32 0
		.amdhsa_float_round_mode_16_64 0
		.amdhsa_float_denorm_mode_32 3
		.amdhsa_float_denorm_mode_16_64 3
		.amdhsa_dx10_clamp 1
		.amdhsa_ieee_mode 1
		.amdhsa_fp16_overflow 0
		.amdhsa_workgroup_processor_mode 1
		.amdhsa_memory_ordered 1
		.amdhsa_forward_progress 0
		.amdhsa_shared_vgpr_count 0
		.amdhsa_exception_fp_ieee_invalid_op 0
		.amdhsa_exception_fp_denorm_src 0
		.amdhsa_exception_fp_ieee_div_zero 0
		.amdhsa_exception_fp_ieee_overflow 0
		.amdhsa_exception_fp_ieee_underflow 0
		.amdhsa_exception_fp_ieee_inexact 0
		.amdhsa_exception_int_div_zero 0
	.end_amdhsa_kernel
	.section	.text._ZN2at6native12_GLOBAL__N_125multi_tensor_apply_kernelINS1_18TensorListMetadataILi2EEENS1_11CopyFunctorIabLi2ELi1ELi1EEEJNS0_4CopyIabEEEEEvT_T0_DpT1_,"axG",@progbits,_ZN2at6native12_GLOBAL__N_125multi_tensor_apply_kernelINS1_18TensorListMetadataILi2EEENS1_11CopyFunctorIabLi2ELi1ELi1EEEJNS0_4CopyIabEEEEEvT_T0_DpT1_,comdat
.Lfunc_end183:
	.size	_ZN2at6native12_GLOBAL__N_125multi_tensor_apply_kernelINS1_18TensorListMetadataILi2EEENS1_11CopyFunctorIabLi2ELi1ELi1EEEJNS0_4CopyIabEEEEEvT_T0_DpT1_, .Lfunc_end183-_ZN2at6native12_GLOBAL__N_125multi_tensor_apply_kernelINS1_18TensorListMetadataILi2EEENS1_11CopyFunctorIabLi2ELi1ELi1EEEJNS0_4CopyIabEEEEEvT_T0_DpT1_
                                        ; -- End function
	.section	.AMDGPU.csdata,"",@progbits
; Kernel info:
; codeLenInByte = 1324
; NumSgprs: 20
; NumVgprs: 36
; ScratchSize: 0
; MemoryBound: 0
; FloatMode: 240
; IeeeMode: 1
; LDSByteSize: 0 bytes/workgroup (compile time only)
; SGPRBlocks: 2
; VGPRBlocks: 4
; NumSGPRsForWavesPerEU: 20
; NumVGPRsForWavesPerEU: 36
; Occupancy: 16
; WaveLimiterHint : 0
; COMPUTE_PGM_RSRC2:SCRATCH_EN: 0
; COMPUTE_PGM_RSRC2:USER_SGPR: 15
; COMPUTE_PGM_RSRC2:TRAP_HANDLER: 0
; COMPUTE_PGM_RSRC2:TGID_X_EN: 1
; COMPUTE_PGM_RSRC2:TGID_Y_EN: 0
; COMPUTE_PGM_RSRC2:TGID_Z_EN: 0
; COMPUTE_PGM_RSRC2:TIDIG_COMP_CNT: 0
	.section	.text._ZN2at6native12_GLOBAL__N_125multi_tensor_apply_kernelINS1_18TensorListMetadataILi2EEENS1_11CopyFunctorIaN3c1013Float8_e4m3fnELi2ELi1ELi1EEEJNS0_4CopyIaS7_EEEEEvT_T0_DpT1_,"axG",@progbits,_ZN2at6native12_GLOBAL__N_125multi_tensor_apply_kernelINS1_18TensorListMetadataILi2EEENS1_11CopyFunctorIaN3c1013Float8_e4m3fnELi2ELi1ELi1EEEJNS0_4CopyIaS7_EEEEEvT_T0_DpT1_,comdat
	.globl	_ZN2at6native12_GLOBAL__N_125multi_tensor_apply_kernelINS1_18TensorListMetadataILi2EEENS1_11CopyFunctorIaN3c1013Float8_e4m3fnELi2ELi1ELi1EEEJNS0_4CopyIaS7_EEEEEvT_T0_DpT1_ ; -- Begin function _ZN2at6native12_GLOBAL__N_125multi_tensor_apply_kernelINS1_18TensorListMetadataILi2EEENS1_11CopyFunctorIaN3c1013Float8_e4m3fnELi2ELi1ELi1EEEJNS0_4CopyIaS7_EEEEEvT_T0_DpT1_
	.p2align	8
	.type	_ZN2at6native12_GLOBAL__N_125multi_tensor_apply_kernelINS1_18TensorListMetadataILi2EEENS1_11CopyFunctorIaN3c1013Float8_e4m3fnELi2ELi1ELi1EEEJNS0_4CopyIaS7_EEEEEvT_T0_DpT1_,@function
_ZN2at6native12_GLOBAL__N_125multi_tensor_apply_kernelINS1_18TensorListMetadataILi2EEENS1_11CopyFunctorIaN3c1013Float8_e4m3fnELi2ELi1ELi1EEEJNS0_4CopyIaS7_EEEEEvT_T0_DpT1_: ; @_ZN2at6native12_GLOBAL__N_125multi_tensor_apply_kernelINS1_18TensorListMetadataILi2EEENS1_11CopyFunctorIaN3c1013Float8_e4m3fnELi2ELi1ELi1EEEJNS0_4CopyIaS7_EEEEEvT_T0_DpT1_
; %bb.0:
	v_mov_b32_e32 v1, s15
	s_add_u32 s2, s0, s15
	s_mul_i32 s4, s15, 3
	s_addc_u32 s3, s1, 0
	s_mul_hi_u32 s5, s15, 3
	global_load_u8 v1, v1, s[0:1] offset:1536
	s_add_u32 s2, s2, s4
	s_addc_u32 s3, s3, s5
	s_load_b32 s2, s[2:3], 0x740
	s_waitcnt vmcnt(0)
	v_readfirstlane_b32 s4, v1
	s_delay_alu instid0(VALU_DEP_1)
	s_lshl_b32 s3, s4, 3
	s_clause 0x2
	s_load_b64 s[6:7], s[0:1], s3 offset:0x0
	s_load_b64 s[8:9], s[0:1], s3 offset:0x200
	;; [unrolled: 1-line block ×3, first 2 shown]
	s_waitcnt lgkmcnt(0)
	s_ashr_i32 s3, s2, 31
	s_delay_alu instid0(SALU_CYCLE_1) | instskip(NEXT) | instid1(SALU_CYCLE_1)
	s_lshl_b64 s[10:11], s[2:3], 16
	s_add_u32 s14, s6, s10
	s_addc_u32 s15, s7, s11
	s_add_u32 s12, s8, s10
	s_addc_u32 s13, s9, s11
	s_delay_alu instid0(SALU_CYCLE_1) | instskip(NEXT) | instid1(SALU_CYCLE_1)
	s_or_b64 s[2:3], s[4:5], s[12:13]
	s_or_b32 s2, s14, s2
	s_delay_alu instid0(SALU_CYCLE_1)
	s_and_b32 s2, s2, 3
	s_sub_u32 s4, s4, s10
	s_subb_u32 s5, s5, s11
	s_cmp_eq_u32 s2, 0
	s_mov_b32 s2, -1
	s_cbranch_scc0 .LBB184_5
; %bb.1:
	v_dual_mov_b32 v2, 0 :: v_dual_lshlrev_b32 v1, 2, v0
	s_mov_b32 s16, exec_lo
	s_delay_alu instid0(VALU_DEP_1)
	v_cmpx_gt_i64_e64 s[4:5], v[1:2]
	s_cbranch_execz .LBB184_4
; %bb.2:
	s_load_b32 s2, s[0:1], 0xc5c
	s_mov_b32 s18, 0
	s_waitcnt lgkmcnt(0)
	s_and_b32 s2, s2, 0xffff
	s_delay_alu instid0(SALU_CYCLE_1)
	s_lshl_b32 s17, s2, 2
.LBB184_3:                              ; =>This Inner Loop Header: Depth=1
	v_add_co_u32 v3, vcc_lo, s14, v1
	v_add_co_ci_u32_e32 v4, vcc_lo, s15, v2, vcc_lo
	global_load_b32 v5, v[3:4], off
	v_add_co_u32 v3, vcc_lo, s12, v1
	v_add_co_ci_u32_e32 v4, vcc_lo, s13, v2, vcc_lo
	s_waitcnt vmcnt(0)
	v_and_b32_e32 v9, 0x7f000000, v5
	v_lshlrev_b32_e32 v8, 8, v5
	v_lshlrev_b32_e32 v6, 24, v5
	v_lshlrev_b32_e32 v7, 16, v5
	s_delay_alu instid0(VALU_DEP_4) | instskip(NEXT) | instid1(VALU_DEP_4)
	v_clz_i32_u32_e32 v13, v9
	v_and_b32_e32 v12, 0x7f000000, v8
	v_add_nc_u32_e32 v14, 0x1000000, v9
	v_and_b32_e32 v10, 0x7f000000, v6
	v_cmp_ne_u32_e32 vcc_lo, 0, v9
	v_min_u32_e32 v13, 32, v13
	v_clz_i32_u32_e32 v19, v12
	v_ashrrev_i32_e32 v14, 8, v14
	v_clz_i32_u32_e32 v15, v10
	v_add_nc_u32_e32 v20, 0x1000000, v12
	v_sub_nc_u32_e64 v13, v13, 4 clamp
	v_min_u32_e32 v19, 32, v19
	v_cmp_ne_u32_e64 s3, 0, v12
	v_min_u32_e32 v15, 32, v15
	v_add_nc_u32_e32 v16, 0x1000000, v10
	v_lshlrev_b32_e32 v21, v13, v9
	v_lshlrev_b32_e32 v13, 23, v13
	v_sub_nc_u32_e64 v19, v19, 4 clamp
	v_sub_nc_u32_e64 v15, v15, 4 clamp
	v_ashrrev_i32_e32 v16, 8, v16
	v_lshrrev_b32_e32 v21, 4, v21
	v_ashrrev_i32_e32 v20, 8, v20
	v_lshlrev_b32_e32 v24, v19, v12
	v_lshlrev_b32_e32 v22, v15, v10
	;; [unrolled: 1-line block ×3, first 2 shown]
	v_sub_nc_u32_e32 v13, v21, v13
	v_lshlrev_b32_e32 v19, 23, v19
	v_lshrrev_b32_e32 v24, 4, v24
	v_lshrrev_b32_e32 v22, 4, v22
	s_delay_alu instid0(VALU_DEP_4) | instskip(NEXT) | instid1(VALU_DEP_3)
	v_add_nc_u32_e32 v13, 0x3c000000, v13
	v_sub_nc_u32_e32 v19, v24, v19
	s_delay_alu instid0(VALU_DEP_3) | instskip(NEXT) | instid1(VALU_DEP_3)
	v_sub_nc_u32_e32 v15, v22, v15
	v_and_or_b32 v13, 0x7f800000, v14, v13
	v_and_b32_e32 v11, 0x7f000000, v7
	s_delay_alu instid0(VALU_DEP_4) | instskip(NEXT) | instid1(VALU_DEP_3)
	v_add_nc_u32_e32 v19, 0x3c000000, v19
	v_dual_cndmask_b32 v12, 0, v13 :: v_dual_add_nc_u32 v15, 0x3c000000, v15
	s_delay_alu instid0(VALU_DEP_3) | instskip(SKIP_1) | instid1(VALU_DEP_3)
	v_clz_i32_u32_e32 v17, v11
	v_add_nc_u32_e32 v18, 0x1000000, v11
	v_and_or_b32 v9, 0x7f800000, v16, v15
	v_cmp_ne_u32_e64 s2, 0, v11
	v_cmp_ne_u32_e32 vcc_lo, 0, v10
	v_min_u32_e32 v17, 32, v17
	v_ashrrev_i32_e32 v18, 8, v18
	v_and_or_b32 v5, 0x80000000, v5, v12
	v_cndmask_b32_e32 v9, 0, v9, vcc_lo
	s_delay_alu instid0(VALU_DEP_4) | instskip(SKIP_1) | instid1(VALU_DEP_4)
	v_sub_nc_u32_e64 v17, v17, 4 clamp
	v_add_co_u32 v1, vcc_lo, s17, v1
	v_cvt_i32_f32_e32 v5, v5
	s_delay_alu instid0(VALU_DEP_4) | instskip(NEXT) | instid1(VALU_DEP_4)
	v_and_or_b32 v6, 0x80000000, v6, v9
	v_lshlrev_b32_e32 v23, v17, v11
	v_lshlrev_b32_e32 v17, 23, v17
	v_and_or_b32 v11, 0x7f800000, v20, v19
	v_lshlrev_b16 v5, 8, v5
	v_cvt_i32_f32_e32 v6, v6
	v_lshrrev_b32_e32 v23, 4, v23
	v_add_co_ci_u32_e32 v2, vcc_lo, 0, v2, vcc_lo
	v_cndmask_b32_e64 v11, 0, v11, s3
	s_delay_alu instid0(VALU_DEP_4) | instskip(NEXT) | instid1(VALU_DEP_4)
	v_and_b32_e32 v6, 0xff, v6
	v_sub_nc_u32_e32 v17, v23, v17
	s_delay_alu instid0(VALU_DEP_4) | instskip(NEXT) | instid1(VALU_DEP_4)
	v_cmp_le_i64_e32 vcc_lo, s[4:5], v[1:2]
	v_and_or_b32 v8, 0x80000000, v8, v11
	s_delay_alu instid0(VALU_DEP_3) | instskip(NEXT) | instid1(VALU_DEP_2)
	v_add_nc_u32_e32 v17, 0x3c000000, v17
	v_cvt_i32_f32_e32 v8, v8
	s_delay_alu instid0(VALU_DEP_2) | instskip(NEXT) | instid1(VALU_DEP_2)
	v_and_or_b32 v14, 0x7f800000, v18, v17
	v_and_b32_e32 v8, 0xff, v8
	s_delay_alu instid0(VALU_DEP_2) | instskip(SKIP_1) | instid1(VALU_DEP_3)
	v_cndmask_b32_e64 v10, 0, v14, s2
	v_cmp_lt_u64_e64 s2, 0xffff, v[1:2]
	v_or_b32_e32 v5, v8, v5
	s_delay_alu instid0(VALU_DEP_3) | instskip(NEXT) | instid1(VALU_DEP_3)
	v_and_or_b32 v7, 0x80000000, v7, v10
	s_or_b32 s2, vcc_lo, s2
	s_delay_alu instid0(VALU_DEP_2) | instskip(SKIP_1) | instid1(VALU_DEP_2)
	v_lshlrev_b32_e32 v5, 16, v5
	s_and_b32 s2, exec_lo, s2
	v_cvt_i32_f32_e32 v7, v7
	s_or_b32 s18, s2, s18
	s_delay_alu instid0(VALU_DEP_1) | instskip(NEXT) | instid1(VALU_DEP_1)
	v_lshlrev_b16 v7, 8, v7
	v_or_b32_e32 v6, v6, v7
	s_delay_alu instid0(VALU_DEP_1) | instskip(NEXT) | instid1(VALU_DEP_1)
	v_and_b32_e32 v6, 0xffff, v6
	v_or_b32_e32 v5, v6, v5
	global_store_b32 v[3:4], v5, off
	s_and_not1_b32 exec_lo, exec_lo, s18
	s_cbranch_execnz .LBB184_3
.LBB184_4:
	s_or_b32 exec_lo, exec_lo, s16
	s_mov_b32 s2, 0
.LBB184_5:
	s_delay_alu instid0(SALU_CYCLE_1)
	s_and_not1_b32 vcc_lo, exec_lo, s2
	s_cbranch_vccnz .LBB184_25
; %bb.6:
	v_cmp_lt_i64_e64 s2, s[4:5], 1
	s_delay_alu instid0(VALU_DEP_1)
	s_and_b32 vcc_lo, exec_lo, s2
	s_cbranch_vccnz .LBB184_25
; %bb.7:
	s_load_b32 s0, s[0:1], 0xc5c
	v_add_co_u32 v1, s1, s10, v0
	s_delay_alu instid0(VALU_DEP_1) | instskip(SKIP_1) | instid1(VALU_DEP_3)
	v_add_co_ci_u32_e64 v2, null, s11, 0, s1
	v_cmp_gt_u64_e64 s1, 0x10000, s[4:5]
	v_add_co_u32 v9, vcc_lo, s6, v1
	s_delay_alu instid0(VALU_DEP_3)
	v_add_co_ci_u32_e32 v10, vcc_lo, s7, v2, vcc_lo
	v_add_co_u32 v11, vcc_lo, s8, v1
	v_add_co_ci_u32_e32 v12, vcc_lo, s9, v2, vcc_lo
                                        ; implicit-def: $vgpr31
                                        ; implicit-def: $vgpr32
                                        ; implicit-def: $vgpr33
                                        ; implicit-def: $vgpr34
	s_waitcnt lgkmcnt(0)
	s_and_b32 s0, s0, 0xffff
	s_and_b32 s1, s1, exec_lo
	s_mul_i32 s13, s0, 3
	s_cselect_b32 s3, s5, 0
	s_cselect_b32 s2, s4, 0x10000
	s_lshl_b32 s12, s0, 1
	s_lshl_b32 s1, s0, 2
	s_add_u32 s14, s10, s13
	s_addc_u32 s15, s11, 0
	v_add_co_u32 v3, s14, s14, v0
	s_delay_alu instid0(VALU_DEP_1) | instskip(SKIP_1) | instid1(VALU_DEP_2)
	v_add_co_ci_u32_e64 v4, null, s15, 0, s14
	s_add_u32 s10, s10, s12
	v_add_co_u32 v13, vcc_lo, s6, v3
	s_delay_alu instid0(VALU_DEP_2)
	v_add_co_ci_u32_e32 v14, vcc_lo, s7, v4, vcc_lo
	v_add_co_u32 v15, vcc_lo, s8, v3
	s_addc_u32 s11, s11, 0
	v_add_co_u32 v3, s10, s10, v0
	v_add_co_ci_u32_e32 v16, vcc_lo, s9, v4, vcc_lo
	v_add_co_ci_u32_e64 v4, null, s11, 0, s10
	s_delay_alu instid0(VALU_DEP_3) | instskip(SKIP_1) | instid1(VALU_DEP_3)
	v_add_co_u32 v19, vcc_lo, s6, v3
	v_add_co_u32 v17, s10, s13, v0
	v_add_co_ci_u32_e32 v20, vcc_lo, s7, v4, vcc_lo
	v_add_co_u32 v21, vcc_lo, s8, v3
	v_add_co_ci_u32_e32 v22, vcc_lo, s9, v4, vcc_lo
	v_add_co_u32 v1, vcc_lo, v1, s0
	v_add_co_ci_u32_e32 v2, vcc_lo, 0, v2, vcc_lo
	v_add_co_ci_u32_e64 v18, null, 0, 0, s10
	s_delay_alu instid0(VALU_DEP_3) | instskip(NEXT) | instid1(VALU_DEP_3)
	v_add_co_u32 v25, vcc_lo, s6, v1
	v_add_co_ci_u32_e32 v26, vcc_lo, s7, v2, vcc_lo
	v_add_co_u32 v23, s10, s12, v0
	v_add_co_u32 v27, vcc_lo, s8, v1
	v_add_co_u32 v29, s0, v0, s0
	v_add_co_ci_u32_e64 v24, null, 0, 0, s10
	v_add_co_ci_u32_e32 v28, vcc_lo, s9, v2, vcc_lo
	v_add_co_ci_u32_e64 v30, null, 0, 0, s0
	s_mov_b64 s[6:7], 0
	s_branch .LBB184_9
.LBB184_8:                              ;   in Loop: Header=BB184_9 Depth=1
	s_or_b32 exec_lo, exec_lo, s0
	s_add_u32 s6, s6, s1
	s_addc_u32 s7, s7, 0
	s_delay_alu instid0(SALU_CYCLE_1) | instskip(SKIP_1) | instid1(VALU_DEP_1)
	v_cmp_ge_i64_e64 s0, s[6:7], s[4:5]
	v_cmp_lt_u64_e64 s8, 0xffff, s[6:7]
	s_or_b32 s0, s0, s8
	s_delay_alu instid0(SALU_CYCLE_1)
	s_and_b32 vcc_lo, exec_lo, s0
	s_cbranch_vccnz .LBB184_25
.LBB184_9:                              ; =>This Inner Loop Header: Depth=1
	v_add_co_u32 v7, s0, v0, s6
	s_delay_alu instid0(VALU_DEP_1) | instskip(NEXT) | instid1(VALU_DEP_1)
	v_add_co_ci_u32_e64 v8, null, 0, s7, s0
	v_cmp_gt_i64_e32 vcc_lo, s[4:5], v[7:8]
	v_cmp_gt_u64_e64 s0, 0x10000, v[7:8]
	s_delay_alu instid0(VALU_DEP_1) | instskip(NEXT) | instid1(SALU_CYCLE_1)
	s_and_b32 s8, vcc_lo, s0
	s_and_saveexec_b32 s0, s8
	s_cbranch_execz .LBB184_11
; %bb.10:                               ;   in Loop: Header=BB184_9 Depth=1
	v_add_co_u32 v1, vcc_lo, v9, s6
	v_add_co_ci_u32_e32 v2, vcc_lo, s7, v10, vcc_lo
	global_load_u8 v34, v[1:2], off
.LBB184_11:                             ;   in Loop: Header=BB184_9 Depth=1
	s_or_b32 exec_lo, exec_lo, s0
	v_add_co_u32 v5, vcc_lo, v29, s6
	v_add_co_ci_u32_e32 v6, vcc_lo, s7, v30, vcc_lo
	s_delay_alu instid0(VALU_DEP_1) | instskip(SKIP_1) | instid1(VALU_DEP_1)
	v_cmp_gt_i64_e32 vcc_lo, s[4:5], v[5:6]
	v_cmp_gt_u64_e64 s0, 0x10000, v[5:6]
	s_and_b32 s8, vcc_lo, s0
	s_delay_alu instid0(SALU_CYCLE_1)
	s_and_saveexec_b32 s0, s8
	s_cbranch_execz .LBB184_13
; %bb.12:                               ;   in Loop: Header=BB184_9 Depth=1
	v_add_co_u32 v1, vcc_lo, v25, s6
	v_add_co_ci_u32_e32 v2, vcc_lo, s7, v26, vcc_lo
	global_load_u8 v33, v[1:2], off
.LBB184_13:                             ;   in Loop: Header=BB184_9 Depth=1
	s_or_b32 exec_lo, exec_lo, s0
	v_add_co_u32 v3, vcc_lo, v23, s6
	v_add_co_ci_u32_e32 v4, vcc_lo, s7, v24, vcc_lo
	s_delay_alu instid0(VALU_DEP_1) | instskip(SKIP_1) | instid1(VALU_DEP_1)
	v_cmp_gt_i64_e32 vcc_lo, s[4:5], v[3:4]
	v_cmp_gt_u64_e64 s0, 0x10000, v[3:4]
	s_and_b32 s8, vcc_lo, s0
	s_delay_alu instid0(SALU_CYCLE_1)
	;; [unrolled: 15-line block ×3, first 2 shown]
	s_and_saveexec_b32 s0, s8
	s_cbranch_execnz .LBB184_20
; %bb.16:                               ;   in Loop: Header=BB184_9 Depth=1
	s_or_b32 exec_lo, exec_lo, s0
	s_delay_alu instid0(SALU_CYCLE_1)
	s_mov_b32 s0, exec_lo
	v_cmpx_gt_u64_e64 s[2:3], v[7:8]
	s_cbranch_execnz .LBB184_21
.LBB184_17:                             ;   in Loop: Header=BB184_9 Depth=1
	s_or_b32 exec_lo, exec_lo, s0
	s_delay_alu instid0(SALU_CYCLE_1)
	s_mov_b32 s0, exec_lo
	v_cmpx_gt_u64_e64 s[2:3], v[5:6]
	s_cbranch_execnz .LBB184_22
.LBB184_18:                             ;   in Loop: Header=BB184_9 Depth=1
	s_or_b32 exec_lo, exec_lo, s0
	s_delay_alu instid0(SALU_CYCLE_1)
	s_mov_b32 s0, exec_lo
	v_cmpx_gt_u64_e64 s[2:3], v[3:4]
	s_cbranch_execnz .LBB184_23
.LBB184_19:                             ;   in Loop: Header=BB184_9 Depth=1
	s_or_b32 exec_lo, exec_lo, s0
	s_delay_alu instid0(SALU_CYCLE_1)
	s_mov_b32 s0, exec_lo
	v_cmpx_gt_u64_e64 s[2:3], v[1:2]
	s_cbranch_execz .LBB184_8
	s_branch .LBB184_24
.LBB184_20:                             ;   in Loop: Header=BB184_9 Depth=1
	v_add_co_u32 v35, vcc_lo, v13, s6
	v_add_co_ci_u32_e32 v36, vcc_lo, s7, v14, vcc_lo
	global_load_u8 v31, v[35:36], off
	s_or_b32 exec_lo, exec_lo, s0
	s_delay_alu instid0(SALU_CYCLE_1)
	s_mov_b32 s0, exec_lo
	v_cmpx_gt_u64_e64 s[2:3], v[7:8]
	s_cbranch_execz .LBB184_17
.LBB184_21:                             ;   in Loop: Header=BB184_9 Depth=1
	s_waitcnt vmcnt(0)
	v_lshlrev_b32_e32 v7, 24, v34
	s_delay_alu instid0(VALU_DEP_1) | instskip(NEXT) | instid1(VALU_DEP_1)
	v_and_b32_e32 v8, 0x7f000000, v7
	v_clz_i32_u32_e32 v35, v8
	v_add_nc_u32_e32 v37, 0x1000000, v8
	v_cmp_ne_u32_e32 vcc_lo, 0, v8
	s_delay_alu instid0(VALU_DEP_3) | instskip(NEXT) | instid1(VALU_DEP_1)
	v_min_u32_e32 v35, 32, v35
	v_sub_nc_u32_e64 v35, v35, 4 clamp
	s_delay_alu instid0(VALU_DEP_1) | instskip(SKIP_1) | instid1(VALU_DEP_2)
	v_lshlrev_b32_e32 v36, v35, v8
	v_lshlrev_b32_e32 v35, 23, v35
	v_lshrrev_b32_e32 v36, 4, v36
	s_delay_alu instid0(VALU_DEP_1) | instskip(SKIP_1) | instid1(VALU_DEP_2)
	v_sub_nc_u32_e32 v35, v36, v35
	v_ashrrev_i32_e32 v36, 8, v37
	v_add_nc_u32_e32 v35, 0x3c000000, v35
	s_delay_alu instid0(VALU_DEP_1) | instskip(NEXT) | instid1(VALU_DEP_1)
	v_and_or_b32 v35, 0x7f800000, v36, v35
	v_cndmask_b32_e32 v8, 0, v35, vcc_lo
	s_delay_alu instid0(VALU_DEP_1) | instskip(NEXT) | instid1(VALU_DEP_1)
	v_and_or_b32 v7, 0x80000000, v7, v8
	v_cvt_i32_f32_e32 v35, v7
	v_add_co_u32 v7, vcc_lo, v11, s6
	v_add_co_ci_u32_e32 v8, vcc_lo, s7, v12, vcc_lo
	global_store_b8 v[7:8], v35, off
	s_or_b32 exec_lo, exec_lo, s0
	s_delay_alu instid0(SALU_CYCLE_1)
	s_mov_b32 s0, exec_lo
	v_cmpx_gt_u64_e64 s[2:3], v[5:6]
	s_cbranch_execz .LBB184_18
.LBB184_22:                             ;   in Loop: Header=BB184_9 Depth=1
	s_waitcnt vmcnt(0)
	v_lshlrev_b32_e32 v5, 24, v33
	s_delay_alu instid0(VALU_DEP_1) | instskip(NEXT) | instid1(VALU_DEP_1)
	v_and_b32_e32 v6, 0x7f000000, v5
	v_clz_i32_u32_e32 v7, v6
	v_add_nc_u32_e32 v35, 0x1000000, v6
	v_cmp_ne_u32_e32 vcc_lo, 0, v6
	s_delay_alu instid0(VALU_DEP_3) | instskip(NEXT) | instid1(VALU_DEP_1)
	v_min_u32_e32 v7, 32, v7
	v_sub_nc_u32_e64 v7, v7, 4 clamp
	s_delay_alu instid0(VALU_DEP_1) | instskip(SKIP_1) | instid1(VALU_DEP_2)
	v_lshlrev_b32_e32 v8, v7, v6
	v_lshlrev_b32_e32 v7, 23, v7
	v_lshrrev_b32_e32 v8, 4, v8
	s_delay_alu instid0(VALU_DEP_1) | instskip(SKIP_1) | instid1(VALU_DEP_2)
	v_sub_nc_u32_e32 v7, v8, v7
	v_ashrrev_i32_e32 v8, 8, v35
	v_add_nc_u32_e32 v7, 0x3c000000, v7
	s_delay_alu instid0(VALU_DEP_1) | instskip(NEXT) | instid1(VALU_DEP_1)
	v_and_or_b32 v7, 0x7f800000, v8, v7
	v_cndmask_b32_e32 v6, 0, v7, vcc_lo
	s_delay_alu instid0(VALU_DEP_1) | instskip(NEXT) | instid1(VALU_DEP_1)
	v_and_or_b32 v5, 0x80000000, v5, v6
	v_cvt_i32_f32_e32 v7, v5
	v_add_co_u32 v5, vcc_lo, v27, s6
	v_add_co_ci_u32_e32 v6, vcc_lo, s7, v28, vcc_lo
	global_store_b8 v[5:6], v7, off
	s_or_b32 exec_lo, exec_lo, s0
	s_delay_alu instid0(SALU_CYCLE_1)
	s_mov_b32 s0, exec_lo
	v_cmpx_gt_u64_e64 s[2:3], v[3:4]
	s_cbranch_execz .LBB184_19
.LBB184_23:                             ;   in Loop: Header=BB184_9 Depth=1
	s_waitcnt vmcnt(0)
	v_lshlrev_b32_e32 v3, 24, v32
	s_delay_alu instid0(VALU_DEP_1) | instskip(NEXT) | instid1(VALU_DEP_1)
	v_and_b32_e32 v4, 0x7f000000, v3
	v_clz_i32_u32_e32 v5, v4
	v_add_nc_u32_e32 v7, 0x1000000, v4
	v_cmp_ne_u32_e32 vcc_lo, 0, v4
	s_delay_alu instid0(VALU_DEP_3) | instskip(NEXT) | instid1(VALU_DEP_1)
	v_min_u32_e32 v5, 32, v5
	v_sub_nc_u32_e64 v5, v5, 4 clamp
	s_delay_alu instid0(VALU_DEP_1) | instskip(SKIP_1) | instid1(VALU_DEP_2)
	v_lshlrev_b32_e32 v6, v5, v4
	v_lshlrev_b32_e32 v5, 23, v5
	v_lshrrev_b32_e32 v6, 4, v6
	s_delay_alu instid0(VALU_DEP_1) | instskip(SKIP_1) | instid1(VALU_DEP_2)
	v_sub_nc_u32_e32 v5, v6, v5
	v_ashrrev_i32_e32 v6, 8, v7
	v_add_nc_u32_e32 v5, 0x3c000000, v5
	s_delay_alu instid0(VALU_DEP_1) | instskip(NEXT) | instid1(VALU_DEP_1)
	v_and_or_b32 v5, 0x7f800000, v6, v5
	v_cndmask_b32_e32 v4, 0, v5, vcc_lo
	s_delay_alu instid0(VALU_DEP_1) | instskip(NEXT) | instid1(VALU_DEP_1)
	v_and_or_b32 v3, 0x80000000, v3, v4
	v_cvt_i32_f32_e32 v5, v3
	v_add_co_u32 v3, vcc_lo, v21, s6
	v_add_co_ci_u32_e32 v4, vcc_lo, s7, v22, vcc_lo
	global_store_b8 v[3:4], v5, off
	s_or_b32 exec_lo, exec_lo, s0
	s_delay_alu instid0(SALU_CYCLE_1)
	s_mov_b32 s0, exec_lo
	v_cmpx_gt_u64_e64 s[2:3], v[1:2]
	s_cbranch_execz .LBB184_8
.LBB184_24:                             ;   in Loop: Header=BB184_9 Depth=1
	s_waitcnt vmcnt(0)
	v_lshlrev_b32_e32 v1, 24, v31
	s_delay_alu instid0(VALU_DEP_1) | instskip(NEXT) | instid1(VALU_DEP_1)
	v_and_b32_e32 v2, 0x7f000000, v1
	v_clz_i32_u32_e32 v3, v2
	v_cmp_ne_u32_e32 vcc_lo, 0, v2
	v_add_nc_u32_e32 v5, 0x1000000, v2
	s_delay_alu instid0(VALU_DEP_3) | instskip(NEXT) | instid1(VALU_DEP_1)
	v_min_u32_e32 v3, 32, v3
	v_sub_nc_u32_e64 v3, v3, 4 clamp
	s_delay_alu instid0(VALU_DEP_1) | instskip(SKIP_1) | instid1(VALU_DEP_2)
	v_lshlrev_b32_e32 v4, v3, v2
	v_lshlrev_b32_e32 v3, 23, v3
	v_lshrrev_b32_e32 v4, 4, v4
	s_delay_alu instid0(VALU_DEP_1) | instskip(SKIP_1) | instid1(VALU_DEP_2)
	v_sub_nc_u32_e32 v3, v4, v3
	v_ashrrev_i32_e32 v4, 8, v5
	v_add_nc_u32_e32 v3, 0x3c000000, v3
	s_delay_alu instid0(VALU_DEP_1) | instskip(NEXT) | instid1(VALU_DEP_1)
	v_and_or_b32 v3, 0x7f800000, v4, v3
	v_cndmask_b32_e32 v2, 0, v3, vcc_lo
	s_delay_alu instid0(VALU_DEP_1) | instskip(NEXT) | instid1(VALU_DEP_1)
	v_and_or_b32 v1, 0x80000000, v1, v2
	v_cvt_i32_f32_e32 v3, v1
	v_add_co_u32 v1, vcc_lo, v15, s6
	v_add_co_ci_u32_e32 v2, vcc_lo, s7, v16, vcc_lo
	global_store_b8 v[1:2], v3, off
	s_branch .LBB184_8
.LBB184_25:
	s_nop 0
	s_sendmsg sendmsg(MSG_DEALLOC_VGPRS)
	s_endpgm
	.section	.rodata,"a",@progbits
	.p2align	6, 0x0
	.amdhsa_kernel _ZN2at6native12_GLOBAL__N_125multi_tensor_apply_kernelINS1_18TensorListMetadataILi2EEENS1_11CopyFunctorIaN3c1013Float8_e4m3fnELi2ELi1ELi1EEEJNS0_4CopyIaS7_EEEEEvT_T0_DpT1_
		.amdhsa_group_segment_fixed_size 0
		.amdhsa_private_segment_fixed_size 0
		.amdhsa_kernarg_size 3408
		.amdhsa_user_sgpr_count 15
		.amdhsa_user_sgpr_dispatch_ptr 0
		.amdhsa_user_sgpr_queue_ptr 0
		.amdhsa_user_sgpr_kernarg_segment_ptr 1
		.amdhsa_user_sgpr_dispatch_id 0
		.amdhsa_user_sgpr_private_segment_size 0
		.amdhsa_wavefront_size32 1
		.amdhsa_uses_dynamic_stack 0
		.amdhsa_enable_private_segment 0
		.amdhsa_system_sgpr_workgroup_id_x 1
		.amdhsa_system_sgpr_workgroup_id_y 0
		.amdhsa_system_sgpr_workgroup_id_z 0
		.amdhsa_system_sgpr_workgroup_info 0
		.amdhsa_system_vgpr_workitem_id 0
		.amdhsa_next_free_vgpr 38
		.amdhsa_next_free_sgpr 19
		.amdhsa_reserve_vcc 1
		.amdhsa_float_round_mode_32 0
		.amdhsa_float_round_mode_16_64 0
		.amdhsa_float_denorm_mode_32 3
		.amdhsa_float_denorm_mode_16_64 3
		.amdhsa_dx10_clamp 1
		.amdhsa_ieee_mode 1
		.amdhsa_fp16_overflow 0
		.amdhsa_workgroup_processor_mode 1
		.amdhsa_memory_ordered 1
		.amdhsa_forward_progress 0
		.amdhsa_shared_vgpr_count 0
		.amdhsa_exception_fp_ieee_invalid_op 0
		.amdhsa_exception_fp_denorm_src 0
		.amdhsa_exception_fp_ieee_div_zero 0
		.amdhsa_exception_fp_ieee_overflow 0
		.amdhsa_exception_fp_ieee_underflow 0
		.amdhsa_exception_fp_ieee_inexact 0
		.amdhsa_exception_int_div_zero 0
	.end_amdhsa_kernel
	.section	.text._ZN2at6native12_GLOBAL__N_125multi_tensor_apply_kernelINS1_18TensorListMetadataILi2EEENS1_11CopyFunctorIaN3c1013Float8_e4m3fnELi2ELi1ELi1EEEJNS0_4CopyIaS7_EEEEEvT_T0_DpT1_,"axG",@progbits,_ZN2at6native12_GLOBAL__N_125multi_tensor_apply_kernelINS1_18TensorListMetadataILi2EEENS1_11CopyFunctorIaN3c1013Float8_e4m3fnELi2ELi1ELi1EEEJNS0_4CopyIaS7_EEEEEvT_T0_DpT1_,comdat
.Lfunc_end184:
	.size	_ZN2at6native12_GLOBAL__N_125multi_tensor_apply_kernelINS1_18TensorListMetadataILi2EEENS1_11CopyFunctorIaN3c1013Float8_e4m3fnELi2ELi1ELi1EEEJNS0_4CopyIaS7_EEEEEvT_T0_DpT1_, .Lfunc_end184-_ZN2at6native12_GLOBAL__N_125multi_tensor_apply_kernelINS1_18TensorListMetadataILi2EEENS1_11CopyFunctorIaN3c1013Float8_e4m3fnELi2ELi1ELi1EEEJNS0_4CopyIaS7_EEEEEvT_T0_DpT1_
                                        ; -- End function
	.section	.AMDGPU.csdata,"",@progbits
; Kernel info:
; codeLenInByte = 2340
; NumSgprs: 21
; NumVgprs: 38
; ScratchSize: 0
; MemoryBound: 0
; FloatMode: 240
; IeeeMode: 1
; LDSByteSize: 0 bytes/workgroup (compile time only)
; SGPRBlocks: 2
; VGPRBlocks: 4
; NumSGPRsForWavesPerEU: 21
; NumVGPRsForWavesPerEU: 38
; Occupancy: 16
; WaveLimiterHint : 0
; COMPUTE_PGM_RSRC2:SCRATCH_EN: 0
; COMPUTE_PGM_RSRC2:USER_SGPR: 15
; COMPUTE_PGM_RSRC2:TRAP_HANDLER: 0
; COMPUTE_PGM_RSRC2:TGID_X_EN: 1
; COMPUTE_PGM_RSRC2:TGID_Y_EN: 0
; COMPUTE_PGM_RSRC2:TGID_Z_EN: 0
; COMPUTE_PGM_RSRC2:TIDIG_COMP_CNT: 0
	.section	.text._ZN2at6native12_GLOBAL__N_125multi_tensor_apply_kernelINS1_18TensorListMetadataILi2EEENS1_11CopyFunctorIaN3c1015Float8_e4m3fnuzELi2ELi1ELi1EEEJNS0_4CopyIaS7_EEEEEvT_T0_DpT1_,"axG",@progbits,_ZN2at6native12_GLOBAL__N_125multi_tensor_apply_kernelINS1_18TensorListMetadataILi2EEENS1_11CopyFunctorIaN3c1015Float8_e4m3fnuzELi2ELi1ELi1EEEJNS0_4CopyIaS7_EEEEEvT_T0_DpT1_,comdat
	.globl	_ZN2at6native12_GLOBAL__N_125multi_tensor_apply_kernelINS1_18TensorListMetadataILi2EEENS1_11CopyFunctorIaN3c1015Float8_e4m3fnuzELi2ELi1ELi1EEEJNS0_4CopyIaS7_EEEEEvT_T0_DpT1_ ; -- Begin function _ZN2at6native12_GLOBAL__N_125multi_tensor_apply_kernelINS1_18TensorListMetadataILi2EEENS1_11CopyFunctorIaN3c1015Float8_e4m3fnuzELi2ELi1ELi1EEEJNS0_4CopyIaS7_EEEEEvT_T0_DpT1_
	.p2align	8
	.type	_ZN2at6native12_GLOBAL__N_125multi_tensor_apply_kernelINS1_18TensorListMetadataILi2EEENS1_11CopyFunctorIaN3c1015Float8_e4m3fnuzELi2ELi1ELi1EEEJNS0_4CopyIaS7_EEEEEvT_T0_DpT1_,@function
_ZN2at6native12_GLOBAL__N_125multi_tensor_apply_kernelINS1_18TensorListMetadataILi2EEENS1_11CopyFunctorIaN3c1015Float8_e4m3fnuzELi2ELi1ELi1EEEJNS0_4CopyIaS7_EEEEEvT_T0_DpT1_: ; @_ZN2at6native12_GLOBAL__N_125multi_tensor_apply_kernelINS1_18TensorListMetadataILi2EEENS1_11CopyFunctorIaN3c1015Float8_e4m3fnuzELi2ELi1ELi1EEEJNS0_4CopyIaS7_EEEEEvT_T0_DpT1_
; %bb.0:
	v_mov_b32_e32 v1, s15
	s_add_u32 s2, s0, s15
	s_mul_i32 s4, s15, 3
	s_addc_u32 s3, s1, 0
	s_mul_hi_u32 s5, s15, 3
	global_load_u8 v1, v1, s[0:1] offset:1536
	s_add_u32 s2, s2, s4
	s_addc_u32 s3, s3, s5
	s_load_b32 s2, s[2:3], 0x740
	s_waitcnt vmcnt(0)
	v_readfirstlane_b32 s4, v1
	s_delay_alu instid0(VALU_DEP_1)
	s_lshl_b32 s3, s4, 3
	s_clause 0x2
	s_load_b64 s[6:7], s[0:1], s3 offset:0x0
	s_load_b64 s[8:9], s[0:1], s3 offset:0x200
	;; [unrolled: 1-line block ×3, first 2 shown]
	s_waitcnt lgkmcnt(0)
	s_ashr_i32 s3, s2, 31
	s_delay_alu instid0(SALU_CYCLE_1) | instskip(NEXT) | instid1(SALU_CYCLE_1)
	s_lshl_b64 s[10:11], s[2:3], 16
	s_add_u32 s3, s6, s10
	s_addc_u32 s14, s7, s11
	s_add_u32 s12, s8, s10
	s_addc_u32 s13, s9, s11
	s_delay_alu instid0(SALU_CYCLE_1) | instskip(NEXT) | instid1(SALU_CYCLE_1)
	s_or_b64 s[16:17], s[4:5], s[12:13]
	s_or_b32 s2, s3, s16
	s_delay_alu instid0(SALU_CYCLE_1)
	s_and_b32 s2, s2, 3
	s_sub_u32 s4, s4, s10
	s_subb_u32 s5, s5, s11
	s_cmp_eq_u32 s2, 0
	s_mov_b32 s2, -1
	s_cbranch_scc0 .LBB185_29
; %bb.1:
	v_dual_mov_b32 v2, 0 :: v_dual_lshlrev_b32 v1, 2, v0
	s_mov_b32 s15, exec_lo
	s_delay_alu instid0(VALU_DEP_1)
	v_cmpx_gt_i64_e64 s[4:5], v[1:2]
	s_cbranch_execz .LBB185_28
; %bb.2:
	s_load_b32 s2, s[0:1], 0xc5c
	s_mov_b32 s17, 0
	s_waitcnt lgkmcnt(0)
	s_and_b32 s2, s2, 0xffff
	s_delay_alu instid0(SALU_CYCLE_1)
	s_lshl_b32 s16, s2, 2
	s_branch .LBB185_4
.LBB185_3:                              ;   in Loop: Header=BB185_4 Depth=1
	s_or_b32 exec_lo, exec_lo, s18
	v_add_co_u32 v3, vcc_lo, s12, v1
	v_lshlrev_b16 v5, 8, v5
	v_and_b32_e32 v7, 0xff, v4
	v_lshlrev_b16 v8, 8, v8
	v_and_b32_e32 v6, 0xff, v6
	v_add_co_ci_u32_e32 v4, vcc_lo, s13, v2, vcc_lo
	v_add_co_u32 v1, vcc_lo, s16, v1
	v_add_co_ci_u32_e32 v2, vcc_lo, 0, v2, vcc_lo
	v_or_b32_e32 v5, v7, v5
	v_or_b32_e32 v6, v6, v8
	s_delay_alu instid0(VALU_DEP_3) | instskip(SKIP_1) | instid1(VALU_DEP_4)
	v_cmp_le_i64_e32 vcc_lo, s[4:5], v[1:2]
	v_cmp_lt_u64_e64 s2, 0xffff, v[1:2]
	v_and_b32_e32 v5, 0xffff, v5
	s_delay_alu instid0(VALU_DEP_4) | instskip(NEXT) | instid1(VALU_DEP_3)
	v_lshlrev_b32_e32 v6, 16, v6
	s_or_b32 s2, vcc_lo, s2
	s_delay_alu instid0(VALU_DEP_1) | instskip(SKIP_1) | instid1(SALU_CYCLE_1)
	v_or_b32_e32 v5, v5, v6
	s_and_b32 s2, exec_lo, s2
	s_or_b32 s17, s2, s17
	global_store_b32 v[3:4], v5, off
	s_and_not1_b32 exec_lo, exec_lo, s17
	s_cbranch_execz .LBB185_28
.LBB185_4:                              ; =>This Inner Loop Header: Depth=1
	v_add_co_u32 v3, vcc_lo, s3, v1
	v_add_co_ci_u32_e32 v4, vcc_lo, s14, v2, vcc_lo
	s_mov_b32 s2, 0
	s_mov_b32 s18, exec_lo
                                        ; implicit-def: $sgpr19
	global_load_b32 v3, v[3:4], off
	s_waitcnt vmcnt(0)
	v_and_b32_e32 v5, 0xff, v3
	s_delay_alu instid0(VALU_DEP_1)
	v_cmpx_lt_i16_e32 0x7f, v5
	s_xor_b32 s18, exec_lo, s18
	s_cbranch_execnz .LBB185_19
; %bb.5:                                ;   in Loop: Header=BB185_4 Depth=1
	s_or_saveexec_b32 s18, s18
	v_mov_b32_e32 v4, s19
	s_xor_b32 exec_lo, exec_lo, s18
	s_cbranch_execnz .LBB185_20
.LBB185_6:                              ;   in Loop: Header=BB185_4 Depth=1
	s_or_b32 exec_lo, exec_lo, s18
	s_and_saveexec_b32 s18, s2
	s_cbranch_execz .LBB185_8
.LBB185_7:                              ;   in Loop: Header=BB185_4 Depth=1
	v_bfe_u32 v7, v3, 3, 4
	v_lshlrev_b32_e32 v8, 24, v3
	s_delay_alu instid0(VALU_DEP_2) | instskip(SKIP_1) | instid1(VALU_DEP_1)
	v_cmp_eq_u32_e32 vcc_lo, 0, v7
	v_and_b32_e32 v4, 7, v3
	v_clz_i32_u32_e32 v5, v4
	s_delay_alu instid0(VALU_DEP_1) | instskip(NEXT) | instid1(VALU_DEP_1)
	v_min_u32_e32 v5, 32, v5
	v_subrev_nc_u32_e32 v6, 28, v5
	v_sub_nc_u32_e32 v5, 29, v5
	s_delay_alu instid0(VALU_DEP_1) | instskip(NEXT) | instid1(VALU_DEP_1)
	v_dual_cndmask_b32 v5, v7, v5 :: v_dual_lshlrev_b32 v6, v6, v3
	v_and_b32_e32 v6, 7, v6
	s_delay_alu instid0(VALU_DEP_2) | instskip(NEXT) | instid1(VALU_DEP_2)
	v_lshl_add_u32 v5, v5, 23, 0x3b800000
	v_cndmask_b32_e32 v4, v4, v6, vcc_lo
	v_and_b32_e32 v6, 0x80000000, v8
	s_delay_alu instid0(VALU_DEP_2) | instskip(NEXT) | instid1(VALU_DEP_1)
	v_lshlrev_b32_e32 v4, 20, v4
	v_or3_b32 v4, v6, v5, v4
	s_delay_alu instid0(VALU_DEP_1)
	v_cvt_i32_f32_e32 v4, v4
.LBB185_8:                              ;   in Loop: Header=BB185_4 Depth=1
	s_or_b32 exec_lo, exec_lo, s18
	v_lshrrev_b32_e32 v6, 8, v3
	s_mov_b32 s2, 0
	s_mov_b32 s18, exec_lo
                                        ; implicit-def: $sgpr19
	s_delay_alu instid0(VALU_DEP_1) | instskip(NEXT) | instid1(VALU_DEP_1)
	v_and_b32_e32 v7, 0xff, v6
	v_cmpx_lt_i16_e32 0x7f, v7
	s_xor_b32 s18, exec_lo, s18
	s_cbranch_execnz .LBB185_21
; %bb.9:                                ;   in Loop: Header=BB185_4 Depth=1
	s_or_saveexec_b32 s18, s18
	v_mov_b32_e32 v5, s19
	s_xor_b32 exec_lo, exec_lo, s18
	s_cbranch_execnz .LBB185_22
.LBB185_10:                             ;   in Loop: Header=BB185_4 Depth=1
	s_or_b32 exec_lo, exec_lo, s18
	s_and_saveexec_b32 s18, s2
	s_cbranch_execz .LBB185_12
.LBB185_11:                             ;   in Loop: Header=BB185_4 Depth=1
	v_bfe_u32 v5, v3, 8, 3
	v_bfe_u32 v9, v3, 11, 4
	s_delay_alu instid0(VALU_DEP_2) | instskip(NEXT) | instid1(VALU_DEP_2)
	v_clz_i32_u32_e32 v7, v5
	v_cmp_eq_u32_e32 vcc_lo, 0, v9
	s_delay_alu instid0(VALU_DEP_2) | instskip(NEXT) | instid1(VALU_DEP_1)
	v_min_u32_e32 v7, 32, v7
	v_subrev_nc_u32_e32 v8, 28, v7
	v_sub_nc_u32_e32 v7, 29, v7
	s_delay_alu instid0(VALU_DEP_1) | instskip(NEXT) | instid1(VALU_DEP_1)
	v_dual_cndmask_b32 v7, v9, v7 :: v_dual_lshlrev_b32 v8, v8, v6
	v_and_b32_e32 v8, 7, v8
	v_lshlrev_b32_e32 v6, 24, v6
	s_delay_alu instid0(VALU_DEP_3) | instskip(NEXT) | instid1(VALU_DEP_2)
	v_lshl_add_u32 v7, v7, 23, 0x3b800000
	v_dual_cndmask_b32 v5, v5, v8 :: v_dual_and_b32 v6, 0x80000000, v6
	s_delay_alu instid0(VALU_DEP_1) | instskip(NEXT) | instid1(VALU_DEP_1)
	v_lshlrev_b32_e32 v5, 20, v5
	v_or3_b32 v5, v6, v7, v5
	s_delay_alu instid0(VALU_DEP_1)
	v_cvt_i32_f32_e32 v5, v5
.LBB185_12:                             ;   in Loop: Header=BB185_4 Depth=1
	s_or_b32 exec_lo, exec_lo, s18
	v_lshrrev_b32_e32 v7, 16, v3
	s_mov_b32 s2, 0
	s_mov_b32 s18, exec_lo
                                        ; implicit-def: $sgpr19
	s_delay_alu instid0(VALU_DEP_1) | instskip(NEXT) | instid1(VALU_DEP_1)
	v_and_b32_e32 v8, 0xff, v7
	v_cmpx_lt_i16_e32 0x7f, v8
	s_xor_b32 s18, exec_lo, s18
	s_cbranch_execnz .LBB185_23
; %bb.13:                               ;   in Loop: Header=BB185_4 Depth=1
	s_or_saveexec_b32 s18, s18
	v_mov_b32_e32 v6, s19
	s_xor_b32 exec_lo, exec_lo, s18
	s_cbranch_execnz .LBB185_24
.LBB185_14:                             ;   in Loop: Header=BB185_4 Depth=1
	s_or_b32 exec_lo, exec_lo, s18
	s_and_saveexec_b32 s18, s2
	s_cbranch_execz .LBB185_16
.LBB185_15:                             ;   in Loop: Header=BB185_4 Depth=1
	v_bfe_u32 v6, v3, 16, 3
	v_bfe_u32 v10, v3, 19, 4
	s_delay_alu instid0(VALU_DEP_2) | instskip(NEXT) | instid1(VALU_DEP_2)
	v_clz_i32_u32_e32 v8, v6
	v_cmp_eq_u32_e32 vcc_lo, 0, v10
	s_delay_alu instid0(VALU_DEP_2) | instskip(NEXT) | instid1(VALU_DEP_1)
	v_min_u32_e32 v8, 32, v8
	v_subrev_nc_u32_e32 v9, 28, v8
	v_sub_nc_u32_e32 v8, 29, v8
	s_delay_alu instid0(VALU_DEP_1) | instskip(NEXT) | instid1(VALU_DEP_1)
	v_dual_cndmask_b32 v8, v10, v8 :: v_dual_lshlrev_b32 v9, v9, v7
	v_and_b32_e32 v9, 7, v9
	v_lshlrev_b32_e32 v7, 24, v7
	s_delay_alu instid0(VALU_DEP_3) | instskip(NEXT) | instid1(VALU_DEP_2)
	v_lshl_add_u32 v8, v8, 23, 0x3b800000
	v_dual_cndmask_b32 v6, v6, v9 :: v_dual_and_b32 v7, 0x80000000, v7
	s_delay_alu instid0(VALU_DEP_1) | instskip(NEXT) | instid1(VALU_DEP_1)
	v_lshlrev_b32_e32 v6, 20, v6
	v_or3_b32 v6, v7, v8, v6
	s_delay_alu instid0(VALU_DEP_1)
	v_cvt_i32_f32_e32 v6, v6
.LBB185_16:                             ;   in Loop: Header=BB185_4 Depth=1
	s_or_b32 exec_lo, exec_lo, s18
	v_lshrrev_b32_e32 v7, 24, v3
	s_mov_b32 s2, 0
	s_mov_b32 s18, exec_lo
                                        ; implicit-def: $sgpr19
	s_delay_alu instid0(VALU_DEP_1)
	v_cmpx_lt_i16_e32 0x7f, v7
	s_xor_b32 s18, exec_lo, s18
	s_cbranch_execnz .LBB185_25
; %bb.17:                               ;   in Loop: Header=BB185_4 Depth=1
	s_or_saveexec_b32 s18, s18
	v_mov_b32_e32 v8, s19
	s_xor_b32 exec_lo, exec_lo, s18
	s_cbranch_execnz .LBB185_26
.LBB185_18:                             ;   in Loop: Header=BB185_4 Depth=1
	s_or_b32 exec_lo, exec_lo, s18
	s_and_saveexec_b32 s18, s2
	s_cbranch_execz .LBB185_3
	s_branch .LBB185_27
.LBB185_19:                             ;   in Loop: Header=BB185_4 Depth=1
	v_cmp_ne_u16_e32 vcc_lo, 0x80, v5
	s_mov_b32 s19, 0
                                        ; implicit-def: $vgpr5
	s_and_b32 s2, vcc_lo, exec_lo
	s_or_saveexec_b32 s18, s18
	v_mov_b32_e32 v4, s19
	s_xor_b32 exec_lo, exec_lo, s18
	s_cbranch_execz .LBB185_6
.LBB185_20:                             ;   in Loop: Header=BB185_4 Depth=1
	v_cmp_ne_u16_e32 vcc_lo, 0, v5
	v_mov_b32_e32 v4, 0
	s_and_not1_b32 s2, s2, exec_lo
	s_and_b32 s19, vcc_lo, exec_lo
	s_delay_alu instid0(SALU_CYCLE_1)
	s_or_b32 s2, s2, s19
	s_or_b32 exec_lo, exec_lo, s18
	s_and_saveexec_b32 s18, s2
	s_cbranch_execnz .LBB185_7
	s_branch .LBB185_8
.LBB185_21:                             ;   in Loop: Header=BB185_4 Depth=1
	v_cmp_ne_u16_e32 vcc_lo, 0x80, v7
	s_mov_b32 s19, 0
                                        ; implicit-def: $vgpr7
	s_and_b32 s2, vcc_lo, exec_lo
	s_or_saveexec_b32 s18, s18
	v_mov_b32_e32 v5, s19
	s_xor_b32 exec_lo, exec_lo, s18
	s_cbranch_execz .LBB185_10
.LBB185_22:                             ;   in Loop: Header=BB185_4 Depth=1
	v_cmp_ne_u16_e32 vcc_lo, 0, v7
	v_mov_b32_e32 v5, 0
	s_and_not1_b32 s2, s2, exec_lo
	s_and_b32 s19, vcc_lo, exec_lo
	s_delay_alu instid0(SALU_CYCLE_1)
	s_or_b32 s2, s2, s19
	s_or_b32 exec_lo, exec_lo, s18
	s_and_saveexec_b32 s18, s2
	s_cbranch_execnz .LBB185_11
	s_branch .LBB185_12
.LBB185_23:                             ;   in Loop: Header=BB185_4 Depth=1
	v_cmp_ne_u16_e32 vcc_lo, 0x80, v8
	s_mov_b32 s19, 0
                                        ; implicit-def: $vgpr8
	s_and_b32 s2, vcc_lo, exec_lo
	s_or_saveexec_b32 s18, s18
	v_mov_b32_e32 v6, s19
	s_xor_b32 exec_lo, exec_lo, s18
	s_cbranch_execz .LBB185_14
.LBB185_24:                             ;   in Loop: Header=BB185_4 Depth=1
	v_cmp_ne_u16_e32 vcc_lo, 0, v8
	v_mov_b32_e32 v6, 0
	s_and_not1_b32 s2, s2, exec_lo
	s_and_b32 s19, vcc_lo, exec_lo
	s_delay_alu instid0(SALU_CYCLE_1)
	s_or_b32 s2, s2, s19
	s_or_b32 exec_lo, exec_lo, s18
	s_and_saveexec_b32 s18, s2
	s_cbranch_execnz .LBB185_15
	s_branch .LBB185_16
.LBB185_25:                             ;   in Loop: Header=BB185_4 Depth=1
	v_cmp_ne_u16_e32 vcc_lo, 0x80, v7
	s_mov_b32 s19, 0
	s_and_b32 s2, vcc_lo, exec_lo
	s_or_saveexec_b32 s18, s18
	v_mov_b32_e32 v8, s19
	s_xor_b32 exec_lo, exec_lo, s18
	s_cbranch_execz .LBB185_18
.LBB185_26:                             ;   in Loop: Header=BB185_4 Depth=1
	v_cmp_ne_u16_e32 vcc_lo, 0, v7
	v_mov_b32_e32 v8, 0
	s_and_not1_b32 s2, s2, exec_lo
	s_and_b32 s19, vcc_lo, exec_lo
	s_delay_alu instid0(SALU_CYCLE_1)
	s_or_b32 s2, s2, s19
	s_or_b32 exec_lo, exec_lo, s18
	s_and_saveexec_b32 s18, s2
	s_cbranch_execz .LBB185_3
.LBB185_27:                             ;   in Loop: Header=BB185_4 Depth=1
	v_bfe_u32 v8, v3, 24, 3
	s_delay_alu instid0(VALU_DEP_1) | instskip(NEXT) | instid1(VALU_DEP_1)
	v_clz_i32_u32_e32 v9, v8
	v_min_u32_e32 v9, 32, v9
	s_delay_alu instid0(VALU_DEP_1) | instskip(SKIP_1) | instid1(VALU_DEP_2)
	v_subrev_nc_u32_e32 v10, 28, v9
	v_sub_nc_u32_e32 v9, 29, v9
	v_lshlrev_b32_e32 v7, v10, v7
	v_bfe_u32 v10, v3, 27, 4
	v_and_b32_e32 v3, 0x80000000, v3
	s_delay_alu instid0(VALU_DEP_3) | instskip(NEXT) | instid1(VALU_DEP_3)
	v_and_b32_e32 v7, 7, v7
	v_cmp_eq_u32_e32 vcc_lo, 0, v10
	v_cndmask_b32_e32 v9, v10, v9, vcc_lo
	s_delay_alu instid0(VALU_DEP_3) | instskip(NEXT) | instid1(VALU_DEP_2)
	v_cndmask_b32_e32 v7, v8, v7, vcc_lo
	v_lshl_add_u32 v8, v9, 23, 0x3b800000
	s_delay_alu instid0(VALU_DEP_2) | instskip(NEXT) | instid1(VALU_DEP_1)
	v_lshlrev_b32_e32 v7, 20, v7
	v_or3_b32 v3, v3, v8, v7
	s_delay_alu instid0(VALU_DEP_1)
	v_cvt_i32_f32_e32 v8, v3
	s_branch .LBB185_3
.LBB185_28:
	s_or_b32 exec_lo, exec_lo, s15
	s_mov_b32 s2, 0
.LBB185_29:
	s_delay_alu instid0(SALU_CYCLE_1)
	s_and_not1_b32 vcc_lo, exec_lo, s2
	s_cbranch_vccnz .LBB185_73
; %bb.30:
	v_cmp_lt_i64_e64 s2, s[4:5], 1
	s_delay_alu instid0(VALU_DEP_1)
	s_and_b32 vcc_lo, exec_lo, s2
	s_cbranch_vccnz .LBB185_73
; %bb.31:
	s_load_b32 s0, s[0:1], 0xc5c
	v_add_co_u32 v1, s1, s10, v0
	s_delay_alu instid0(VALU_DEP_1) | instskip(SKIP_1) | instid1(VALU_DEP_3)
	v_add_co_ci_u32_e64 v2, null, s11, 0, s1
	v_cmp_gt_u64_e64 s1, 0x10000, s[4:5]
	v_add_co_u32 v9, vcc_lo, s6, v1
	s_delay_alu instid0(VALU_DEP_3)
	v_add_co_ci_u32_e32 v10, vcc_lo, s7, v2, vcc_lo
	v_add_co_u32 v11, vcc_lo, s8, v1
	v_add_co_ci_u32_e32 v12, vcc_lo, s9, v2, vcc_lo
                                        ; implicit-def: $vgpr31
                                        ; implicit-def: $vgpr32
                                        ; implicit-def: $vgpr33
                                        ; implicit-def: $vgpr34
	s_waitcnt lgkmcnt(0)
	s_and_b32 s0, s0, 0xffff
	s_and_b32 s1, s1, exec_lo
	s_mul_i32 s13, s0, 3
	s_cselect_b32 s3, s5, 0
	s_cselect_b32 s2, s4, 0x10000
	s_lshl_b32 s12, s0, 1
	s_lshl_b32 s1, s0, 2
	s_add_u32 s14, s10, s13
	s_addc_u32 s15, s11, 0
	v_add_co_u32 v3, s14, s14, v0
	s_delay_alu instid0(VALU_DEP_1) | instskip(SKIP_1) | instid1(VALU_DEP_2)
	v_add_co_ci_u32_e64 v4, null, s15, 0, s14
	s_add_u32 s10, s10, s12
	v_add_co_u32 v13, vcc_lo, s6, v3
	s_delay_alu instid0(VALU_DEP_2)
	v_add_co_ci_u32_e32 v14, vcc_lo, s7, v4, vcc_lo
	v_add_co_u32 v15, vcc_lo, s8, v3
	s_addc_u32 s11, s11, 0
	v_add_co_u32 v3, s10, s10, v0
	v_add_co_ci_u32_e32 v16, vcc_lo, s9, v4, vcc_lo
	v_add_co_ci_u32_e64 v4, null, s11, 0, s10
	s_delay_alu instid0(VALU_DEP_3) | instskip(SKIP_1) | instid1(VALU_DEP_3)
	v_add_co_u32 v19, vcc_lo, s6, v3
	v_add_co_u32 v17, s10, s13, v0
	v_add_co_ci_u32_e32 v20, vcc_lo, s7, v4, vcc_lo
	v_add_co_u32 v21, vcc_lo, s8, v3
	v_add_co_ci_u32_e32 v22, vcc_lo, s9, v4, vcc_lo
	v_add_co_u32 v1, vcc_lo, v1, s0
	v_add_co_ci_u32_e32 v2, vcc_lo, 0, v2, vcc_lo
	v_add_co_ci_u32_e64 v18, null, 0, 0, s10
	s_delay_alu instid0(VALU_DEP_3) | instskip(NEXT) | instid1(VALU_DEP_3)
	v_add_co_u32 v25, vcc_lo, s6, v1
	v_add_co_ci_u32_e32 v26, vcc_lo, s7, v2, vcc_lo
	v_add_co_u32 v23, s10, s12, v0
	v_add_co_u32 v27, vcc_lo, s8, v1
	v_add_co_u32 v29, s0, v0, s0
	v_add_co_ci_u32_e64 v24, null, 0, 0, s10
	v_add_co_ci_u32_e32 v28, vcc_lo, s9, v2, vcc_lo
	v_add_co_ci_u32_e64 v30, null, 0, 0, s0
	s_mov_b64 s[6:7], 0
	s_branch .LBB185_33
.LBB185_32:                             ;   in Loop: Header=BB185_33 Depth=1
	s_or_b32 exec_lo, exec_lo, s0
	s_add_u32 s6, s6, s1
	s_addc_u32 s7, s7, 0
	s_delay_alu instid0(SALU_CYCLE_1) | instskip(SKIP_1) | instid1(VALU_DEP_1)
	v_cmp_ge_i64_e64 s0, s[6:7], s[4:5]
	v_cmp_lt_u64_e64 s8, 0xffff, s[6:7]
	s_or_b32 s0, s0, s8
	s_delay_alu instid0(SALU_CYCLE_1)
	s_and_b32 vcc_lo, exec_lo, s0
	s_cbranch_vccnz .LBB185_73
.LBB185_33:                             ; =>This Inner Loop Header: Depth=1
	v_add_co_u32 v1, s0, v0, s6
	s_delay_alu instid0(VALU_DEP_1) | instskip(NEXT) | instid1(VALU_DEP_1)
	v_add_co_ci_u32_e64 v2, null, 0, s7, s0
	v_cmp_gt_i64_e32 vcc_lo, s[4:5], v[1:2]
	v_cmp_gt_u64_e64 s0, 0x10000, v[1:2]
	s_delay_alu instid0(VALU_DEP_1) | instskip(NEXT) | instid1(SALU_CYCLE_1)
	s_and_b32 s8, vcc_lo, s0
	s_and_saveexec_b32 s0, s8
	s_cbranch_execz .LBB185_35
; %bb.34:                               ;   in Loop: Header=BB185_33 Depth=1
	v_add_co_u32 v3, vcc_lo, v9, s6
	v_add_co_ci_u32_e32 v4, vcc_lo, s7, v10, vcc_lo
	global_load_u8 v34, v[3:4], off
.LBB185_35:                             ;   in Loop: Header=BB185_33 Depth=1
	s_or_b32 exec_lo, exec_lo, s0
	v_add_co_u32 v3, vcc_lo, v29, s6
	v_add_co_ci_u32_e32 v4, vcc_lo, s7, v30, vcc_lo
	s_delay_alu instid0(VALU_DEP_1) | instskip(SKIP_1) | instid1(VALU_DEP_1)
	v_cmp_gt_i64_e32 vcc_lo, s[4:5], v[3:4]
	v_cmp_gt_u64_e64 s0, 0x10000, v[3:4]
	s_and_b32 s8, vcc_lo, s0
	s_delay_alu instid0(SALU_CYCLE_1)
	s_and_saveexec_b32 s0, s8
	s_cbranch_execz .LBB185_37
; %bb.36:                               ;   in Loop: Header=BB185_33 Depth=1
	v_add_co_u32 v5, vcc_lo, v25, s6
	v_add_co_ci_u32_e32 v6, vcc_lo, s7, v26, vcc_lo
	global_load_u8 v33, v[5:6], off
.LBB185_37:                             ;   in Loop: Header=BB185_33 Depth=1
	s_or_b32 exec_lo, exec_lo, s0
	v_add_co_u32 v5, vcc_lo, v23, s6
	v_add_co_ci_u32_e32 v6, vcc_lo, s7, v24, vcc_lo
	s_delay_alu instid0(VALU_DEP_1) | instskip(SKIP_1) | instid1(VALU_DEP_1)
	v_cmp_gt_i64_e32 vcc_lo, s[4:5], v[5:6]
	v_cmp_gt_u64_e64 s0, 0x10000, v[5:6]
	s_and_b32 s8, vcc_lo, s0
	s_delay_alu instid0(SALU_CYCLE_1)
	;; [unrolled: 15-line block ×3, first 2 shown]
	s_and_saveexec_b32 s0, s8
	s_cbranch_execz .LBB185_41
; %bb.40:                               ;   in Loop: Header=BB185_33 Depth=1
	v_add_co_u32 v35, vcc_lo, v13, s6
	v_add_co_ci_u32_e32 v36, vcc_lo, s7, v14, vcc_lo
	global_load_u8 v31, v[35:36], off
.LBB185_41:                             ;   in Loop: Header=BB185_33 Depth=1
	s_or_b32 exec_lo, exec_lo, s0
	s_waitcnt vmcnt(0)
	v_and_b32_e32 v36, 0xff, v34
	s_mov_b32 s0, 0
	s_mov_b32 s8, exec_lo
                                        ; implicit-def: $sgpr9
	s_delay_alu instid0(VALU_DEP_1)
	v_cmpx_lt_i16_e32 0x7f, v36
	s_xor_b32 s8, exec_lo, s8
	s_cbranch_execnz .LBB185_61
; %bb.42:                               ;   in Loop: Header=BB185_33 Depth=1
	s_or_saveexec_b32 s8, s8
	v_mov_b32_e32 v35, s9
	s_xor_b32 exec_lo, exec_lo, s8
	s_cbranch_execnz .LBB185_62
.LBB185_43:                             ;   in Loop: Header=BB185_33 Depth=1
	s_or_b32 exec_lo, exec_lo, s8
	s_and_saveexec_b32 s8, s0
	s_cbranch_execz .LBB185_45
.LBB185_44:                             ;   in Loop: Header=BB185_33 Depth=1
	v_lshrrev_b16 v38, 3, v34
	v_lshlrev_b32_e32 v39, 24, v34
	s_delay_alu instid0(VALU_DEP_2) | instskip(NEXT) | instid1(VALU_DEP_1)
	v_and_b32_e32 v38, 15, v38
	v_cmp_eq_u32_e32 vcc_lo, 0, v38
	v_and_b32_e32 v35, 7, v34
	s_delay_alu instid0(VALU_DEP_1) | instskip(NEXT) | instid1(VALU_DEP_1)
	v_clz_i32_u32_e32 v36, v35
	v_min_u32_e32 v36, 32, v36
	s_delay_alu instid0(VALU_DEP_1) | instskip(SKIP_1) | instid1(VALU_DEP_1)
	v_subrev_nc_u32_e32 v37, 28, v36
	v_sub_nc_u32_e32 v36, 29, v36
	v_dual_cndmask_b32 v36, v38, v36 :: v_dual_lshlrev_b32 v37, v37, v34
	s_delay_alu instid0(VALU_DEP_1) | instskip(NEXT) | instid1(VALU_DEP_2)
	v_and_b32_e32 v37, 7, v37
	v_lshl_add_u32 v36, v36, 23, 0x3b800000
	s_delay_alu instid0(VALU_DEP_2) | instskip(SKIP_1) | instid1(VALU_DEP_2)
	v_cndmask_b32_e32 v35, v35, v37, vcc_lo
	v_and_b32_e32 v37, 0x80000000, v39
	v_lshlrev_b32_e32 v35, 20, v35
	s_delay_alu instid0(VALU_DEP_1) | instskip(NEXT) | instid1(VALU_DEP_1)
	v_or3_b32 v35, v37, v36, v35
	v_cvt_i32_f32_e32 v35, v35
.LBB185_45:                             ;   in Loop: Header=BB185_33 Depth=1
	s_or_b32 exec_lo, exec_lo, s8
	v_and_b32_e32 v37, 0xff, v33
	s_mov_b32 s0, 0
	s_mov_b32 s8, exec_lo
                                        ; implicit-def: $sgpr9
	s_delay_alu instid0(VALU_DEP_1)
	v_cmpx_lt_i16_e32 0x7f, v37
	s_xor_b32 s8, exec_lo, s8
	s_cbranch_execnz .LBB185_63
; %bb.46:                               ;   in Loop: Header=BB185_33 Depth=1
	s_or_saveexec_b32 s8, s8
	v_mov_b32_e32 v36, s9
	s_xor_b32 exec_lo, exec_lo, s8
	s_cbranch_execnz .LBB185_64
.LBB185_47:                             ;   in Loop: Header=BB185_33 Depth=1
	s_or_b32 exec_lo, exec_lo, s8
	s_and_saveexec_b32 s8, s0
	s_cbranch_execz .LBB185_49
.LBB185_48:                             ;   in Loop: Header=BB185_33 Depth=1
	v_and_b32_e32 v36, 7, v33
	v_lshrrev_b16 v39, 3, v33
	v_lshlrev_b32_e32 v40, 24, v33
	s_delay_alu instid0(VALU_DEP_3) | instskip(NEXT) | instid1(VALU_DEP_1)
	v_clz_i32_u32_e32 v37, v36
	v_min_u32_e32 v37, 32, v37
	s_delay_alu instid0(VALU_DEP_1) | instskip(SKIP_1) | instid1(VALU_DEP_2)
	v_subrev_nc_u32_e32 v38, 28, v37
	v_sub_nc_u32_e32 v37, 29, v37
	v_lshlrev_b32_e32 v38, v38, v33
	s_delay_alu instid0(VALU_DEP_1) | instskip(SKIP_1) | instid1(VALU_DEP_1)
	v_and_b32_e32 v38, 7, v38
	v_and_b32_e32 v39, 15, v39
	v_cmp_eq_u32_e32 vcc_lo, 0, v39
	s_delay_alu instid0(VALU_DEP_3) | instskip(SKIP_1) | instid1(VALU_DEP_2)
	v_dual_cndmask_b32 v36, v36, v38 :: v_dual_cndmask_b32 v37, v39, v37
	v_and_b32_e32 v38, 0x80000000, v40
	v_lshlrev_b32_e32 v36, 20, v36
	s_delay_alu instid0(VALU_DEP_3) | instskip(NEXT) | instid1(VALU_DEP_1)
	v_lshl_add_u32 v37, v37, 23, 0x3b800000
	v_or3_b32 v36, v38, v37, v36
	s_delay_alu instid0(VALU_DEP_1)
	v_cvt_i32_f32_e32 v36, v36
.LBB185_49:                             ;   in Loop: Header=BB185_33 Depth=1
	s_or_b32 exec_lo, exec_lo, s8
	v_and_b32_e32 v38, 0xff, v32
	s_mov_b32 s0, 0
	s_mov_b32 s8, exec_lo
                                        ; implicit-def: $sgpr9
	s_delay_alu instid0(VALU_DEP_1)
	v_cmpx_lt_i16_e32 0x7f, v38
	s_xor_b32 s8, exec_lo, s8
	s_cbranch_execnz .LBB185_65
; %bb.50:                               ;   in Loop: Header=BB185_33 Depth=1
	s_or_saveexec_b32 s8, s8
	v_mov_b32_e32 v37, s9
	s_xor_b32 exec_lo, exec_lo, s8
	s_cbranch_execnz .LBB185_66
.LBB185_51:                             ;   in Loop: Header=BB185_33 Depth=1
	s_or_b32 exec_lo, exec_lo, s8
	s_and_saveexec_b32 s8, s0
	s_cbranch_execz .LBB185_53
.LBB185_52:                             ;   in Loop: Header=BB185_33 Depth=1
	v_lshrrev_b16 v40, 3, v32
	v_lshlrev_b32_e32 v41, 24, v32
	s_delay_alu instid0(VALU_DEP_2) | instskip(NEXT) | instid1(VALU_DEP_1)
	v_and_b32_e32 v40, 15, v40
	v_cmp_eq_u32_e32 vcc_lo, 0, v40
	v_and_b32_e32 v37, 7, v32
	s_delay_alu instid0(VALU_DEP_1) | instskip(NEXT) | instid1(VALU_DEP_1)
	v_clz_i32_u32_e32 v38, v37
	v_min_u32_e32 v38, 32, v38
	s_delay_alu instid0(VALU_DEP_1) | instskip(SKIP_1) | instid1(VALU_DEP_1)
	v_subrev_nc_u32_e32 v39, 28, v38
	v_sub_nc_u32_e32 v38, 29, v38
	v_dual_cndmask_b32 v38, v40, v38 :: v_dual_lshlrev_b32 v39, v39, v32
	s_delay_alu instid0(VALU_DEP_1) | instskip(NEXT) | instid1(VALU_DEP_2)
	v_and_b32_e32 v39, 7, v39
	v_lshl_add_u32 v38, v38, 23, 0x3b800000
	s_delay_alu instid0(VALU_DEP_2) | instskip(SKIP_1) | instid1(VALU_DEP_2)
	v_cndmask_b32_e32 v37, v37, v39, vcc_lo
	v_and_b32_e32 v39, 0x80000000, v41
	v_lshlrev_b32_e32 v37, 20, v37
	s_delay_alu instid0(VALU_DEP_1) | instskip(NEXT) | instid1(VALU_DEP_1)
	v_or3_b32 v37, v39, v38, v37
	v_cvt_i32_f32_e32 v37, v37
.LBB185_53:                             ;   in Loop: Header=BB185_33 Depth=1
	s_or_b32 exec_lo, exec_lo, s8
	v_and_b32_e32 v39, 0xff, v31
	s_mov_b32 s0, 0
	s_mov_b32 s8, exec_lo
                                        ; implicit-def: $sgpr9
	s_delay_alu instid0(VALU_DEP_1)
	v_cmpx_lt_i16_e32 0x7f, v39
	s_xor_b32 s8, exec_lo, s8
	s_cbranch_execnz .LBB185_67
; %bb.54:                               ;   in Loop: Header=BB185_33 Depth=1
	s_or_saveexec_b32 s8, s8
	v_mov_b32_e32 v38, s9
	s_xor_b32 exec_lo, exec_lo, s8
	s_cbranch_execnz .LBB185_68
.LBB185_55:                             ;   in Loop: Header=BB185_33 Depth=1
	s_or_b32 exec_lo, exec_lo, s8
	s_and_saveexec_b32 s8, s0
	s_cbranch_execz .LBB185_57
.LBB185_56:                             ;   in Loop: Header=BB185_33 Depth=1
	v_and_b32_e32 v38, 7, v31
	v_lshrrev_b16 v41, 3, v31
	v_lshlrev_b32_e32 v42, 24, v31
	s_delay_alu instid0(VALU_DEP_3) | instskip(NEXT) | instid1(VALU_DEP_1)
	v_clz_i32_u32_e32 v39, v38
	v_min_u32_e32 v39, 32, v39
	s_delay_alu instid0(VALU_DEP_1) | instskip(SKIP_1) | instid1(VALU_DEP_2)
	v_subrev_nc_u32_e32 v40, 28, v39
	v_sub_nc_u32_e32 v39, 29, v39
	v_lshlrev_b32_e32 v40, v40, v31
	s_delay_alu instid0(VALU_DEP_1) | instskip(SKIP_1) | instid1(VALU_DEP_1)
	v_and_b32_e32 v40, 7, v40
	v_and_b32_e32 v41, 15, v41
	v_cmp_eq_u32_e32 vcc_lo, 0, v41
	s_delay_alu instid0(VALU_DEP_3) | instskip(SKIP_1) | instid1(VALU_DEP_2)
	v_dual_cndmask_b32 v38, v38, v40 :: v_dual_cndmask_b32 v39, v41, v39
	v_and_b32_e32 v40, 0x80000000, v42
	v_lshlrev_b32_e32 v38, 20, v38
	s_delay_alu instid0(VALU_DEP_3) | instskip(NEXT) | instid1(VALU_DEP_1)
	v_lshl_add_u32 v39, v39, 23, 0x3b800000
	v_or3_b32 v38, v40, v39, v38
	s_delay_alu instid0(VALU_DEP_1)
	v_cvt_i32_f32_e32 v38, v38
.LBB185_57:                             ;   in Loop: Header=BB185_33 Depth=1
	s_or_b32 exec_lo, exec_lo, s8
	s_delay_alu instid0(SALU_CYCLE_1)
	s_mov_b32 s0, exec_lo
	v_cmpx_gt_u64_e64 s[2:3], v[1:2]
	s_xor_b32 s0, exec_lo, s0
	s_cbranch_execnz .LBB185_69
; %bb.58:                               ;   in Loop: Header=BB185_33 Depth=1
	s_or_b32 exec_lo, exec_lo, s0
	s_delay_alu instid0(SALU_CYCLE_1)
	s_mov_b32 s0, exec_lo
	v_cmpx_gt_u64_e64 s[2:3], v[3:4]
	s_cbranch_execnz .LBB185_70
.LBB185_59:                             ;   in Loop: Header=BB185_33 Depth=1
	s_or_b32 exec_lo, exec_lo, s0
	s_delay_alu instid0(SALU_CYCLE_1)
	s_mov_b32 s0, exec_lo
	v_cmpx_gt_u64_e64 s[2:3], v[5:6]
	s_cbranch_execnz .LBB185_71
.LBB185_60:                             ;   in Loop: Header=BB185_33 Depth=1
	s_or_b32 exec_lo, exec_lo, s0
	s_delay_alu instid0(SALU_CYCLE_1)
	s_mov_b32 s0, exec_lo
	v_cmpx_gt_u64_e64 s[2:3], v[7:8]
	s_cbranch_execz .LBB185_32
	s_branch .LBB185_72
.LBB185_61:                             ;   in Loop: Header=BB185_33 Depth=1
	v_cmp_ne_u16_e32 vcc_lo, 0x80, v36
	s_mov_b32 s9, 0
                                        ; implicit-def: $vgpr36
	s_and_b32 s0, vcc_lo, exec_lo
	s_or_saveexec_b32 s8, s8
	v_mov_b32_e32 v35, s9
	s_xor_b32 exec_lo, exec_lo, s8
	s_cbranch_execz .LBB185_43
.LBB185_62:                             ;   in Loop: Header=BB185_33 Depth=1
	v_cmp_ne_u16_e32 vcc_lo, 0, v36
	v_mov_b32_e32 v35, 0
	s_and_not1_b32 s0, s0, exec_lo
	s_and_b32 s9, vcc_lo, exec_lo
	s_delay_alu instid0(SALU_CYCLE_1)
	s_or_b32 s0, s0, s9
	s_or_b32 exec_lo, exec_lo, s8
	s_and_saveexec_b32 s8, s0
	s_cbranch_execnz .LBB185_44
	s_branch .LBB185_45
.LBB185_63:                             ;   in Loop: Header=BB185_33 Depth=1
	v_cmp_ne_u16_e32 vcc_lo, 0x80, v37
	s_mov_b32 s9, 0
                                        ; implicit-def: $vgpr37
	s_and_b32 s0, vcc_lo, exec_lo
	s_or_saveexec_b32 s8, s8
	v_mov_b32_e32 v36, s9
	s_xor_b32 exec_lo, exec_lo, s8
	s_cbranch_execz .LBB185_47
.LBB185_64:                             ;   in Loop: Header=BB185_33 Depth=1
	v_cmp_ne_u16_e32 vcc_lo, 0, v37
	v_mov_b32_e32 v36, 0
	s_and_not1_b32 s0, s0, exec_lo
	s_and_b32 s9, vcc_lo, exec_lo
	s_delay_alu instid0(SALU_CYCLE_1)
	s_or_b32 s0, s0, s9
	s_or_b32 exec_lo, exec_lo, s8
	s_and_saveexec_b32 s8, s0
	s_cbranch_execnz .LBB185_48
	s_branch .LBB185_49
.LBB185_65:                             ;   in Loop: Header=BB185_33 Depth=1
	v_cmp_ne_u16_e32 vcc_lo, 0x80, v38
	s_mov_b32 s9, 0
                                        ; implicit-def: $vgpr38
	s_and_b32 s0, vcc_lo, exec_lo
	s_or_saveexec_b32 s8, s8
	v_mov_b32_e32 v37, s9
	s_xor_b32 exec_lo, exec_lo, s8
	s_cbranch_execz .LBB185_51
.LBB185_66:                             ;   in Loop: Header=BB185_33 Depth=1
	v_cmp_ne_u16_e32 vcc_lo, 0, v38
	v_mov_b32_e32 v37, 0
	s_and_not1_b32 s0, s0, exec_lo
	s_and_b32 s9, vcc_lo, exec_lo
	s_delay_alu instid0(SALU_CYCLE_1)
	s_or_b32 s0, s0, s9
	s_or_b32 exec_lo, exec_lo, s8
	s_and_saveexec_b32 s8, s0
	s_cbranch_execnz .LBB185_52
	s_branch .LBB185_53
.LBB185_67:                             ;   in Loop: Header=BB185_33 Depth=1
	v_cmp_ne_u16_e32 vcc_lo, 0x80, v39
	s_mov_b32 s9, 0
                                        ; implicit-def: $vgpr39
	s_and_b32 s0, vcc_lo, exec_lo
	s_or_saveexec_b32 s8, s8
	v_mov_b32_e32 v38, s9
	s_xor_b32 exec_lo, exec_lo, s8
	s_cbranch_execz .LBB185_55
.LBB185_68:                             ;   in Loop: Header=BB185_33 Depth=1
	v_cmp_ne_u16_e32 vcc_lo, 0, v39
	v_mov_b32_e32 v38, 0
	s_and_not1_b32 s0, s0, exec_lo
	s_and_b32 s9, vcc_lo, exec_lo
	s_delay_alu instid0(SALU_CYCLE_1)
	s_or_b32 s0, s0, s9
	s_or_b32 exec_lo, exec_lo, s8
	s_and_saveexec_b32 s8, s0
	s_cbranch_execnz .LBB185_56
	s_branch .LBB185_57
.LBB185_69:                             ;   in Loop: Header=BB185_33 Depth=1
	v_add_co_u32 v1, vcc_lo, v11, s6
	v_add_co_ci_u32_e32 v2, vcc_lo, s7, v12, vcc_lo
	global_store_b8 v[1:2], v35, off
	s_or_b32 exec_lo, exec_lo, s0
	s_delay_alu instid0(SALU_CYCLE_1)
	s_mov_b32 s0, exec_lo
	v_cmpx_gt_u64_e64 s[2:3], v[3:4]
	s_cbranch_execz .LBB185_59
.LBB185_70:                             ;   in Loop: Header=BB185_33 Depth=1
	v_add_co_u32 v1, vcc_lo, v27, s6
	v_add_co_ci_u32_e32 v2, vcc_lo, s7, v28, vcc_lo
	global_store_b8 v[1:2], v36, off
	s_or_b32 exec_lo, exec_lo, s0
	s_delay_alu instid0(SALU_CYCLE_1)
	s_mov_b32 s0, exec_lo
	v_cmpx_gt_u64_e64 s[2:3], v[5:6]
	s_cbranch_execz .LBB185_60
.LBB185_71:                             ;   in Loop: Header=BB185_33 Depth=1
	v_add_co_u32 v1, vcc_lo, v21, s6
	v_add_co_ci_u32_e32 v2, vcc_lo, s7, v22, vcc_lo
	global_store_b8 v[1:2], v37, off
	s_or_b32 exec_lo, exec_lo, s0
	s_delay_alu instid0(SALU_CYCLE_1)
	s_mov_b32 s0, exec_lo
	v_cmpx_gt_u64_e64 s[2:3], v[7:8]
	s_cbranch_execz .LBB185_32
.LBB185_72:                             ;   in Loop: Header=BB185_33 Depth=1
	v_add_co_u32 v1, vcc_lo, v15, s6
	v_add_co_ci_u32_e32 v2, vcc_lo, s7, v16, vcc_lo
	global_store_b8 v[1:2], v38, off
	s_branch .LBB185_32
.LBB185_73:
	s_nop 0
	s_sendmsg sendmsg(MSG_DEALLOC_VGPRS)
	s_endpgm
	.section	.rodata,"a",@progbits
	.p2align	6, 0x0
	.amdhsa_kernel _ZN2at6native12_GLOBAL__N_125multi_tensor_apply_kernelINS1_18TensorListMetadataILi2EEENS1_11CopyFunctorIaN3c1015Float8_e4m3fnuzELi2ELi1ELi1EEEJNS0_4CopyIaS7_EEEEEvT_T0_DpT1_
		.amdhsa_group_segment_fixed_size 0
		.amdhsa_private_segment_fixed_size 0
		.amdhsa_kernarg_size 3408
		.amdhsa_user_sgpr_count 15
		.amdhsa_user_sgpr_dispatch_ptr 0
		.amdhsa_user_sgpr_queue_ptr 0
		.amdhsa_user_sgpr_kernarg_segment_ptr 1
		.amdhsa_user_sgpr_dispatch_id 0
		.amdhsa_user_sgpr_private_segment_size 0
		.amdhsa_wavefront_size32 1
		.amdhsa_uses_dynamic_stack 0
		.amdhsa_enable_private_segment 0
		.amdhsa_system_sgpr_workgroup_id_x 1
		.amdhsa_system_sgpr_workgroup_id_y 0
		.amdhsa_system_sgpr_workgroup_id_z 0
		.amdhsa_system_sgpr_workgroup_info 0
		.amdhsa_system_vgpr_workitem_id 0
		.amdhsa_next_free_vgpr 43
		.amdhsa_next_free_sgpr 20
		.amdhsa_reserve_vcc 1
		.amdhsa_float_round_mode_32 0
		.amdhsa_float_round_mode_16_64 0
		.amdhsa_float_denorm_mode_32 3
		.amdhsa_float_denorm_mode_16_64 3
		.amdhsa_dx10_clamp 1
		.amdhsa_ieee_mode 1
		.amdhsa_fp16_overflow 0
		.amdhsa_workgroup_processor_mode 1
		.amdhsa_memory_ordered 1
		.amdhsa_forward_progress 0
		.amdhsa_shared_vgpr_count 0
		.amdhsa_exception_fp_ieee_invalid_op 0
		.amdhsa_exception_fp_denorm_src 0
		.amdhsa_exception_fp_ieee_div_zero 0
		.amdhsa_exception_fp_ieee_overflow 0
		.amdhsa_exception_fp_ieee_underflow 0
		.amdhsa_exception_fp_ieee_inexact 0
		.amdhsa_exception_int_div_zero 0
	.end_amdhsa_kernel
	.section	.text._ZN2at6native12_GLOBAL__N_125multi_tensor_apply_kernelINS1_18TensorListMetadataILi2EEENS1_11CopyFunctorIaN3c1015Float8_e4m3fnuzELi2ELi1ELi1EEEJNS0_4CopyIaS7_EEEEEvT_T0_DpT1_,"axG",@progbits,_ZN2at6native12_GLOBAL__N_125multi_tensor_apply_kernelINS1_18TensorListMetadataILi2EEENS1_11CopyFunctorIaN3c1015Float8_e4m3fnuzELi2ELi1ELi1EEEJNS0_4CopyIaS7_EEEEEvT_T0_DpT1_,comdat
.Lfunc_end185:
	.size	_ZN2at6native12_GLOBAL__N_125multi_tensor_apply_kernelINS1_18TensorListMetadataILi2EEENS1_11CopyFunctorIaN3c1015Float8_e4m3fnuzELi2ELi1ELi1EEEJNS0_4CopyIaS7_EEEEEvT_T0_DpT1_, .Lfunc_end185-_ZN2at6native12_GLOBAL__N_125multi_tensor_apply_kernelINS1_18TensorListMetadataILi2EEENS1_11CopyFunctorIaN3c1015Float8_e4m3fnuzELi2ELi1ELi1EEEJNS0_4CopyIaS7_EEEEEvT_T0_DpT1_
                                        ; -- End function
	.section	.AMDGPU.csdata,"",@progbits
; Kernel info:
; codeLenInByte = 3400
; NumSgprs: 22
; NumVgprs: 43
; ScratchSize: 0
; MemoryBound: 0
; FloatMode: 240
; IeeeMode: 1
; LDSByteSize: 0 bytes/workgroup (compile time only)
; SGPRBlocks: 2
; VGPRBlocks: 5
; NumSGPRsForWavesPerEU: 22
; NumVGPRsForWavesPerEU: 43
; Occupancy: 16
; WaveLimiterHint : 0
; COMPUTE_PGM_RSRC2:SCRATCH_EN: 0
; COMPUTE_PGM_RSRC2:USER_SGPR: 15
; COMPUTE_PGM_RSRC2:TRAP_HANDLER: 0
; COMPUTE_PGM_RSRC2:TGID_X_EN: 1
; COMPUTE_PGM_RSRC2:TGID_Y_EN: 0
; COMPUTE_PGM_RSRC2:TGID_Z_EN: 0
; COMPUTE_PGM_RSRC2:TIDIG_COMP_CNT: 0
	.section	.text._ZN2at6native12_GLOBAL__N_125multi_tensor_apply_kernelINS1_18TensorListMetadataILi2EEENS1_11CopyFunctorIaN3c1011Float8_e5m2ELi2ELi1ELi1EEEJNS0_4CopyIaS7_EEEEEvT_T0_DpT1_,"axG",@progbits,_ZN2at6native12_GLOBAL__N_125multi_tensor_apply_kernelINS1_18TensorListMetadataILi2EEENS1_11CopyFunctorIaN3c1011Float8_e5m2ELi2ELi1ELi1EEEJNS0_4CopyIaS7_EEEEEvT_T0_DpT1_,comdat
	.globl	_ZN2at6native12_GLOBAL__N_125multi_tensor_apply_kernelINS1_18TensorListMetadataILi2EEENS1_11CopyFunctorIaN3c1011Float8_e5m2ELi2ELi1ELi1EEEJNS0_4CopyIaS7_EEEEEvT_T0_DpT1_ ; -- Begin function _ZN2at6native12_GLOBAL__N_125multi_tensor_apply_kernelINS1_18TensorListMetadataILi2EEENS1_11CopyFunctorIaN3c1011Float8_e5m2ELi2ELi1ELi1EEEJNS0_4CopyIaS7_EEEEEvT_T0_DpT1_
	.p2align	8
	.type	_ZN2at6native12_GLOBAL__N_125multi_tensor_apply_kernelINS1_18TensorListMetadataILi2EEENS1_11CopyFunctorIaN3c1011Float8_e5m2ELi2ELi1ELi1EEEJNS0_4CopyIaS7_EEEEEvT_T0_DpT1_,@function
_ZN2at6native12_GLOBAL__N_125multi_tensor_apply_kernelINS1_18TensorListMetadataILi2EEENS1_11CopyFunctorIaN3c1011Float8_e5m2ELi2ELi1ELi1EEEJNS0_4CopyIaS7_EEEEEvT_T0_DpT1_: ; @_ZN2at6native12_GLOBAL__N_125multi_tensor_apply_kernelINS1_18TensorListMetadataILi2EEENS1_11CopyFunctorIaN3c1011Float8_e5m2ELi2ELi1ELi1EEEJNS0_4CopyIaS7_EEEEEvT_T0_DpT1_
; %bb.0:
	v_mov_b32_e32 v1, s15
	s_add_u32 s2, s0, s15
	s_mul_i32 s4, s15, 3
	s_addc_u32 s3, s1, 0
	s_mul_hi_u32 s5, s15, 3
	global_load_u8 v1, v1, s[0:1] offset:1536
	s_add_u32 s2, s2, s4
	s_addc_u32 s3, s3, s5
	s_load_b32 s2, s[2:3], 0x740
	s_waitcnt vmcnt(0)
	v_readfirstlane_b32 s4, v1
	s_delay_alu instid0(VALU_DEP_1)
	s_lshl_b32 s3, s4, 3
	s_clause 0x2
	s_load_b64 s[6:7], s[0:1], s3 offset:0x0
	s_load_b64 s[8:9], s[0:1], s3 offset:0x200
	;; [unrolled: 1-line block ×3, first 2 shown]
	s_waitcnt lgkmcnt(0)
	s_ashr_i32 s3, s2, 31
	s_delay_alu instid0(SALU_CYCLE_1) | instskip(NEXT) | instid1(SALU_CYCLE_1)
	s_lshl_b64 s[10:11], s[2:3], 16
	s_add_u32 s14, s6, s10
	s_addc_u32 s15, s7, s11
	s_add_u32 s12, s8, s10
	s_addc_u32 s13, s9, s11
	s_delay_alu instid0(SALU_CYCLE_1) | instskip(NEXT) | instid1(SALU_CYCLE_1)
	s_or_b64 s[2:3], s[4:5], s[12:13]
	s_or_b32 s2, s14, s2
	s_delay_alu instid0(SALU_CYCLE_1)
	s_and_b32 s2, s2, 3
	s_sub_u32 s4, s4, s10
	s_subb_u32 s5, s5, s11
	s_cmp_eq_u32 s2, 0
	s_mov_b32 s2, -1
	s_cbranch_scc0 .LBB186_5
; %bb.1:
	v_dual_mov_b32 v2, 0 :: v_dual_lshlrev_b32 v1, 2, v0
	s_mov_b32 s16, exec_lo
	s_delay_alu instid0(VALU_DEP_1)
	v_cmpx_gt_i64_e64 s[4:5], v[1:2]
	s_cbranch_execz .LBB186_4
; %bb.2:
	s_load_b32 s2, s[0:1], 0xc5c
	s_mov_b32 s17, 0
	s_mov_b32 s19, 0xfe00000
	s_waitcnt lgkmcnt(0)
	s_and_b32 s2, s2, 0xffff
	s_delay_alu instid0(SALU_CYCLE_1)
	s_lshl_b32 s18, s2, 2
.LBB186_3:                              ; =>This Inner Loop Header: Depth=1
	v_add_co_u32 v3, vcc_lo, s14, v1
	v_add_co_ci_u32_e32 v4, vcc_lo, s15, v2, vcc_lo
	global_load_b32 v5, v[3:4], off
	v_add_co_u32 v3, vcc_lo, s12, v1
	v_add_co_ci_u32_e32 v4, vcc_lo, s13, v2, vcc_lo
	s_waitcnt vmcnt(0)
	v_lshlrev_b16 v6, 8, v5
	v_and_or_b32 v10, 0x7f00, v5, 0.5
	v_lshlrev_b32_e32 v7, 25, v5
	v_lshrrev_b32_e32 v16, 3, v5
	v_lshrrev_b32_e32 v12, 8, v5
	;; [unrolled: 1-line block ×3, first 2 shown]
	v_add_f32_e32 v10, -0.5, v10
	v_lshrrev_b32_e32 v17, 4, v7
	v_and_or_b32 v18, 0x7f00, v6, 0.5
	v_lshlrev_b32_e32 v9, 13, v5
	v_and_or_b32 v16, v16, s19, 0x70000000
	v_lshlrev_b32_e32 v13, 5, v5
	v_or_b32_e32 v17, 0x70000000, v17
	v_lshlrev_b32_e32 v19, 17, v12
	v_and_or_b32 v12, 0x7f00, v12, 0.5
	v_add_f32_e32 v18, -0.5, v18
	v_and_or_b32 v9, v9, s19, 0x70000000
	v_lshlrev_b32_e32 v20, 17, v15
	v_and_or_b32 v15, 0x7f00, v15, 0.5
	v_lshlrev_b32_e32 v8, 17, v5
	v_mul_f32_e32 v16, 0x7800000, v16
	v_and_or_b32 v13, v13, s19, 0x70000000
	v_dual_add_f32 v12, -0.5, v12 :: v_dual_lshlrev_b32 v11, 16, v5
	v_mul_f32_e32 v9, 0x7800000, v9
	v_add_f32_e32 v15, -0.5, v15
	s_delay_alu instid0(VALU_DEP_4)
	v_mul_f32_e32 v13, 0x7800000, v13
	v_cmp_gt_u32_e64 s3, 0x8000000, v8
	v_mul_f32_e32 v8, 0x7800000, v17
	v_cmp_gt_u32_e32 vcc_lo, 0x8000000, v19
	v_cmp_gt_u32_e64 s2, 0x8000000, v20
	v_bfe_i32 v6, v6, 0, 16
	v_cndmask_b32_e64 v9, v9, v10, s3
	v_cndmask_b32_e32 v10, v13, v12, vcc_lo
	v_cmp_gt_u32_e32 vcc_lo, 0x8000000, v7
	v_lshlrev_b32_e32 v14, 8, v5
	v_cndmask_b32_e64 v12, v16, v15, s2
	v_cndmask_b32_e32 v7, v8, v18, vcc_lo
	v_and_or_b32 v8, 0x80000000, v11, v9
	s_delay_alu instid0(VALU_DEP_4) | instskip(NEXT) | instid1(VALU_DEP_4)
	v_and_or_b32 v9, 0x80000000, v14, v10
	v_and_or_b32 v5, 0x80000000, v5, v12
	v_add_co_u32 v1, vcc_lo, s18, v1
	v_and_or_b32 v6, 0x80000000, v6, v7
	v_cvt_i32_f32_e32 v7, v8
	v_cvt_i32_f32_e32 v8, v9
	;; [unrolled: 1-line block ×3, first 2 shown]
	v_add_co_ci_u32_e32 v2, vcc_lo, 0, v2, vcc_lo
	v_cvt_i32_f32_e32 v6, v6
	v_lshlrev_b16 v7, 8, v7
	s_delay_alu instid0(VALU_DEP_4) | instskip(SKIP_4) | instid1(VALU_DEP_4)
	v_lshlrev_b16 v5, 8, v5
	v_and_b32_e32 v8, 0xff, v8
	v_cmp_le_i64_e32 vcc_lo, s[4:5], v[1:2]
	v_and_b32_e32 v6, 0xff, v6
	v_cmp_lt_u64_e64 s2, 0xffff, v[1:2]
	v_or_b32_e32 v5, v8, v5
	s_delay_alu instid0(VALU_DEP_3) | instskip(NEXT) | instid1(VALU_DEP_3)
	v_or_b32_e32 v6, v6, v7
	s_or_b32 s2, vcc_lo, s2
	s_delay_alu instid0(VALU_DEP_2) | instskip(SKIP_1) | instid1(VALU_DEP_2)
	v_lshlrev_b32_e32 v5, 16, v5
	s_and_b32 s2, exec_lo, s2
	v_and_b32_e32 v6, 0xffff, v6
	s_or_b32 s17, s2, s17
	s_delay_alu instid0(VALU_DEP_1)
	v_or_b32_e32 v5, v6, v5
	global_store_b32 v[3:4], v5, off
	s_and_not1_b32 exec_lo, exec_lo, s17
	s_cbranch_execnz .LBB186_3
.LBB186_4:
	s_or_b32 exec_lo, exec_lo, s16
	s_mov_b32 s2, 0
.LBB186_5:
	s_delay_alu instid0(SALU_CYCLE_1)
	s_and_not1_b32 vcc_lo, exec_lo, s2
	s_cbranch_vccnz .LBB186_25
; %bb.6:
	v_cmp_lt_i64_e64 s2, s[4:5], 1
	s_delay_alu instid0(VALU_DEP_1)
	s_and_b32 vcc_lo, exec_lo, s2
	s_cbranch_vccnz .LBB186_25
; %bb.7:
	s_load_b32 s0, s[0:1], 0xc5c
	v_add_co_u32 v1, s1, s10, v0
	s_delay_alu instid0(VALU_DEP_1) | instskip(SKIP_1) | instid1(VALU_DEP_3)
	v_add_co_ci_u32_e64 v2, null, s11, 0, s1
	v_cmp_gt_u64_e64 s1, 0x10000, s[4:5]
	v_add_co_u32 v9, vcc_lo, s6, v1
	s_delay_alu instid0(VALU_DEP_3)
	v_add_co_ci_u32_e32 v10, vcc_lo, s7, v2, vcc_lo
	v_add_co_u32 v11, vcc_lo, s8, v1
	v_add_co_ci_u32_e32 v12, vcc_lo, s9, v2, vcc_lo
                                        ; implicit-def: $vgpr31
                                        ; implicit-def: $vgpr32
                                        ; implicit-def: $vgpr33
                                        ; implicit-def: $vgpr34
	s_waitcnt lgkmcnt(0)
	s_and_b32 s0, s0, 0xffff
	s_and_b32 s1, s1, exec_lo
	s_mul_i32 s13, s0, 3
	s_cselect_b32 s3, s5, 0
	s_cselect_b32 s2, s4, 0x10000
	s_lshl_b32 s12, s0, 1
	s_lshl_b32 s1, s0, 2
	s_add_u32 s14, s10, s13
	s_addc_u32 s15, s11, 0
	v_add_co_u32 v3, s14, s14, v0
	s_delay_alu instid0(VALU_DEP_1) | instskip(SKIP_1) | instid1(VALU_DEP_2)
	v_add_co_ci_u32_e64 v4, null, s15, 0, s14
	s_add_u32 s10, s10, s12
	v_add_co_u32 v13, vcc_lo, s6, v3
	s_delay_alu instid0(VALU_DEP_2)
	v_add_co_ci_u32_e32 v14, vcc_lo, s7, v4, vcc_lo
	v_add_co_u32 v15, vcc_lo, s8, v3
	s_addc_u32 s11, s11, 0
	v_add_co_u32 v3, s10, s10, v0
	v_add_co_ci_u32_e32 v16, vcc_lo, s9, v4, vcc_lo
	v_add_co_ci_u32_e64 v4, null, s11, 0, s10
	s_delay_alu instid0(VALU_DEP_3) | instskip(SKIP_1) | instid1(VALU_DEP_3)
	v_add_co_u32 v19, vcc_lo, s6, v3
	v_add_co_u32 v17, s10, s13, v0
	v_add_co_ci_u32_e32 v20, vcc_lo, s7, v4, vcc_lo
	v_add_co_u32 v21, vcc_lo, s8, v3
	v_add_co_ci_u32_e32 v22, vcc_lo, s9, v4, vcc_lo
	v_add_co_u32 v1, vcc_lo, v1, s0
	v_add_co_ci_u32_e32 v2, vcc_lo, 0, v2, vcc_lo
	v_add_co_ci_u32_e64 v18, null, 0, 0, s10
	s_delay_alu instid0(VALU_DEP_3) | instskip(NEXT) | instid1(VALU_DEP_3)
	v_add_co_u32 v25, vcc_lo, s6, v1
	v_add_co_ci_u32_e32 v26, vcc_lo, s7, v2, vcc_lo
	v_add_co_u32 v23, s10, s12, v0
	v_add_co_u32 v27, vcc_lo, s8, v1
	v_add_co_u32 v29, s0, v0, s0
	v_add_co_ci_u32_e64 v24, null, 0, 0, s10
	v_add_co_ci_u32_e32 v28, vcc_lo, s9, v2, vcc_lo
	v_add_co_ci_u32_e64 v30, null, 0, 0, s0
	s_mov_b64 s[6:7], 0
	s_branch .LBB186_9
.LBB186_8:                              ;   in Loop: Header=BB186_9 Depth=1
	s_or_b32 exec_lo, exec_lo, s0
	s_add_u32 s6, s6, s1
	s_addc_u32 s7, s7, 0
	s_delay_alu instid0(SALU_CYCLE_1) | instskip(SKIP_1) | instid1(VALU_DEP_1)
	v_cmp_ge_i64_e64 s0, s[6:7], s[4:5]
	v_cmp_lt_u64_e64 s8, 0xffff, s[6:7]
	s_or_b32 s0, s0, s8
	s_delay_alu instid0(SALU_CYCLE_1)
	s_and_b32 vcc_lo, exec_lo, s0
	s_cbranch_vccnz .LBB186_25
.LBB186_9:                              ; =>This Inner Loop Header: Depth=1
	v_add_co_u32 v7, s0, v0, s6
	s_delay_alu instid0(VALU_DEP_1) | instskip(NEXT) | instid1(VALU_DEP_1)
	v_add_co_ci_u32_e64 v8, null, 0, s7, s0
	v_cmp_gt_i64_e32 vcc_lo, s[4:5], v[7:8]
	v_cmp_gt_u64_e64 s0, 0x10000, v[7:8]
	s_delay_alu instid0(VALU_DEP_1) | instskip(NEXT) | instid1(SALU_CYCLE_1)
	s_and_b32 s8, vcc_lo, s0
	s_and_saveexec_b32 s0, s8
	s_cbranch_execz .LBB186_11
; %bb.10:                               ;   in Loop: Header=BB186_9 Depth=1
	v_add_co_u32 v1, vcc_lo, v9, s6
	v_add_co_ci_u32_e32 v2, vcc_lo, s7, v10, vcc_lo
	global_load_u8 v34, v[1:2], off
.LBB186_11:                             ;   in Loop: Header=BB186_9 Depth=1
	s_or_b32 exec_lo, exec_lo, s0
	v_add_co_u32 v5, vcc_lo, v29, s6
	v_add_co_ci_u32_e32 v6, vcc_lo, s7, v30, vcc_lo
	s_delay_alu instid0(VALU_DEP_1) | instskip(SKIP_1) | instid1(VALU_DEP_1)
	v_cmp_gt_i64_e32 vcc_lo, s[4:5], v[5:6]
	v_cmp_gt_u64_e64 s0, 0x10000, v[5:6]
	s_and_b32 s8, vcc_lo, s0
	s_delay_alu instid0(SALU_CYCLE_1)
	s_and_saveexec_b32 s0, s8
	s_cbranch_execz .LBB186_13
; %bb.12:                               ;   in Loop: Header=BB186_9 Depth=1
	v_add_co_u32 v1, vcc_lo, v25, s6
	v_add_co_ci_u32_e32 v2, vcc_lo, s7, v26, vcc_lo
	global_load_u8 v33, v[1:2], off
.LBB186_13:                             ;   in Loop: Header=BB186_9 Depth=1
	s_or_b32 exec_lo, exec_lo, s0
	v_add_co_u32 v3, vcc_lo, v23, s6
	v_add_co_ci_u32_e32 v4, vcc_lo, s7, v24, vcc_lo
	s_delay_alu instid0(VALU_DEP_1) | instskip(SKIP_1) | instid1(VALU_DEP_1)
	v_cmp_gt_i64_e32 vcc_lo, s[4:5], v[3:4]
	v_cmp_gt_u64_e64 s0, 0x10000, v[3:4]
	s_and_b32 s8, vcc_lo, s0
	s_delay_alu instid0(SALU_CYCLE_1)
	;; [unrolled: 15-line block ×3, first 2 shown]
	s_and_saveexec_b32 s0, s8
	s_cbranch_execnz .LBB186_20
; %bb.16:                               ;   in Loop: Header=BB186_9 Depth=1
	s_or_b32 exec_lo, exec_lo, s0
	s_delay_alu instid0(SALU_CYCLE_1)
	s_mov_b32 s0, exec_lo
	v_cmpx_gt_u64_e64 s[2:3], v[7:8]
	s_cbranch_execnz .LBB186_21
.LBB186_17:                             ;   in Loop: Header=BB186_9 Depth=1
	s_or_b32 exec_lo, exec_lo, s0
	s_delay_alu instid0(SALU_CYCLE_1)
	s_mov_b32 s0, exec_lo
	v_cmpx_gt_u64_e64 s[2:3], v[5:6]
	s_cbranch_execnz .LBB186_22
.LBB186_18:                             ;   in Loop: Header=BB186_9 Depth=1
	s_or_b32 exec_lo, exec_lo, s0
	s_delay_alu instid0(SALU_CYCLE_1)
	s_mov_b32 s0, exec_lo
	v_cmpx_gt_u64_e64 s[2:3], v[3:4]
	s_cbranch_execnz .LBB186_23
.LBB186_19:                             ;   in Loop: Header=BB186_9 Depth=1
	s_or_b32 exec_lo, exec_lo, s0
	s_delay_alu instid0(SALU_CYCLE_1)
	s_mov_b32 s0, exec_lo
	v_cmpx_gt_u64_e64 s[2:3], v[1:2]
	s_cbranch_execz .LBB186_8
	s_branch .LBB186_24
.LBB186_20:                             ;   in Loop: Header=BB186_9 Depth=1
	v_add_co_u32 v35, vcc_lo, v13, s6
	v_add_co_ci_u32_e32 v36, vcc_lo, s7, v14, vcc_lo
	global_load_u8 v31, v[35:36], off
	s_or_b32 exec_lo, exec_lo, s0
	s_delay_alu instid0(SALU_CYCLE_1)
	s_mov_b32 s0, exec_lo
	v_cmpx_gt_u64_e64 s[2:3], v[7:8]
	s_cbranch_execz .LBB186_17
.LBB186_21:                             ;   in Loop: Header=BB186_9 Depth=1
	s_waitcnt vmcnt(0)
	v_lshlrev_b16 v8, 8, v34
	s_delay_alu instid0(VALU_DEP_1) | instskip(SKIP_2) | instid1(VALU_DEP_3)
	v_and_or_b32 v36, 0x7f00, v8, 0.5
	v_lshlrev_b32_e32 v7, 25, v34
	v_bfe_i32 v8, v8, 0, 16
	v_add_f32_e32 v36, -0.5, v36
	s_delay_alu instid0(VALU_DEP_3) | instskip(SKIP_1) | instid1(VALU_DEP_2)
	v_lshrrev_b32_e32 v35, 4, v7
	v_cmp_gt_u32_e32 vcc_lo, 0x8000000, v7
	v_or_b32_e32 v35, 0x70000000, v35
	s_delay_alu instid0(VALU_DEP_1) | instskip(NEXT) | instid1(VALU_DEP_1)
	v_mul_f32_e32 v35, 0x7800000, v35
	v_cndmask_b32_e32 v7, v35, v36, vcc_lo
	s_delay_alu instid0(VALU_DEP_1) | instskip(NEXT) | instid1(VALU_DEP_1)
	v_and_or_b32 v7, 0x80000000, v8, v7
	v_cvt_i32_f32_e32 v35, v7
	v_add_co_u32 v7, vcc_lo, v11, s6
	v_add_co_ci_u32_e32 v8, vcc_lo, s7, v12, vcc_lo
	global_store_b8 v[7:8], v35, off
	s_or_b32 exec_lo, exec_lo, s0
	s_delay_alu instid0(SALU_CYCLE_1)
	s_mov_b32 s0, exec_lo
	v_cmpx_gt_u64_e64 s[2:3], v[5:6]
	s_cbranch_execz .LBB186_18
.LBB186_22:                             ;   in Loop: Header=BB186_9 Depth=1
	s_waitcnt vmcnt(0)
	v_lshlrev_b16 v6, 8, v33
	s_delay_alu instid0(VALU_DEP_1) | instskip(SKIP_2) | instid1(VALU_DEP_3)
	v_and_or_b32 v8, 0x7f00, v6, 0.5
	v_lshlrev_b32_e32 v5, 25, v33
	v_bfe_i32 v6, v6, 0, 16
	v_add_f32_e32 v8, -0.5, v8
	s_delay_alu instid0(VALU_DEP_3) | instskip(SKIP_1) | instid1(VALU_DEP_2)
	v_lshrrev_b32_e32 v7, 4, v5
	v_cmp_gt_u32_e32 vcc_lo, 0x8000000, v5
	v_or_b32_e32 v7, 0x70000000, v7
	s_delay_alu instid0(VALU_DEP_1) | instskip(NEXT) | instid1(VALU_DEP_1)
	v_mul_f32_e32 v7, 0x7800000, v7
	v_cndmask_b32_e32 v5, v7, v8, vcc_lo
	s_delay_alu instid0(VALU_DEP_1) | instskip(NEXT) | instid1(VALU_DEP_1)
	v_and_or_b32 v5, 0x80000000, v6, v5
	v_cvt_i32_f32_e32 v7, v5
	v_add_co_u32 v5, vcc_lo, v27, s6
	v_add_co_ci_u32_e32 v6, vcc_lo, s7, v28, vcc_lo
	global_store_b8 v[5:6], v7, off
	s_or_b32 exec_lo, exec_lo, s0
	s_delay_alu instid0(SALU_CYCLE_1)
	s_mov_b32 s0, exec_lo
	v_cmpx_gt_u64_e64 s[2:3], v[3:4]
	s_cbranch_execz .LBB186_19
.LBB186_23:                             ;   in Loop: Header=BB186_9 Depth=1
	s_waitcnt vmcnt(0)
	v_lshlrev_b16 v4, 8, v32
	s_delay_alu instid0(VALU_DEP_1) | instskip(SKIP_2) | instid1(VALU_DEP_3)
	v_and_or_b32 v6, 0x7f00, v4, 0.5
	v_lshlrev_b32_e32 v3, 25, v32
	v_bfe_i32 v4, v4, 0, 16
	v_add_f32_e32 v6, -0.5, v6
	s_delay_alu instid0(VALU_DEP_3) | instskip(SKIP_1) | instid1(VALU_DEP_2)
	v_lshrrev_b32_e32 v5, 4, v3
	v_cmp_gt_u32_e32 vcc_lo, 0x8000000, v3
	v_or_b32_e32 v5, 0x70000000, v5
	s_delay_alu instid0(VALU_DEP_1) | instskip(NEXT) | instid1(VALU_DEP_1)
	v_mul_f32_e32 v5, 0x7800000, v5
	v_cndmask_b32_e32 v3, v5, v6, vcc_lo
	s_delay_alu instid0(VALU_DEP_1) | instskip(NEXT) | instid1(VALU_DEP_1)
	v_and_or_b32 v3, 0x80000000, v4, v3
	v_cvt_i32_f32_e32 v5, v3
	v_add_co_u32 v3, vcc_lo, v21, s6
	v_add_co_ci_u32_e32 v4, vcc_lo, s7, v22, vcc_lo
	global_store_b8 v[3:4], v5, off
	s_or_b32 exec_lo, exec_lo, s0
	s_delay_alu instid0(SALU_CYCLE_1)
	s_mov_b32 s0, exec_lo
	v_cmpx_gt_u64_e64 s[2:3], v[1:2]
	s_cbranch_execz .LBB186_8
.LBB186_24:                             ;   in Loop: Header=BB186_9 Depth=1
	s_waitcnt vmcnt(0)
	v_lshlrev_b16 v2, 8, v31
	s_delay_alu instid0(VALU_DEP_1) | instskip(SKIP_2) | instid1(VALU_DEP_3)
	v_and_or_b32 v4, 0x7f00, v2, 0.5
	v_lshlrev_b32_e32 v1, 25, v31
	v_bfe_i32 v2, v2, 0, 16
	v_add_f32_e32 v4, -0.5, v4
	s_delay_alu instid0(VALU_DEP_3) | instskip(SKIP_1) | instid1(VALU_DEP_2)
	v_lshrrev_b32_e32 v3, 4, v1
	v_cmp_gt_u32_e32 vcc_lo, 0x8000000, v1
	v_or_b32_e32 v3, 0x70000000, v3
	s_delay_alu instid0(VALU_DEP_1) | instskip(NEXT) | instid1(VALU_DEP_1)
	v_mul_f32_e32 v3, 0x7800000, v3
	v_cndmask_b32_e32 v1, v3, v4, vcc_lo
	s_delay_alu instid0(VALU_DEP_1) | instskip(NEXT) | instid1(VALU_DEP_1)
	v_and_or_b32 v1, 0x80000000, v2, v1
	v_cvt_i32_f32_e32 v3, v1
	v_add_co_u32 v1, vcc_lo, v15, s6
	v_add_co_ci_u32_e32 v2, vcc_lo, s7, v16, vcc_lo
	global_store_b8 v[1:2], v3, off
	s_branch .LBB186_8
.LBB186_25:
	s_nop 0
	s_sendmsg sendmsg(MSG_DEALLOC_VGPRS)
	s_endpgm
	.section	.rodata,"a",@progbits
	.p2align	6, 0x0
	.amdhsa_kernel _ZN2at6native12_GLOBAL__N_125multi_tensor_apply_kernelINS1_18TensorListMetadataILi2EEENS1_11CopyFunctorIaN3c1011Float8_e5m2ELi2ELi1ELi1EEEJNS0_4CopyIaS7_EEEEEvT_T0_DpT1_
		.amdhsa_group_segment_fixed_size 0
		.amdhsa_private_segment_fixed_size 0
		.amdhsa_kernarg_size 3408
		.amdhsa_user_sgpr_count 15
		.amdhsa_user_sgpr_dispatch_ptr 0
		.amdhsa_user_sgpr_queue_ptr 0
		.amdhsa_user_sgpr_kernarg_segment_ptr 1
		.amdhsa_user_sgpr_dispatch_id 0
		.amdhsa_user_sgpr_private_segment_size 0
		.amdhsa_wavefront_size32 1
		.amdhsa_uses_dynamic_stack 0
		.amdhsa_enable_private_segment 0
		.amdhsa_system_sgpr_workgroup_id_x 1
		.amdhsa_system_sgpr_workgroup_id_y 0
		.amdhsa_system_sgpr_workgroup_id_z 0
		.amdhsa_system_sgpr_workgroup_info 0
		.amdhsa_system_vgpr_workitem_id 0
		.amdhsa_next_free_vgpr 37
		.amdhsa_next_free_sgpr 20
		.amdhsa_reserve_vcc 1
		.amdhsa_float_round_mode_32 0
		.amdhsa_float_round_mode_16_64 0
		.amdhsa_float_denorm_mode_32 3
		.amdhsa_float_denorm_mode_16_64 3
		.amdhsa_dx10_clamp 1
		.amdhsa_ieee_mode 1
		.amdhsa_fp16_overflow 0
		.amdhsa_workgroup_processor_mode 1
		.amdhsa_memory_ordered 1
		.amdhsa_forward_progress 0
		.amdhsa_shared_vgpr_count 0
		.amdhsa_exception_fp_ieee_invalid_op 0
		.amdhsa_exception_fp_denorm_src 0
		.amdhsa_exception_fp_ieee_div_zero 0
		.amdhsa_exception_fp_ieee_overflow 0
		.amdhsa_exception_fp_ieee_underflow 0
		.amdhsa_exception_fp_ieee_inexact 0
		.amdhsa_exception_int_div_zero 0
	.end_amdhsa_kernel
	.section	.text._ZN2at6native12_GLOBAL__N_125multi_tensor_apply_kernelINS1_18TensorListMetadataILi2EEENS1_11CopyFunctorIaN3c1011Float8_e5m2ELi2ELi1ELi1EEEJNS0_4CopyIaS7_EEEEEvT_T0_DpT1_,"axG",@progbits,_ZN2at6native12_GLOBAL__N_125multi_tensor_apply_kernelINS1_18TensorListMetadataILi2EEENS1_11CopyFunctorIaN3c1011Float8_e5m2ELi2ELi1ELi1EEEJNS0_4CopyIaS7_EEEEEvT_T0_DpT1_,comdat
.Lfunc_end186:
	.size	_ZN2at6native12_GLOBAL__N_125multi_tensor_apply_kernelINS1_18TensorListMetadataILi2EEENS1_11CopyFunctorIaN3c1011Float8_e5m2ELi2ELi1ELi1EEEJNS0_4CopyIaS7_EEEEEvT_T0_DpT1_, .Lfunc_end186-_ZN2at6native12_GLOBAL__N_125multi_tensor_apply_kernelINS1_18TensorListMetadataILi2EEENS1_11CopyFunctorIaN3c1011Float8_e5m2ELi2ELi1ELi1EEEJNS0_4CopyIaS7_EEEEEvT_T0_DpT1_
                                        ; -- End function
	.section	.AMDGPU.csdata,"",@progbits
; Kernel info:
; codeLenInByte = 2132
; NumSgprs: 22
; NumVgprs: 37
; ScratchSize: 0
; MemoryBound: 0
; FloatMode: 240
; IeeeMode: 1
; LDSByteSize: 0 bytes/workgroup (compile time only)
; SGPRBlocks: 2
; VGPRBlocks: 4
; NumSGPRsForWavesPerEU: 22
; NumVGPRsForWavesPerEU: 37
; Occupancy: 16
; WaveLimiterHint : 0
; COMPUTE_PGM_RSRC2:SCRATCH_EN: 0
; COMPUTE_PGM_RSRC2:USER_SGPR: 15
; COMPUTE_PGM_RSRC2:TRAP_HANDLER: 0
; COMPUTE_PGM_RSRC2:TGID_X_EN: 1
; COMPUTE_PGM_RSRC2:TGID_Y_EN: 0
; COMPUTE_PGM_RSRC2:TGID_Z_EN: 0
; COMPUTE_PGM_RSRC2:TIDIG_COMP_CNT: 0
	.section	.text._ZN2at6native12_GLOBAL__N_125multi_tensor_apply_kernelINS1_18TensorListMetadataILi2EEENS1_11CopyFunctorIaN3c1015Float8_e5m2fnuzELi2ELi1ELi1EEEJNS0_4CopyIaS7_EEEEEvT_T0_DpT1_,"axG",@progbits,_ZN2at6native12_GLOBAL__N_125multi_tensor_apply_kernelINS1_18TensorListMetadataILi2EEENS1_11CopyFunctorIaN3c1015Float8_e5m2fnuzELi2ELi1ELi1EEEJNS0_4CopyIaS7_EEEEEvT_T0_DpT1_,comdat
	.globl	_ZN2at6native12_GLOBAL__N_125multi_tensor_apply_kernelINS1_18TensorListMetadataILi2EEENS1_11CopyFunctorIaN3c1015Float8_e5m2fnuzELi2ELi1ELi1EEEJNS0_4CopyIaS7_EEEEEvT_T0_DpT1_ ; -- Begin function _ZN2at6native12_GLOBAL__N_125multi_tensor_apply_kernelINS1_18TensorListMetadataILi2EEENS1_11CopyFunctorIaN3c1015Float8_e5m2fnuzELi2ELi1ELi1EEEJNS0_4CopyIaS7_EEEEEvT_T0_DpT1_
	.p2align	8
	.type	_ZN2at6native12_GLOBAL__N_125multi_tensor_apply_kernelINS1_18TensorListMetadataILi2EEENS1_11CopyFunctorIaN3c1015Float8_e5m2fnuzELi2ELi1ELi1EEEJNS0_4CopyIaS7_EEEEEvT_T0_DpT1_,@function
_ZN2at6native12_GLOBAL__N_125multi_tensor_apply_kernelINS1_18TensorListMetadataILi2EEENS1_11CopyFunctorIaN3c1015Float8_e5m2fnuzELi2ELi1ELi1EEEJNS0_4CopyIaS7_EEEEEvT_T0_DpT1_: ; @_ZN2at6native12_GLOBAL__N_125multi_tensor_apply_kernelINS1_18TensorListMetadataILi2EEENS1_11CopyFunctorIaN3c1015Float8_e5m2fnuzELi2ELi1ELi1EEEJNS0_4CopyIaS7_EEEEEvT_T0_DpT1_
; %bb.0:
	v_mov_b32_e32 v1, s15
	s_add_u32 s2, s0, s15
	s_mul_i32 s4, s15, 3
	s_addc_u32 s3, s1, 0
	s_mul_hi_u32 s5, s15, 3
	global_load_u8 v1, v1, s[0:1] offset:1536
	s_add_u32 s2, s2, s4
	s_addc_u32 s3, s3, s5
	s_load_b32 s2, s[2:3], 0x740
	s_waitcnt vmcnt(0)
	v_readfirstlane_b32 s4, v1
	s_delay_alu instid0(VALU_DEP_1)
	s_lshl_b32 s3, s4, 3
	s_clause 0x2
	s_load_b64 s[6:7], s[0:1], s3 offset:0x0
	s_load_b64 s[8:9], s[0:1], s3 offset:0x200
	;; [unrolled: 1-line block ×3, first 2 shown]
	s_waitcnt lgkmcnt(0)
	s_ashr_i32 s3, s2, 31
	s_delay_alu instid0(SALU_CYCLE_1) | instskip(NEXT) | instid1(SALU_CYCLE_1)
	s_lshl_b64 s[10:11], s[2:3], 16
	s_add_u32 s3, s6, s10
	s_addc_u32 s14, s7, s11
	s_add_u32 s12, s8, s10
	s_addc_u32 s13, s9, s11
	s_delay_alu instid0(SALU_CYCLE_1) | instskip(NEXT) | instid1(SALU_CYCLE_1)
	s_or_b64 s[16:17], s[4:5], s[12:13]
	s_or_b32 s2, s3, s16
	s_delay_alu instid0(SALU_CYCLE_1)
	s_and_b32 s2, s2, 3
	s_sub_u32 s4, s4, s10
	s_subb_u32 s5, s5, s11
	s_cmp_eq_u32 s2, 0
	s_mov_b32 s2, -1
	s_cbranch_scc0 .LBB187_29
; %bb.1:
	v_dual_mov_b32 v2, 0 :: v_dual_lshlrev_b32 v1, 2, v0
	s_mov_b32 s15, exec_lo
	s_delay_alu instid0(VALU_DEP_1)
	v_cmpx_gt_i64_e64 s[4:5], v[1:2]
	s_cbranch_execz .LBB187_28
; %bb.2:
	s_load_b32 s2, s[0:1], 0xc5c
	s_mov_b32 s17, 0
	s_waitcnt lgkmcnt(0)
	s_and_b32 s2, s2, 0xffff
	s_delay_alu instid0(SALU_CYCLE_1)
	s_lshl_b32 s16, s2, 2
	s_branch .LBB187_4
.LBB187_3:                              ;   in Loop: Header=BB187_4 Depth=1
	s_or_b32 exec_lo, exec_lo, s18
	v_add_co_u32 v3, vcc_lo, s12, v1
	v_lshlrev_b16 v5, 8, v5
	v_and_b32_e32 v7, 0xff, v4
	v_lshlrev_b16 v8, 8, v8
	v_and_b32_e32 v6, 0xff, v6
	v_add_co_ci_u32_e32 v4, vcc_lo, s13, v2, vcc_lo
	v_add_co_u32 v1, vcc_lo, s16, v1
	v_add_co_ci_u32_e32 v2, vcc_lo, 0, v2, vcc_lo
	v_or_b32_e32 v5, v7, v5
	v_or_b32_e32 v6, v6, v8
	s_delay_alu instid0(VALU_DEP_3) | instskip(SKIP_1) | instid1(VALU_DEP_4)
	v_cmp_le_i64_e32 vcc_lo, s[4:5], v[1:2]
	v_cmp_lt_u64_e64 s2, 0xffff, v[1:2]
	v_and_b32_e32 v5, 0xffff, v5
	s_delay_alu instid0(VALU_DEP_4) | instskip(NEXT) | instid1(VALU_DEP_3)
	v_lshlrev_b32_e32 v6, 16, v6
	s_or_b32 s2, vcc_lo, s2
	s_delay_alu instid0(VALU_DEP_1) | instskip(SKIP_1) | instid1(SALU_CYCLE_1)
	v_or_b32_e32 v5, v5, v6
	s_and_b32 s2, exec_lo, s2
	s_or_b32 s17, s2, s17
	global_store_b32 v[3:4], v5, off
	s_and_not1_b32 exec_lo, exec_lo, s17
	s_cbranch_execz .LBB187_28
.LBB187_4:                              ; =>This Inner Loop Header: Depth=1
	v_add_co_u32 v3, vcc_lo, s3, v1
	v_add_co_ci_u32_e32 v4, vcc_lo, s14, v2, vcc_lo
	s_mov_b32 s2, 0
	s_mov_b32 s18, exec_lo
                                        ; implicit-def: $sgpr19
	global_load_b32 v3, v[3:4], off
	s_waitcnt vmcnt(0)
	v_and_b32_e32 v5, 0xff, v3
	s_delay_alu instid0(VALU_DEP_1)
	v_cmpx_lt_i16_e32 0x7f, v5
	s_xor_b32 s18, exec_lo, s18
	s_cbranch_execnz .LBB187_19
; %bb.5:                                ;   in Loop: Header=BB187_4 Depth=1
	s_or_saveexec_b32 s18, s18
	v_mov_b32_e32 v4, s19
	s_xor_b32 exec_lo, exec_lo, s18
	s_cbranch_execnz .LBB187_20
.LBB187_6:                              ;   in Loop: Header=BB187_4 Depth=1
	s_or_b32 exec_lo, exec_lo, s18
	s_and_saveexec_b32 s18, s2
	s_cbranch_execz .LBB187_8
.LBB187_7:                              ;   in Loop: Header=BB187_4 Depth=1
	v_bfe_u32 v7, v3, 2, 5
	v_lshlrev_b32_e32 v8, 24, v3
	s_delay_alu instid0(VALU_DEP_2) | instskip(SKIP_1) | instid1(VALU_DEP_1)
	v_cmp_eq_u32_e32 vcc_lo, 0, v7
	v_and_b32_e32 v4, 3, v3
	v_clz_i32_u32_e32 v5, v4
	s_delay_alu instid0(VALU_DEP_1) | instskip(NEXT) | instid1(VALU_DEP_1)
	v_min_u32_e32 v5, 32, v5
	v_subrev_nc_u32_e32 v6, 29, v5
	v_sub_nc_u32_e32 v5, 30, v5
	s_delay_alu instid0(VALU_DEP_1) | instskip(NEXT) | instid1(VALU_DEP_1)
	v_dual_cndmask_b32 v5, v7, v5 :: v_dual_lshlrev_b32 v6, v6, v3
	v_and_b32_e32 v6, 3, v6
	s_delay_alu instid0(VALU_DEP_2) | instskip(NEXT) | instid1(VALU_DEP_2)
	v_lshl_add_u32 v5, v5, 23, 0x37800000
	v_cndmask_b32_e32 v4, v4, v6, vcc_lo
	v_and_b32_e32 v6, 0x80000000, v8
	s_delay_alu instid0(VALU_DEP_2) | instskip(NEXT) | instid1(VALU_DEP_1)
	v_lshlrev_b32_e32 v4, 21, v4
	v_or3_b32 v4, v6, v5, v4
	s_delay_alu instid0(VALU_DEP_1)
	v_cvt_i32_f32_e32 v4, v4
.LBB187_8:                              ;   in Loop: Header=BB187_4 Depth=1
	s_or_b32 exec_lo, exec_lo, s18
	v_lshrrev_b32_e32 v6, 8, v3
	s_mov_b32 s2, 0
	s_mov_b32 s18, exec_lo
                                        ; implicit-def: $sgpr19
	s_delay_alu instid0(VALU_DEP_1) | instskip(NEXT) | instid1(VALU_DEP_1)
	v_and_b32_e32 v7, 0xff, v6
	v_cmpx_lt_i16_e32 0x7f, v7
	s_xor_b32 s18, exec_lo, s18
	s_cbranch_execnz .LBB187_21
; %bb.9:                                ;   in Loop: Header=BB187_4 Depth=1
	s_or_saveexec_b32 s18, s18
	v_mov_b32_e32 v5, s19
	s_xor_b32 exec_lo, exec_lo, s18
	s_cbranch_execnz .LBB187_22
.LBB187_10:                             ;   in Loop: Header=BB187_4 Depth=1
	s_or_b32 exec_lo, exec_lo, s18
	s_and_saveexec_b32 s18, s2
	s_cbranch_execz .LBB187_12
.LBB187_11:                             ;   in Loop: Header=BB187_4 Depth=1
	v_bfe_u32 v5, v3, 8, 2
	v_bfe_u32 v9, v3, 10, 5
	s_delay_alu instid0(VALU_DEP_2) | instskip(NEXT) | instid1(VALU_DEP_2)
	v_clz_i32_u32_e32 v7, v5
	v_cmp_eq_u32_e32 vcc_lo, 0, v9
	s_delay_alu instid0(VALU_DEP_2) | instskip(NEXT) | instid1(VALU_DEP_1)
	v_min_u32_e32 v7, 32, v7
	v_subrev_nc_u32_e32 v8, 29, v7
	v_sub_nc_u32_e32 v7, 30, v7
	s_delay_alu instid0(VALU_DEP_1) | instskip(NEXT) | instid1(VALU_DEP_1)
	v_dual_cndmask_b32 v7, v9, v7 :: v_dual_lshlrev_b32 v8, v8, v6
	v_and_b32_e32 v8, 3, v8
	v_lshlrev_b32_e32 v6, 24, v6
	s_delay_alu instid0(VALU_DEP_3) | instskip(NEXT) | instid1(VALU_DEP_2)
	v_lshl_add_u32 v7, v7, 23, 0x37800000
	v_dual_cndmask_b32 v5, v5, v8 :: v_dual_and_b32 v6, 0x80000000, v6
	s_delay_alu instid0(VALU_DEP_1) | instskip(NEXT) | instid1(VALU_DEP_1)
	v_lshlrev_b32_e32 v5, 21, v5
	v_or3_b32 v5, v6, v7, v5
	s_delay_alu instid0(VALU_DEP_1)
	v_cvt_i32_f32_e32 v5, v5
.LBB187_12:                             ;   in Loop: Header=BB187_4 Depth=1
	s_or_b32 exec_lo, exec_lo, s18
	v_lshrrev_b32_e32 v7, 16, v3
	s_mov_b32 s2, 0
	s_mov_b32 s18, exec_lo
                                        ; implicit-def: $sgpr19
	s_delay_alu instid0(VALU_DEP_1) | instskip(NEXT) | instid1(VALU_DEP_1)
	v_and_b32_e32 v8, 0xff, v7
	v_cmpx_lt_i16_e32 0x7f, v8
	s_xor_b32 s18, exec_lo, s18
	s_cbranch_execnz .LBB187_23
; %bb.13:                               ;   in Loop: Header=BB187_4 Depth=1
	s_or_saveexec_b32 s18, s18
	v_mov_b32_e32 v6, s19
	s_xor_b32 exec_lo, exec_lo, s18
	s_cbranch_execnz .LBB187_24
.LBB187_14:                             ;   in Loop: Header=BB187_4 Depth=1
	s_or_b32 exec_lo, exec_lo, s18
	s_and_saveexec_b32 s18, s2
	s_cbranch_execz .LBB187_16
.LBB187_15:                             ;   in Loop: Header=BB187_4 Depth=1
	v_bfe_u32 v6, v3, 16, 2
	v_bfe_u32 v10, v3, 18, 5
	s_delay_alu instid0(VALU_DEP_2) | instskip(NEXT) | instid1(VALU_DEP_2)
	v_clz_i32_u32_e32 v8, v6
	v_cmp_eq_u32_e32 vcc_lo, 0, v10
	s_delay_alu instid0(VALU_DEP_2) | instskip(NEXT) | instid1(VALU_DEP_1)
	v_min_u32_e32 v8, 32, v8
	v_subrev_nc_u32_e32 v9, 29, v8
	v_sub_nc_u32_e32 v8, 30, v8
	s_delay_alu instid0(VALU_DEP_1) | instskip(NEXT) | instid1(VALU_DEP_1)
	v_dual_cndmask_b32 v8, v10, v8 :: v_dual_lshlrev_b32 v9, v9, v7
	v_and_b32_e32 v9, 3, v9
	v_lshlrev_b32_e32 v7, 24, v7
	s_delay_alu instid0(VALU_DEP_3) | instskip(NEXT) | instid1(VALU_DEP_2)
	v_lshl_add_u32 v8, v8, 23, 0x37800000
	v_dual_cndmask_b32 v6, v6, v9 :: v_dual_and_b32 v7, 0x80000000, v7
	s_delay_alu instid0(VALU_DEP_1) | instskip(NEXT) | instid1(VALU_DEP_1)
	v_lshlrev_b32_e32 v6, 21, v6
	v_or3_b32 v6, v7, v8, v6
	s_delay_alu instid0(VALU_DEP_1)
	v_cvt_i32_f32_e32 v6, v6
.LBB187_16:                             ;   in Loop: Header=BB187_4 Depth=1
	s_or_b32 exec_lo, exec_lo, s18
	v_lshrrev_b32_e32 v7, 24, v3
	s_mov_b32 s2, 0
	s_mov_b32 s18, exec_lo
                                        ; implicit-def: $sgpr19
	s_delay_alu instid0(VALU_DEP_1)
	v_cmpx_lt_i16_e32 0x7f, v7
	s_xor_b32 s18, exec_lo, s18
	s_cbranch_execnz .LBB187_25
; %bb.17:                               ;   in Loop: Header=BB187_4 Depth=1
	s_or_saveexec_b32 s18, s18
	v_mov_b32_e32 v8, s19
	s_xor_b32 exec_lo, exec_lo, s18
	s_cbranch_execnz .LBB187_26
.LBB187_18:                             ;   in Loop: Header=BB187_4 Depth=1
	s_or_b32 exec_lo, exec_lo, s18
	s_and_saveexec_b32 s18, s2
	s_cbranch_execz .LBB187_3
	s_branch .LBB187_27
.LBB187_19:                             ;   in Loop: Header=BB187_4 Depth=1
	v_cmp_ne_u16_e32 vcc_lo, 0x80, v5
	s_mov_b32 s19, 0
                                        ; implicit-def: $vgpr5
	s_and_b32 s2, vcc_lo, exec_lo
	s_or_saveexec_b32 s18, s18
	v_mov_b32_e32 v4, s19
	s_xor_b32 exec_lo, exec_lo, s18
	s_cbranch_execz .LBB187_6
.LBB187_20:                             ;   in Loop: Header=BB187_4 Depth=1
	v_cmp_ne_u16_e32 vcc_lo, 0, v5
	v_mov_b32_e32 v4, 0
	s_and_not1_b32 s2, s2, exec_lo
	s_and_b32 s19, vcc_lo, exec_lo
	s_delay_alu instid0(SALU_CYCLE_1)
	s_or_b32 s2, s2, s19
	s_or_b32 exec_lo, exec_lo, s18
	s_and_saveexec_b32 s18, s2
	s_cbranch_execnz .LBB187_7
	s_branch .LBB187_8
.LBB187_21:                             ;   in Loop: Header=BB187_4 Depth=1
	v_cmp_ne_u16_e32 vcc_lo, 0x80, v7
	s_mov_b32 s19, 0
                                        ; implicit-def: $vgpr7
	s_and_b32 s2, vcc_lo, exec_lo
	s_or_saveexec_b32 s18, s18
	v_mov_b32_e32 v5, s19
	s_xor_b32 exec_lo, exec_lo, s18
	s_cbranch_execz .LBB187_10
.LBB187_22:                             ;   in Loop: Header=BB187_4 Depth=1
	v_cmp_ne_u16_e32 vcc_lo, 0, v7
	v_mov_b32_e32 v5, 0
	s_and_not1_b32 s2, s2, exec_lo
	s_and_b32 s19, vcc_lo, exec_lo
	s_delay_alu instid0(SALU_CYCLE_1)
	s_or_b32 s2, s2, s19
	s_or_b32 exec_lo, exec_lo, s18
	s_and_saveexec_b32 s18, s2
	s_cbranch_execnz .LBB187_11
	s_branch .LBB187_12
.LBB187_23:                             ;   in Loop: Header=BB187_4 Depth=1
	v_cmp_ne_u16_e32 vcc_lo, 0x80, v8
	s_mov_b32 s19, 0
                                        ; implicit-def: $vgpr8
	s_and_b32 s2, vcc_lo, exec_lo
	s_or_saveexec_b32 s18, s18
	v_mov_b32_e32 v6, s19
	s_xor_b32 exec_lo, exec_lo, s18
	s_cbranch_execz .LBB187_14
.LBB187_24:                             ;   in Loop: Header=BB187_4 Depth=1
	v_cmp_ne_u16_e32 vcc_lo, 0, v8
	v_mov_b32_e32 v6, 0
	s_and_not1_b32 s2, s2, exec_lo
	s_and_b32 s19, vcc_lo, exec_lo
	s_delay_alu instid0(SALU_CYCLE_1)
	s_or_b32 s2, s2, s19
	s_or_b32 exec_lo, exec_lo, s18
	s_and_saveexec_b32 s18, s2
	s_cbranch_execnz .LBB187_15
	s_branch .LBB187_16
.LBB187_25:                             ;   in Loop: Header=BB187_4 Depth=1
	v_cmp_ne_u16_e32 vcc_lo, 0x80, v7
	s_mov_b32 s19, 0
	s_and_b32 s2, vcc_lo, exec_lo
	s_or_saveexec_b32 s18, s18
	v_mov_b32_e32 v8, s19
	s_xor_b32 exec_lo, exec_lo, s18
	s_cbranch_execz .LBB187_18
.LBB187_26:                             ;   in Loop: Header=BB187_4 Depth=1
	v_cmp_ne_u16_e32 vcc_lo, 0, v7
	v_mov_b32_e32 v8, 0
	s_and_not1_b32 s2, s2, exec_lo
	s_and_b32 s19, vcc_lo, exec_lo
	s_delay_alu instid0(SALU_CYCLE_1)
	s_or_b32 s2, s2, s19
	s_or_b32 exec_lo, exec_lo, s18
	s_and_saveexec_b32 s18, s2
	s_cbranch_execz .LBB187_3
.LBB187_27:                             ;   in Loop: Header=BB187_4 Depth=1
	v_bfe_u32 v8, v3, 24, 2
	s_delay_alu instid0(VALU_DEP_1) | instskip(NEXT) | instid1(VALU_DEP_1)
	v_clz_i32_u32_e32 v9, v8
	v_min_u32_e32 v9, 32, v9
	s_delay_alu instid0(VALU_DEP_1) | instskip(SKIP_1) | instid1(VALU_DEP_2)
	v_subrev_nc_u32_e32 v10, 29, v9
	v_sub_nc_u32_e32 v9, 30, v9
	v_lshlrev_b32_e32 v7, v10, v7
	v_bfe_u32 v10, v3, 26, 5
	v_and_b32_e32 v3, 0x80000000, v3
	s_delay_alu instid0(VALU_DEP_3) | instskip(NEXT) | instid1(VALU_DEP_3)
	v_and_b32_e32 v7, 3, v7
	v_cmp_eq_u32_e32 vcc_lo, 0, v10
	v_cndmask_b32_e32 v9, v10, v9, vcc_lo
	s_delay_alu instid0(VALU_DEP_3) | instskip(NEXT) | instid1(VALU_DEP_2)
	v_cndmask_b32_e32 v7, v8, v7, vcc_lo
	v_lshl_add_u32 v8, v9, 23, 0x37800000
	s_delay_alu instid0(VALU_DEP_2) | instskip(NEXT) | instid1(VALU_DEP_1)
	v_lshlrev_b32_e32 v7, 21, v7
	v_or3_b32 v3, v3, v8, v7
	s_delay_alu instid0(VALU_DEP_1)
	v_cvt_i32_f32_e32 v8, v3
	s_branch .LBB187_3
.LBB187_28:
	s_or_b32 exec_lo, exec_lo, s15
	s_mov_b32 s2, 0
.LBB187_29:
	s_delay_alu instid0(SALU_CYCLE_1)
	s_and_not1_b32 vcc_lo, exec_lo, s2
	s_cbranch_vccnz .LBB187_73
; %bb.30:
	v_cmp_lt_i64_e64 s2, s[4:5], 1
	s_delay_alu instid0(VALU_DEP_1)
	s_and_b32 vcc_lo, exec_lo, s2
	s_cbranch_vccnz .LBB187_73
; %bb.31:
	s_load_b32 s0, s[0:1], 0xc5c
	v_add_co_u32 v1, s1, s10, v0
	s_delay_alu instid0(VALU_DEP_1) | instskip(SKIP_1) | instid1(VALU_DEP_3)
	v_add_co_ci_u32_e64 v2, null, s11, 0, s1
	v_cmp_gt_u64_e64 s1, 0x10000, s[4:5]
	v_add_co_u32 v9, vcc_lo, s6, v1
	s_delay_alu instid0(VALU_DEP_3)
	v_add_co_ci_u32_e32 v10, vcc_lo, s7, v2, vcc_lo
	v_add_co_u32 v11, vcc_lo, s8, v1
	v_add_co_ci_u32_e32 v12, vcc_lo, s9, v2, vcc_lo
                                        ; implicit-def: $vgpr31
                                        ; implicit-def: $vgpr32
                                        ; implicit-def: $vgpr33
                                        ; implicit-def: $vgpr34
	s_waitcnt lgkmcnt(0)
	s_and_b32 s0, s0, 0xffff
	s_and_b32 s1, s1, exec_lo
	s_mul_i32 s13, s0, 3
	s_cselect_b32 s3, s5, 0
	s_cselect_b32 s2, s4, 0x10000
	s_lshl_b32 s12, s0, 1
	s_lshl_b32 s1, s0, 2
	s_add_u32 s14, s10, s13
	s_addc_u32 s15, s11, 0
	v_add_co_u32 v3, s14, s14, v0
	s_delay_alu instid0(VALU_DEP_1) | instskip(SKIP_1) | instid1(VALU_DEP_2)
	v_add_co_ci_u32_e64 v4, null, s15, 0, s14
	s_add_u32 s10, s10, s12
	v_add_co_u32 v13, vcc_lo, s6, v3
	s_delay_alu instid0(VALU_DEP_2)
	v_add_co_ci_u32_e32 v14, vcc_lo, s7, v4, vcc_lo
	v_add_co_u32 v15, vcc_lo, s8, v3
	s_addc_u32 s11, s11, 0
	v_add_co_u32 v3, s10, s10, v0
	v_add_co_ci_u32_e32 v16, vcc_lo, s9, v4, vcc_lo
	v_add_co_ci_u32_e64 v4, null, s11, 0, s10
	s_delay_alu instid0(VALU_DEP_3) | instskip(SKIP_1) | instid1(VALU_DEP_3)
	v_add_co_u32 v19, vcc_lo, s6, v3
	v_add_co_u32 v17, s10, s13, v0
	v_add_co_ci_u32_e32 v20, vcc_lo, s7, v4, vcc_lo
	v_add_co_u32 v21, vcc_lo, s8, v3
	v_add_co_ci_u32_e32 v22, vcc_lo, s9, v4, vcc_lo
	v_add_co_u32 v1, vcc_lo, v1, s0
	v_add_co_ci_u32_e32 v2, vcc_lo, 0, v2, vcc_lo
	v_add_co_ci_u32_e64 v18, null, 0, 0, s10
	s_delay_alu instid0(VALU_DEP_3) | instskip(NEXT) | instid1(VALU_DEP_3)
	v_add_co_u32 v25, vcc_lo, s6, v1
	v_add_co_ci_u32_e32 v26, vcc_lo, s7, v2, vcc_lo
	v_add_co_u32 v23, s10, s12, v0
	v_add_co_u32 v27, vcc_lo, s8, v1
	v_add_co_u32 v29, s0, v0, s0
	v_add_co_ci_u32_e64 v24, null, 0, 0, s10
	v_add_co_ci_u32_e32 v28, vcc_lo, s9, v2, vcc_lo
	v_add_co_ci_u32_e64 v30, null, 0, 0, s0
	s_mov_b64 s[6:7], 0
	s_branch .LBB187_33
.LBB187_32:                             ;   in Loop: Header=BB187_33 Depth=1
	s_or_b32 exec_lo, exec_lo, s0
	s_add_u32 s6, s6, s1
	s_addc_u32 s7, s7, 0
	s_delay_alu instid0(SALU_CYCLE_1) | instskip(SKIP_1) | instid1(VALU_DEP_1)
	v_cmp_ge_i64_e64 s0, s[6:7], s[4:5]
	v_cmp_lt_u64_e64 s8, 0xffff, s[6:7]
	s_or_b32 s0, s0, s8
	s_delay_alu instid0(SALU_CYCLE_1)
	s_and_b32 vcc_lo, exec_lo, s0
	s_cbranch_vccnz .LBB187_73
.LBB187_33:                             ; =>This Inner Loop Header: Depth=1
	v_add_co_u32 v1, s0, v0, s6
	s_delay_alu instid0(VALU_DEP_1) | instskip(NEXT) | instid1(VALU_DEP_1)
	v_add_co_ci_u32_e64 v2, null, 0, s7, s0
	v_cmp_gt_i64_e32 vcc_lo, s[4:5], v[1:2]
	v_cmp_gt_u64_e64 s0, 0x10000, v[1:2]
	s_delay_alu instid0(VALU_DEP_1) | instskip(NEXT) | instid1(SALU_CYCLE_1)
	s_and_b32 s8, vcc_lo, s0
	s_and_saveexec_b32 s0, s8
	s_cbranch_execz .LBB187_35
; %bb.34:                               ;   in Loop: Header=BB187_33 Depth=1
	v_add_co_u32 v3, vcc_lo, v9, s6
	v_add_co_ci_u32_e32 v4, vcc_lo, s7, v10, vcc_lo
	global_load_u8 v34, v[3:4], off
.LBB187_35:                             ;   in Loop: Header=BB187_33 Depth=1
	s_or_b32 exec_lo, exec_lo, s0
	v_add_co_u32 v3, vcc_lo, v29, s6
	v_add_co_ci_u32_e32 v4, vcc_lo, s7, v30, vcc_lo
	s_delay_alu instid0(VALU_DEP_1) | instskip(SKIP_1) | instid1(VALU_DEP_1)
	v_cmp_gt_i64_e32 vcc_lo, s[4:5], v[3:4]
	v_cmp_gt_u64_e64 s0, 0x10000, v[3:4]
	s_and_b32 s8, vcc_lo, s0
	s_delay_alu instid0(SALU_CYCLE_1)
	s_and_saveexec_b32 s0, s8
	s_cbranch_execz .LBB187_37
; %bb.36:                               ;   in Loop: Header=BB187_33 Depth=1
	v_add_co_u32 v5, vcc_lo, v25, s6
	v_add_co_ci_u32_e32 v6, vcc_lo, s7, v26, vcc_lo
	global_load_u8 v33, v[5:6], off
.LBB187_37:                             ;   in Loop: Header=BB187_33 Depth=1
	s_or_b32 exec_lo, exec_lo, s0
	v_add_co_u32 v5, vcc_lo, v23, s6
	v_add_co_ci_u32_e32 v6, vcc_lo, s7, v24, vcc_lo
	s_delay_alu instid0(VALU_DEP_1) | instskip(SKIP_1) | instid1(VALU_DEP_1)
	v_cmp_gt_i64_e32 vcc_lo, s[4:5], v[5:6]
	v_cmp_gt_u64_e64 s0, 0x10000, v[5:6]
	s_and_b32 s8, vcc_lo, s0
	s_delay_alu instid0(SALU_CYCLE_1)
	;; [unrolled: 15-line block ×3, first 2 shown]
	s_and_saveexec_b32 s0, s8
	s_cbranch_execz .LBB187_41
; %bb.40:                               ;   in Loop: Header=BB187_33 Depth=1
	v_add_co_u32 v35, vcc_lo, v13, s6
	v_add_co_ci_u32_e32 v36, vcc_lo, s7, v14, vcc_lo
	global_load_u8 v31, v[35:36], off
.LBB187_41:                             ;   in Loop: Header=BB187_33 Depth=1
	s_or_b32 exec_lo, exec_lo, s0
	s_waitcnt vmcnt(0)
	v_and_b32_e32 v36, 0xff, v34
	s_mov_b32 s0, 0
	s_mov_b32 s8, exec_lo
                                        ; implicit-def: $sgpr9
	s_delay_alu instid0(VALU_DEP_1)
	v_cmpx_lt_i16_e32 0x7f, v36
	s_xor_b32 s8, exec_lo, s8
	s_cbranch_execnz .LBB187_61
; %bb.42:                               ;   in Loop: Header=BB187_33 Depth=1
	s_or_saveexec_b32 s8, s8
	v_mov_b32_e32 v35, s9
	s_xor_b32 exec_lo, exec_lo, s8
	s_cbranch_execnz .LBB187_62
.LBB187_43:                             ;   in Loop: Header=BB187_33 Depth=1
	s_or_b32 exec_lo, exec_lo, s8
	s_and_saveexec_b32 s8, s0
	s_cbranch_execz .LBB187_45
.LBB187_44:                             ;   in Loop: Header=BB187_33 Depth=1
	v_lshrrev_b16 v38, 2, v34
	v_lshlrev_b32_e32 v39, 24, v34
	s_delay_alu instid0(VALU_DEP_2) | instskip(NEXT) | instid1(VALU_DEP_1)
	v_and_b32_e32 v38, 31, v38
	v_cmp_eq_u32_e32 vcc_lo, 0, v38
	v_and_b32_e32 v35, 3, v34
	s_delay_alu instid0(VALU_DEP_1) | instskip(NEXT) | instid1(VALU_DEP_1)
	v_clz_i32_u32_e32 v36, v35
	v_min_u32_e32 v36, 32, v36
	s_delay_alu instid0(VALU_DEP_1) | instskip(SKIP_1) | instid1(VALU_DEP_1)
	v_subrev_nc_u32_e32 v37, 29, v36
	v_sub_nc_u32_e32 v36, 30, v36
	v_dual_cndmask_b32 v36, v38, v36 :: v_dual_lshlrev_b32 v37, v37, v34
	s_delay_alu instid0(VALU_DEP_1) | instskip(NEXT) | instid1(VALU_DEP_2)
	v_and_b32_e32 v37, 3, v37
	v_lshl_add_u32 v36, v36, 23, 0x37800000
	s_delay_alu instid0(VALU_DEP_2) | instskip(SKIP_1) | instid1(VALU_DEP_2)
	v_cndmask_b32_e32 v35, v35, v37, vcc_lo
	v_and_b32_e32 v37, 0x80000000, v39
	v_lshlrev_b32_e32 v35, 21, v35
	s_delay_alu instid0(VALU_DEP_1) | instskip(NEXT) | instid1(VALU_DEP_1)
	v_or3_b32 v35, v37, v36, v35
	v_cvt_i32_f32_e32 v35, v35
.LBB187_45:                             ;   in Loop: Header=BB187_33 Depth=1
	s_or_b32 exec_lo, exec_lo, s8
	v_and_b32_e32 v37, 0xff, v33
	s_mov_b32 s0, 0
	s_mov_b32 s8, exec_lo
                                        ; implicit-def: $sgpr9
	s_delay_alu instid0(VALU_DEP_1)
	v_cmpx_lt_i16_e32 0x7f, v37
	s_xor_b32 s8, exec_lo, s8
	s_cbranch_execnz .LBB187_63
; %bb.46:                               ;   in Loop: Header=BB187_33 Depth=1
	s_or_saveexec_b32 s8, s8
	v_mov_b32_e32 v36, s9
	s_xor_b32 exec_lo, exec_lo, s8
	s_cbranch_execnz .LBB187_64
.LBB187_47:                             ;   in Loop: Header=BB187_33 Depth=1
	s_or_b32 exec_lo, exec_lo, s8
	s_and_saveexec_b32 s8, s0
	s_cbranch_execz .LBB187_49
.LBB187_48:                             ;   in Loop: Header=BB187_33 Depth=1
	v_and_b32_e32 v36, 3, v33
	v_lshrrev_b16 v39, 2, v33
	v_lshlrev_b32_e32 v40, 24, v33
	s_delay_alu instid0(VALU_DEP_3) | instskip(NEXT) | instid1(VALU_DEP_1)
	v_clz_i32_u32_e32 v37, v36
	v_min_u32_e32 v37, 32, v37
	s_delay_alu instid0(VALU_DEP_1) | instskip(SKIP_1) | instid1(VALU_DEP_2)
	v_subrev_nc_u32_e32 v38, 29, v37
	v_sub_nc_u32_e32 v37, 30, v37
	v_lshlrev_b32_e32 v38, v38, v33
	s_delay_alu instid0(VALU_DEP_1) | instskip(SKIP_1) | instid1(VALU_DEP_1)
	v_and_b32_e32 v38, 3, v38
	v_and_b32_e32 v39, 31, v39
	v_cmp_eq_u32_e32 vcc_lo, 0, v39
	s_delay_alu instid0(VALU_DEP_3) | instskip(SKIP_1) | instid1(VALU_DEP_2)
	v_dual_cndmask_b32 v36, v36, v38 :: v_dual_cndmask_b32 v37, v39, v37
	v_and_b32_e32 v38, 0x80000000, v40
	v_lshlrev_b32_e32 v36, 21, v36
	s_delay_alu instid0(VALU_DEP_3) | instskip(NEXT) | instid1(VALU_DEP_1)
	v_lshl_add_u32 v37, v37, 23, 0x37800000
	v_or3_b32 v36, v38, v37, v36
	s_delay_alu instid0(VALU_DEP_1)
	v_cvt_i32_f32_e32 v36, v36
.LBB187_49:                             ;   in Loop: Header=BB187_33 Depth=1
	s_or_b32 exec_lo, exec_lo, s8
	v_and_b32_e32 v38, 0xff, v32
	s_mov_b32 s0, 0
	s_mov_b32 s8, exec_lo
                                        ; implicit-def: $sgpr9
	s_delay_alu instid0(VALU_DEP_1)
	v_cmpx_lt_i16_e32 0x7f, v38
	s_xor_b32 s8, exec_lo, s8
	s_cbranch_execnz .LBB187_65
; %bb.50:                               ;   in Loop: Header=BB187_33 Depth=1
	s_or_saveexec_b32 s8, s8
	v_mov_b32_e32 v37, s9
	s_xor_b32 exec_lo, exec_lo, s8
	s_cbranch_execnz .LBB187_66
.LBB187_51:                             ;   in Loop: Header=BB187_33 Depth=1
	s_or_b32 exec_lo, exec_lo, s8
	s_and_saveexec_b32 s8, s0
	s_cbranch_execz .LBB187_53
.LBB187_52:                             ;   in Loop: Header=BB187_33 Depth=1
	v_lshrrev_b16 v40, 2, v32
	v_lshlrev_b32_e32 v41, 24, v32
	s_delay_alu instid0(VALU_DEP_2) | instskip(NEXT) | instid1(VALU_DEP_1)
	v_and_b32_e32 v40, 31, v40
	v_cmp_eq_u32_e32 vcc_lo, 0, v40
	v_and_b32_e32 v37, 3, v32
	s_delay_alu instid0(VALU_DEP_1) | instskip(NEXT) | instid1(VALU_DEP_1)
	v_clz_i32_u32_e32 v38, v37
	v_min_u32_e32 v38, 32, v38
	s_delay_alu instid0(VALU_DEP_1) | instskip(SKIP_1) | instid1(VALU_DEP_1)
	v_subrev_nc_u32_e32 v39, 29, v38
	v_sub_nc_u32_e32 v38, 30, v38
	v_dual_cndmask_b32 v38, v40, v38 :: v_dual_lshlrev_b32 v39, v39, v32
	s_delay_alu instid0(VALU_DEP_1) | instskip(NEXT) | instid1(VALU_DEP_2)
	v_and_b32_e32 v39, 3, v39
	v_lshl_add_u32 v38, v38, 23, 0x37800000
	s_delay_alu instid0(VALU_DEP_2) | instskip(SKIP_1) | instid1(VALU_DEP_2)
	v_cndmask_b32_e32 v37, v37, v39, vcc_lo
	v_and_b32_e32 v39, 0x80000000, v41
	v_lshlrev_b32_e32 v37, 21, v37
	s_delay_alu instid0(VALU_DEP_1) | instskip(NEXT) | instid1(VALU_DEP_1)
	v_or3_b32 v37, v39, v38, v37
	v_cvt_i32_f32_e32 v37, v37
.LBB187_53:                             ;   in Loop: Header=BB187_33 Depth=1
	s_or_b32 exec_lo, exec_lo, s8
	v_and_b32_e32 v39, 0xff, v31
	s_mov_b32 s0, 0
	s_mov_b32 s8, exec_lo
                                        ; implicit-def: $sgpr9
	s_delay_alu instid0(VALU_DEP_1)
	v_cmpx_lt_i16_e32 0x7f, v39
	s_xor_b32 s8, exec_lo, s8
	s_cbranch_execnz .LBB187_67
; %bb.54:                               ;   in Loop: Header=BB187_33 Depth=1
	s_or_saveexec_b32 s8, s8
	v_mov_b32_e32 v38, s9
	s_xor_b32 exec_lo, exec_lo, s8
	s_cbranch_execnz .LBB187_68
.LBB187_55:                             ;   in Loop: Header=BB187_33 Depth=1
	s_or_b32 exec_lo, exec_lo, s8
	s_and_saveexec_b32 s8, s0
	s_cbranch_execz .LBB187_57
.LBB187_56:                             ;   in Loop: Header=BB187_33 Depth=1
	v_and_b32_e32 v38, 3, v31
	v_lshrrev_b16 v41, 2, v31
	v_lshlrev_b32_e32 v42, 24, v31
	s_delay_alu instid0(VALU_DEP_3) | instskip(NEXT) | instid1(VALU_DEP_1)
	v_clz_i32_u32_e32 v39, v38
	v_min_u32_e32 v39, 32, v39
	s_delay_alu instid0(VALU_DEP_1) | instskip(SKIP_1) | instid1(VALU_DEP_2)
	v_subrev_nc_u32_e32 v40, 29, v39
	v_sub_nc_u32_e32 v39, 30, v39
	v_lshlrev_b32_e32 v40, v40, v31
	s_delay_alu instid0(VALU_DEP_1) | instskip(SKIP_1) | instid1(VALU_DEP_1)
	v_and_b32_e32 v40, 3, v40
	v_and_b32_e32 v41, 31, v41
	v_cmp_eq_u32_e32 vcc_lo, 0, v41
	s_delay_alu instid0(VALU_DEP_3) | instskip(SKIP_1) | instid1(VALU_DEP_2)
	v_dual_cndmask_b32 v38, v38, v40 :: v_dual_cndmask_b32 v39, v41, v39
	v_and_b32_e32 v40, 0x80000000, v42
	v_lshlrev_b32_e32 v38, 21, v38
	s_delay_alu instid0(VALU_DEP_3) | instskip(NEXT) | instid1(VALU_DEP_1)
	v_lshl_add_u32 v39, v39, 23, 0x37800000
	v_or3_b32 v38, v40, v39, v38
	s_delay_alu instid0(VALU_DEP_1)
	v_cvt_i32_f32_e32 v38, v38
.LBB187_57:                             ;   in Loop: Header=BB187_33 Depth=1
	s_or_b32 exec_lo, exec_lo, s8
	s_delay_alu instid0(SALU_CYCLE_1)
	s_mov_b32 s0, exec_lo
	v_cmpx_gt_u64_e64 s[2:3], v[1:2]
	s_xor_b32 s0, exec_lo, s0
	s_cbranch_execnz .LBB187_69
; %bb.58:                               ;   in Loop: Header=BB187_33 Depth=1
	s_or_b32 exec_lo, exec_lo, s0
	s_delay_alu instid0(SALU_CYCLE_1)
	s_mov_b32 s0, exec_lo
	v_cmpx_gt_u64_e64 s[2:3], v[3:4]
	s_cbranch_execnz .LBB187_70
.LBB187_59:                             ;   in Loop: Header=BB187_33 Depth=1
	s_or_b32 exec_lo, exec_lo, s0
	s_delay_alu instid0(SALU_CYCLE_1)
	s_mov_b32 s0, exec_lo
	v_cmpx_gt_u64_e64 s[2:3], v[5:6]
	s_cbranch_execnz .LBB187_71
.LBB187_60:                             ;   in Loop: Header=BB187_33 Depth=1
	s_or_b32 exec_lo, exec_lo, s0
	s_delay_alu instid0(SALU_CYCLE_1)
	s_mov_b32 s0, exec_lo
	v_cmpx_gt_u64_e64 s[2:3], v[7:8]
	s_cbranch_execz .LBB187_32
	s_branch .LBB187_72
.LBB187_61:                             ;   in Loop: Header=BB187_33 Depth=1
	v_cmp_ne_u16_e32 vcc_lo, 0x80, v36
	s_mov_b32 s9, 0
                                        ; implicit-def: $vgpr36
	s_and_b32 s0, vcc_lo, exec_lo
	s_or_saveexec_b32 s8, s8
	v_mov_b32_e32 v35, s9
	s_xor_b32 exec_lo, exec_lo, s8
	s_cbranch_execz .LBB187_43
.LBB187_62:                             ;   in Loop: Header=BB187_33 Depth=1
	v_cmp_ne_u16_e32 vcc_lo, 0, v36
	v_mov_b32_e32 v35, 0
	s_and_not1_b32 s0, s0, exec_lo
	s_and_b32 s9, vcc_lo, exec_lo
	s_delay_alu instid0(SALU_CYCLE_1)
	s_or_b32 s0, s0, s9
	s_or_b32 exec_lo, exec_lo, s8
	s_and_saveexec_b32 s8, s0
	s_cbranch_execnz .LBB187_44
	s_branch .LBB187_45
.LBB187_63:                             ;   in Loop: Header=BB187_33 Depth=1
	v_cmp_ne_u16_e32 vcc_lo, 0x80, v37
	s_mov_b32 s9, 0
                                        ; implicit-def: $vgpr37
	s_and_b32 s0, vcc_lo, exec_lo
	s_or_saveexec_b32 s8, s8
	v_mov_b32_e32 v36, s9
	s_xor_b32 exec_lo, exec_lo, s8
	s_cbranch_execz .LBB187_47
.LBB187_64:                             ;   in Loop: Header=BB187_33 Depth=1
	v_cmp_ne_u16_e32 vcc_lo, 0, v37
	v_mov_b32_e32 v36, 0
	s_and_not1_b32 s0, s0, exec_lo
	s_and_b32 s9, vcc_lo, exec_lo
	s_delay_alu instid0(SALU_CYCLE_1)
	s_or_b32 s0, s0, s9
	s_or_b32 exec_lo, exec_lo, s8
	s_and_saveexec_b32 s8, s0
	s_cbranch_execnz .LBB187_48
	s_branch .LBB187_49
.LBB187_65:                             ;   in Loop: Header=BB187_33 Depth=1
	v_cmp_ne_u16_e32 vcc_lo, 0x80, v38
	s_mov_b32 s9, 0
                                        ; implicit-def: $vgpr38
	s_and_b32 s0, vcc_lo, exec_lo
	s_or_saveexec_b32 s8, s8
	v_mov_b32_e32 v37, s9
	s_xor_b32 exec_lo, exec_lo, s8
	s_cbranch_execz .LBB187_51
.LBB187_66:                             ;   in Loop: Header=BB187_33 Depth=1
	v_cmp_ne_u16_e32 vcc_lo, 0, v38
	v_mov_b32_e32 v37, 0
	s_and_not1_b32 s0, s0, exec_lo
	s_and_b32 s9, vcc_lo, exec_lo
	s_delay_alu instid0(SALU_CYCLE_1)
	s_or_b32 s0, s0, s9
	s_or_b32 exec_lo, exec_lo, s8
	s_and_saveexec_b32 s8, s0
	s_cbranch_execnz .LBB187_52
	s_branch .LBB187_53
.LBB187_67:                             ;   in Loop: Header=BB187_33 Depth=1
	v_cmp_ne_u16_e32 vcc_lo, 0x80, v39
	s_mov_b32 s9, 0
                                        ; implicit-def: $vgpr39
	s_and_b32 s0, vcc_lo, exec_lo
	s_or_saveexec_b32 s8, s8
	v_mov_b32_e32 v38, s9
	s_xor_b32 exec_lo, exec_lo, s8
	s_cbranch_execz .LBB187_55
.LBB187_68:                             ;   in Loop: Header=BB187_33 Depth=1
	v_cmp_ne_u16_e32 vcc_lo, 0, v39
	v_mov_b32_e32 v38, 0
	s_and_not1_b32 s0, s0, exec_lo
	s_and_b32 s9, vcc_lo, exec_lo
	s_delay_alu instid0(SALU_CYCLE_1)
	s_or_b32 s0, s0, s9
	s_or_b32 exec_lo, exec_lo, s8
	s_and_saveexec_b32 s8, s0
	s_cbranch_execnz .LBB187_56
	s_branch .LBB187_57
.LBB187_69:                             ;   in Loop: Header=BB187_33 Depth=1
	v_add_co_u32 v1, vcc_lo, v11, s6
	v_add_co_ci_u32_e32 v2, vcc_lo, s7, v12, vcc_lo
	global_store_b8 v[1:2], v35, off
	s_or_b32 exec_lo, exec_lo, s0
	s_delay_alu instid0(SALU_CYCLE_1)
	s_mov_b32 s0, exec_lo
	v_cmpx_gt_u64_e64 s[2:3], v[3:4]
	s_cbranch_execz .LBB187_59
.LBB187_70:                             ;   in Loop: Header=BB187_33 Depth=1
	v_add_co_u32 v1, vcc_lo, v27, s6
	v_add_co_ci_u32_e32 v2, vcc_lo, s7, v28, vcc_lo
	global_store_b8 v[1:2], v36, off
	s_or_b32 exec_lo, exec_lo, s0
	s_delay_alu instid0(SALU_CYCLE_1)
	s_mov_b32 s0, exec_lo
	v_cmpx_gt_u64_e64 s[2:3], v[5:6]
	s_cbranch_execz .LBB187_60
.LBB187_71:                             ;   in Loop: Header=BB187_33 Depth=1
	v_add_co_u32 v1, vcc_lo, v21, s6
	v_add_co_ci_u32_e32 v2, vcc_lo, s7, v22, vcc_lo
	global_store_b8 v[1:2], v37, off
	s_or_b32 exec_lo, exec_lo, s0
	s_delay_alu instid0(SALU_CYCLE_1)
	s_mov_b32 s0, exec_lo
	v_cmpx_gt_u64_e64 s[2:3], v[7:8]
	s_cbranch_execz .LBB187_32
.LBB187_72:                             ;   in Loop: Header=BB187_33 Depth=1
	v_add_co_u32 v1, vcc_lo, v15, s6
	v_add_co_ci_u32_e32 v2, vcc_lo, s7, v16, vcc_lo
	global_store_b8 v[1:2], v38, off
	s_branch .LBB187_32
.LBB187_73:
	s_nop 0
	s_sendmsg sendmsg(MSG_DEALLOC_VGPRS)
	s_endpgm
	.section	.rodata,"a",@progbits
	.p2align	6, 0x0
	.amdhsa_kernel _ZN2at6native12_GLOBAL__N_125multi_tensor_apply_kernelINS1_18TensorListMetadataILi2EEENS1_11CopyFunctorIaN3c1015Float8_e5m2fnuzELi2ELi1ELi1EEEJNS0_4CopyIaS7_EEEEEvT_T0_DpT1_
		.amdhsa_group_segment_fixed_size 0
		.amdhsa_private_segment_fixed_size 0
		.amdhsa_kernarg_size 3408
		.amdhsa_user_sgpr_count 15
		.amdhsa_user_sgpr_dispatch_ptr 0
		.amdhsa_user_sgpr_queue_ptr 0
		.amdhsa_user_sgpr_kernarg_segment_ptr 1
		.amdhsa_user_sgpr_dispatch_id 0
		.amdhsa_user_sgpr_private_segment_size 0
		.amdhsa_wavefront_size32 1
		.amdhsa_uses_dynamic_stack 0
		.amdhsa_enable_private_segment 0
		.amdhsa_system_sgpr_workgroup_id_x 1
		.amdhsa_system_sgpr_workgroup_id_y 0
		.amdhsa_system_sgpr_workgroup_id_z 0
		.amdhsa_system_sgpr_workgroup_info 0
		.amdhsa_system_vgpr_workitem_id 0
		.amdhsa_next_free_vgpr 43
		.amdhsa_next_free_sgpr 20
		.amdhsa_reserve_vcc 1
		.amdhsa_float_round_mode_32 0
		.amdhsa_float_round_mode_16_64 0
		.amdhsa_float_denorm_mode_32 3
		.amdhsa_float_denorm_mode_16_64 3
		.amdhsa_dx10_clamp 1
		.amdhsa_ieee_mode 1
		.amdhsa_fp16_overflow 0
		.amdhsa_workgroup_processor_mode 1
		.amdhsa_memory_ordered 1
		.amdhsa_forward_progress 0
		.amdhsa_shared_vgpr_count 0
		.amdhsa_exception_fp_ieee_invalid_op 0
		.amdhsa_exception_fp_denorm_src 0
		.amdhsa_exception_fp_ieee_div_zero 0
		.amdhsa_exception_fp_ieee_overflow 0
		.amdhsa_exception_fp_ieee_underflow 0
		.amdhsa_exception_fp_ieee_inexact 0
		.amdhsa_exception_int_div_zero 0
	.end_amdhsa_kernel
	.section	.text._ZN2at6native12_GLOBAL__N_125multi_tensor_apply_kernelINS1_18TensorListMetadataILi2EEENS1_11CopyFunctorIaN3c1015Float8_e5m2fnuzELi2ELi1ELi1EEEJNS0_4CopyIaS7_EEEEEvT_T0_DpT1_,"axG",@progbits,_ZN2at6native12_GLOBAL__N_125multi_tensor_apply_kernelINS1_18TensorListMetadataILi2EEENS1_11CopyFunctorIaN3c1015Float8_e5m2fnuzELi2ELi1ELi1EEEJNS0_4CopyIaS7_EEEEEvT_T0_DpT1_,comdat
.Lfunc_end187:
	.size	_ZN2at6native12_GLOBAL__N_125multi_tensor_apply_kernelINS1_18TensorListMetadataILi2EEENS1_11CopyFunctorIaN3c1015Float8_e5m2fnuzELi2ELi1ELi1EEEJNS0_4CopyIaS7_EEEEEvT_T0_DpT1_, .Lfunc_end187-_ZN2at6native12_GLOBAL__N_125multi_tensor_apply_kernelINS1_18TensorListMetadataILi2EEENS1_11CopyFunctorIaN3c1015Float8_e5m2fnuzELi2ELi1ELi1EEEJNS0_4CopyIaS7_EEEEEvT_T0_DpT1_
                                        ; -- End function
	.section	.AMDGPU.csdata,"",@progbits
; Kernel info:
; codeLenInByte = 3400
; NumSgprs: 22
; NumVgprs: 43
; ScratchSize: 0
; MemoryBound: 0
; FloatMode: 240
; IeeeMode: 1
; LDSByteSize: 0 bytes/workgroup (compile time only)
; SGPRBlocks: 2
; VGPRBlocks: 5
; NumSGPRsForWavesPerEU: 22
; NumVGPRsForWavesPerEU: 43
; Occupancy: 16
; WaveLimiterHint : 0
; COMPUTE_PGM_RSRC2:SCRATCH_EN: 0
; COMPUTE_PGM_RSRC2:USER_SGPR: 15
; COMPUTE_PGM_RSRC2:TRAP_HANDLER: 0
; COMPUTE_PGM_RSRC2:TGID_X_EN: 1
; COMPUTE_PGM_RSRC2:TGID_Y_EN: 0
; COMPUTE_PGM_RSRC2:TGID_Z_EN: 0
; COMPUTE_PGM_RSRC2:TIDIG_COMP_CNT: 0
	.section	.text._ZN2at6native12_GLOBAL__N_125multi_tensor_apply_kernelINS1_18TensorListMetadataILi2EEENS1_11CopyFunctorIihLi2ELi1ELi1EEEJNS0_4CopyIihEEEEEvT_T0_DpT1_,"axG",@progbits,_ZN2at6native12_GLOBAL__N_125multi_tensor_apply_kernelINS1_18TensorListMetadataILi2EEENS1_11CopyFunctorIihLi2ELi1ELi1EEEJNS0_4CopyIihEEEEEvT_T0_DpT1_,comdat
	.globl	_ZN2at6native12_GLOBAL__N_125multi_tensor_apply_kernelINS1_18TensorListMetadataILi2EEENS1_11CopyFunctorIihLi2ELi1ELi1EEEJNS0_4CopyIihEEEEEvT_T0_DpT1_ ; -- Begin function _ZN2at6native12_GLOBAL__N_125multi_tensor_apply_kernelINS1_18TensorListMetadataILi2EEENS1_11CopyFunctorIihLi2ELi1ELi1EEEJNS0_4CopyIihEEEEEvT_T0_DpT1_
	.p2align	8
	.type	_ZN2at6native12_GLOBAL__N_125multi_tensor_apply_kernelINS1_18TensorListMetadataILi2EEENS1_11CopyFunctorIihLi2ELi1ELi1EEEJNS0_4CopyIihEEEEEvT_T0_DpT1_,@function
_ZN2at6native12_GLOBAL__N_125multi_tensor_apply_kernelINS1_18TensorListMetadataILi2EEENS1_11CopyFunctorIihLi2ELi1ELi1EEEJNS0_4CopyIihEEEEEvT_T0_DpT1_: ; @_ZN2at6native12_GLOBAL__N_125multi_tensor_apply_kernelINS1_18TensorListMetadataILi2EEENS1_11CopyFunctorIihLi2ELi1ELi1EEEJNS0_4CopyIihEEEEEvT_T0_DpT1_
; %bb.0:
	v_mov_b32_e32 v1, s15
	s_add_u32 s2, s0, s15
	s_mul_hi_u32 s3, s15, 3
	s_mul_i32 s15, s15, 3
	s_addc_u32 s4, s1, 0
	global_load_u8 v1, v1, s[0:1] offset:1536
	s_add_u32 s2, s2, s15
	s_addc_u32 s3, s4, s3
	s_mov_b32 s15, 0
	s_load_b32 s10, s[2:3], 0x740
	s_mov_b32 s17, s15
	s_waitcnt lgkmcnt(0)
	s_ashr_i32 s11, s10, 31
	s_delay_alu instid0(SALU_CYCLE_1) | instskip(SKIP_2) | instid1(VALU_DEP_1)
	s_lshl_b64 s[8:9], s[10:11], 16
	s_waitcnt vmcnt(0)
	v_readfirstlane_b32 s5, v1
	s_lshl_b32 s2, s5, 3
	s_clause 0x2
	s_load_b64 s[6:7], s[0:1], s2 offset:0x0
	s_load_b64 s[12:13], s[0:1], s2 offset:0x200
	;; [unrolled: 1-line block ×3, first 2 shown]
	s_waitcnt lgkmcnt(0)
	s_add_u32 s3, s6, s8
	s_addc_u32 s18, s7, s9
	s_and_b32 s2, s12, 15
	s_and_b32 s16, s4, 3
	;; [unrolled: 1-line block ×3, first 2 shown]
	s_or_b32 s16, s16, s2
	s_mov_b32 s2, -1
	s_or_b64 s[14:15], s[14:15], s[16:17]
	s_sub_u32 s4, s4, s8
	s_subb_u32 s5, s5, s9
	s_cmp_eq_u64 s[14:15], 0
	s_cbranch_scc0 .LBB188_5
; %bb.1:
	v_dual_mov_b32 v2, 0 :: v_dual_lshlrev_b32 v1, 2, v0
	s_mov_b32 s19, exec_lo
	s_delay_alu instid0(VALU_DEP_1)
	v_cmpx_gt_i64_e64 s[4:5], v[1:2]
	s_cbranch_execz .LBB188_4
; %bb.2:
	s_load_b32 s2, s[0:1], 0xc5c
	v_lshlrev_b32_e32 v2, 4, v0
	s_lshl_b64 s[16:17], s[10:11], 18
	s_waitcnt lgkmcnt(0)
	s_and_b32 s2, s2, 0xffff
	s_delay_alu instid0(SALU_CYCLE_1) | instskip(SKIP_3) | instid1(VALU_DEP_1)
	s_lshl_b32 s14, s2, 2
	s_add_u32 s15, s12, s16
	s_addc_u32 s16, s13, s17
	v_add_co_u32 v2, s15, s15, v2
	v_add_co_ci_u32_e64 v3, null, s16, 0, s15
	s_mov_b32 s15, 0
	s_delay_alu instid0(VALU_DEP_2) | instskip(NEXT) | instid1(VALU_DEP_2)
	v_add_co_u32 v2, vcc_lo, v2, 8
	v_add_co_ci_u32_e32 v3, vcc_lo, 0, v3, vcc_lo
	s_lshl_b32 s20, s2, 4
	s_mov_b64 s[16:17], s[14:15]
	s_set_inst_prefetch_distance 0x1
	.p2align	6
.LBB188_3:                              ; =>This Inner Loop Header: Depth=1
	v_add_co_u32 v4, s2, s3, v1
	s_delay_alu instid0(VALU_DEP_1) | instskip(SKIP_2) | instid1(VALU_DEP_1)
	v_add_co_ci_u32_e64 v5, null, s18, 0, s2
	global_load_b32 v6, v[4:5], off
	v_add_co_u32 v4, s2, v1, s16
	v_add_co_ci_u32_e64 v5, null, 0, s17, s2
	s_delay_alu instid0(VALU_DEP_1) | instskip(SKIP_1) | instid1(VALU_DEP_1)
	v_cmp_le_i64_e32 vcc_lo, s[4:5], v[4:5]
	v_cmp_lt_u64_e64 s2, 0xffff, v[4:5]
	s_or_b32 s2, vcc_lo, s2
	s_add_u32 s16, s16, s14
	s_addc_u32 s17, s17, 0
	s_add_u32 s3, s3, s14
	s_addc_u32 s18, s18, 0
	s_and_b32 s2, exec_lo, s2
	s_delay_alu instid0(SALU_CYCLE_1)
	s_or_b32 s15, s2, s15
	s_waitcnt vmcnt(0)
	v_lshrrev_b16 v5, 8, v6
	v_lshrrev_b32_e32 v7, 24, v6
	v_and_b32_e32 v4, 0xff, v6
	v_bfe_u32 v6, v6, 16, 8
	s_delay_alu instid0(VALU_DEP_4)
	v_and_b32_e32 v5, 0xffff, v5
	global_store_b128 v[2:3], v[4:7], off offset:-8
	v_add_co_u32 v2, vcc_lo, v2, s20
	v_add_co_ci_u32_e32 v3, vcc_lo, 0, v3, vcc_lo
	s_and_not1_b32 exec_lo, exec_lo, s15
	s_cbranch_execnz .LBB188_3
.LBB188_4:
	s_set_inst_prefetch_distance 0x2
	s_or_b32 exec_lo, exec_lo, s19
	s_mov_b32 s2, 0
.LBB188_5:
	s_delay_alu instid0(SALU_CYCLE_1)
	s_and_not1_b32 vcc_lo, exec_lo, s2
	s_cbranch_vccnz .LBB188_25
; %bb.6:
	v_cmp_lt_i64_e64 s2, s[4:5], 1
	s_delay_alu instid0(VALU_DEP_1)
	s_and_b32 vcc_lo, exec_lo, s2
	s_cbranch_vccnz .LBB188_25
; %bb.7:
	s_load_b32 s0, s[0:1], 0xc5c
	v_cmp_gt_u64_e64 s1, 0x10000, s[4:5]
	v_add_co_u32 v3, s2, s8, v0
	v_lshlrev_b32_e32 v1, 2, v0
	v_add_co_ci_u32_e64 v4, null, s9, 0, s2
	s_delay_alu instid0(VALU_DEP_3) | instskip(NEXT) | instid1(VALU_DEP_2)
	v_add_co_u32 v13, vcc_lo, s6, v3
                                        ; implicit-def: $vgpr27
                                        ; implicit-def: $vgpr28
                                        ; implicit-def: $vgpr29
                                        ; implicit-def: $vgpr30
	v_add_co_ci_u32_e32 v14, vcc_lo, s7, v4, vcc_lo
	s_waitcnt lgkmcnt(0)
	s_and_b32 s0, s0, 0xffff
	s_and_b32 s1, s1, exec_lo
	s_cselect_b32 s3, s5, 0
	s_cselect_b32 s2, s4, 0x10000
	s_lshl_b64 s[10:11], s[10:11], 18
	s_lshl_b32 s14, s0, 1
	s_lshl_b32 s1, s0, 2
	s_add_u32 s12, s12, s10
	s_mul_i32 s15, s0, 3
	s_addc_u32 s11, s13, s11
	s_lshl_b32 s10, s0, 4
	v_add_co_u32 v1, s16, s12, v1
	s_add_u32 s13, s8, s15
	v_add_co_ci_u32_e64 v2, null, s11, 0, s16
	s_addc_u32 s16, s9, 0
	s_add_u32 s13, s6, s13
	s_addc_u32 s16, s7, s16
	s_add_u32 s8, s8, s14
	;; [unrolled: 2-line block ×3, first 2 shown]
	s_addc_u32 s9, s7, s9
	v_add_co_u32 v19, s8, s8, v0
	s_delay_alu instid0(VALU_DEP_1) | instskip(SKIP_1) | instid1(VALU_DEP_1)
	v_add_co_ci_u32_e64 v20, null, s9, 0, s8
	v_add_co_u32 v21, s9, s14, v0
	v_add_co_ci_u32_e64 v22, null, 0, 0, s9
	v_add_co_u32 v23, s9, v0, s0
	s_lshl_b32 s8, s0, 3
	v_add_co_u32 v15, s13, s13, v0
	s_delay_alu instid0(VALU_DEP_2)
	v_lshlrev_b32_e32 v5, 2, v23
	s_add_u32 s6, s6, s0
	v_add_co_ci_u32_e64 v16, null, s16, 0, s13
	v_add_co_u32 v17, s13, s15, v0
	s_addc_u32 s7, s7, 0
	v_add_co_u32 v25, vcc_lo, s6, v3
	v_add_co_u32 v3, s6, s12, v5
	v_add_co_ci_u32_e64 v18, null, 0, 0, s13
	v_add_co_ci_u32_e64 v24, null, 0, 0, s9
	v_add_co_ci_u32_e32 v26, vcc_lo, s7, v4, vcc_lo
	v_add_co_ci_u32_e64 v4, null, s11, 0, s6
	s_mul_i32 s9, s0, 12
	s_mov_b64 s[6:7], 0
	s_branch .LBB188_9
.LBB188_8:                              ;   in Loop: Header=BB188_9 Depth=1
	s_or_b32 exec_lo, exec_lo, s0
	s_add_u32 s6, s6, s1
	s_addc_u32 s7, s7, 0
	v_add_co_u32 v1, vcc_lo, v1, s10
	v_cmp_ge_i64_e64 s0, s[6:7], s[4:5]
	v_cmp_lt_u64_e64 s11, 0xffff, s[6:7]
	v_add_co_ci_u32_e32 v2, vcc_lo, 0, v2, vcc_lo
	v_add_co_u32 v3, vcc_lo, v3, s10
	v_add_co_ci_u32_e32 v4, vcc_lo, 0, v4, vcc_lo
	s_delay_alu instid0(VALU_DEP_4) | instskip(NEXT) | instid1(SALU_CYCLE_1)
	s_or_b32 s0, s0, s11
	s_and_b32 vcc_lo, exec_lo, s0
	s_cbranch_vccnz .LBB188_25
.LBB188_9:                              ; =>This Inner Loop Header: Depth=1
	v_add_co_u32 v5, s0, v0, s6
	s_delay_alu instid0(VALU_DEP_1) | instskip(NEXT) | instid1(VALU_DEP_1)
	v_add_co_ci_u32_e64 v6, null, 0, s7, s0
	v_cmp_gt_i64_e32 vcc_lo, s[4:5], v[5:6]
	v_cmp_gt_u64_e64 s0, 0x10000, v[5:6]
	s_delay_alu instid0(VALU_DEP_1) | instskip(NEXT) | instid1(SALU_CYCLE_1)
	s_and_b32 s11, vcc_lo, s0
	s_and_saveexec_b32 s0, s11
	s_cbranch_execz .LBB188_11
; %bb.10:                               ;   in Loop: Header=BB188_9 Depth=1
	v_add_co_u32 v7, vcc_lo, v13, s6
	v_add_co_ci_u32_e32 v8, vcc_lo, s7, v14, vcc_lo
	global_load_u8 v27, v[7:8], off
.LBB188_11:                             ;   in Loop: Header=BB188_9 Depth=1
	s_or_b32 exec_lo, exec_lo, s0
	v_add_co_u32 v7, vcc_lo, v23, s6
	v_add_co_ci_u32_e32 v8, vcc_lo, s7, v24, vcc_lo
	s_delay_alu instid0(VALU_DEP_1) | instskip(SKIP_1) | instid1(VALU_DEP_1)
	v_cmp_gt_i64_e32 vcc_lo, s[4:5], v[7:8]
	v_cmp_gt_u64_e64 s0, 0x10000, v[7:8]
	s_and_b32 s11, vcc_lo, s0
	s_delay_alu instid0(SALU_CYCLE_1)
	s_and_saveexec_b32 s0, s11
	s_cbranch_execz .LBB188_13
; %bb.12:                               ;   in Loop: Header=BB188_9 Depth=1
	v_add_co_u32 v9, vcc_lo, v25, s6
	v_add_co_ci_u32_e32 v10, vcc_lo, s7, v26, vcc_lo
	global_load_u8 v28, v[9:10], off
.LBB188_13:                             ;   in Loop: Header=BB188_9 Depth=1
	s_or_b32 exec_lo, exec_lo, s0
	v_add_co_u32 v9, vcc_lo, v21, s6
	v_add_co_ci_u32_e32 v10, vcc_lo, s7, v22, vcc_lo
	s_delay_alu instid0(VALU_DEP_1) | instskip(SKIP_1) | instid1(VALU_DEP_1)
	v_cmp_gt_i64_e32 vcc_lo, s[4:5], v[9:10]
	v_cmp_gt_u64_e64 s0, 0x10000, v[9:10]
	s_and_b32 s11, vcc_lo, s0
	s_delay_alu instid0(SALU_CYCLE_1)
	;; [unrolled: 15-line block ×3, first 2 shown]
	s_and_saveexec_b32 s0, s11
	s_cbranch_execnz .LBB188_20
; %bb.16:                               ;   in Loop: Header=BB188_9 Depth=1
	s_or_b32 exec_lo, exec_lo, s0
	s_delay_alu instid0(SALU_CYCLE_1)
	s_mov_b32 s0, exec_lo
	v_cmpx_gt_u64_e64 s[2:3], v[5:6]
	s_cbranch_execnz .LBB188_21
.LBB188_17:                             ;   in Loop: Header=BB188_9 Depth=1
	s_or_b32 exec_lo, exec_lo, s0
	s_delay_alu instid0(SALU_CYCLE_1)
	s_mov_b32 s0, exec_lo
	v_cmpx_gt_u64_e64 s[2:3], v[7:8]
	s_cbranch_execnz .LBB188_22
.LBB188_18:                             ;   in Loop: Header=BB188_9 Depth=1
	s_or_b32 exec_lo, exec_lo, s0
	s_delay_alu instid0(SALU_CYCLE_1)
	s_mov_b32 s0, exec_lo
	v_cmpx_gt_u64_e64 s[2:3], v[9:10]
	s_cbranch_execnz .LBB188_23
.LBB188_19:                             ;   in Loop: Header=BB188_9 Depth=1
	s_or_b32 exec_lo, exec_lo, s0
	s_delay_alu instid0(SALU_CYCLE_1)
	s_mov_b32 s0, exec_lo
	v_cmpx_gt_u64_e64 s[2:3], v[11:12]
	s_cbranch_execz .LBB188_8
	s_branch .LBB188_24
.LBB188_20:                             ;   in Loop: Header=BB188_9 Depth=1
	s_waitcnt vmcnt(0)
	v_add_co_u32 v30, vcc_lo, v15, s6
	v_add_co_ci_u32_e32 v31, vcc_lo, s7, v16, vcc_lo
	global_load_u8 v30, v[30:31], off
	s_or_b32 exec_lo, exec_lo, s0
	s_delay_alu instid0(SALU_CYCLE_1)
	s_mov_b32 s0, exec_lo
	v_cmpx_gt_u64_e64 s[2:3], v[5:6]
	s_cbranch_execz .LBB188_17
.LBB188_21:                             ;   in Loop: Header=BB188_9 Depth=1
	s_waitcnt vmcnt(0)
	v_and_b32_e32 v5, 0xff, v27
	global_store_b32 v[1:2], v5, off
	s_or_b32 exec_lo, exec_lo, s0
	s_delay_alu instid0(SALU_CYCLE_1)
	s_mov_b32 s0, exec_lo
	v_cmpx_gt_u64_e64 s[2:3], v[7:8]
	s_cbranch_execz .LBB188_18
.LBB188_22:                             ;   in Loop: Header=BB188_9 Depth=1
	s_waitcnt vmcnt(0)
	v_and_b32_e32 v5, 0xff, v28
	global_store_b32 v[3:4], v5, off
	s_or_b32 exec_lo, exec_lo, s0
	s_delay_alu instid0(SALU_CYCLE_1)
	s_mov_b32 s0, exec_lo
	v_cmpx_gt_u64_e64 s[2:3], v[9:10]
	s_cbranch_execz .LBB188_19
.LBB188_23:                             ;   in Loop: Header=BB188_9 Depth=1
	v_add_co_u32 v5, vcc_lo, v1, s8
	s_waitcnt vmcnt(0)
	v_and_b32_e32 v7, 0xff, v29
	v_add_co_ci_u32_e32 v6, vcc_lo, 0, v2, vcc_lo
	global_store_b32 v[5:6], v7, off
	s_or_b32 exec_lo, exec_lo, s0
	s_delay_alu instid0(SALU_CYCLE_1)
	s_mov_b32 s0, exec_lo
	v_cmpx_gt_u64_e64 s[2:3], v[11:12]
	s_cbranch_execz .LBB188_8
.LBB188_24:                             ;   in Loop: Header=BB188_9 Depth=1
	v_add_co_u32 v5, vcc_lo, v1, s9
	s_waitcnt vmcnt(0)
	v_and_b32_e32 v7, 0xff, v30
	v_add_co_ci_u32_e32 v6, vcc_lo, 0, v2, vcc_lo
	global_store_b32 v[5:6], v7, off
	s_branch .LBB188_8
.LBB188_25:
	s_nop 0
	s_sendmsg sendmsg(MSG_DEALLOC_VGPRS)
	s_endpgm
	.section	.rodata,"a",@progbits
	.p2align	6, 0x0
	.amdhsa_kernel _ZN2at6native12_GLOBAL__N_125multi_tensor_apply_kernelINS1_18TensorListMetadataILi2EEENS1_11CopyFunctorIihLi2ELi1ELi1EEEJNS0_4CopyIihEEEEEvT_T0_DpT1_
		.amdhsa_group_segment_fixed_size 0
		.amdhsa_private_segment_fixed_size 0
		.amdhsa_kernarg_size 3408
		.amdhsa_user_sgpr_count 15
		.amdhsa_user_sgpr_dispatch_ptr 0
		.amdhsa_user_sgpr_queue_ptr 0
		.amdhsa_user_sgpr_kernarg_segment_ptr 1
		.amdhsa_user_sgpr_dispatch_id 0
		.amdhsa_user_sgpr_private_segment_size 0
		.amdhsa_wavefront_size32 1
		.amdhsa_uses_dynamic_stack 0
		.amdhsa_enable_private_segment 0
		.amdhsa_system_sgpr_workgroup_id_x 1
		.amdhsa_system_sgpr_workgroup_id_y 0
		.amdhsa_system_sgpr_workgroup_id_z 0
		.amdhsa_system_sgpr_workgroup_info 0
		.amdhsa_system_vgpr_workitem_id 0
		.amdhsa_next_free_vgpr 32
		.amdhsa_next_free_sgpr 21
		.amdhsa_reserve_vcc 1
		.amdhsa_float_round_mode_32 0
		.amdhsa_float_round_mode_16_64 0
		.amdhsa_float_denorm_mode_32 3
		.amdhsa_float_denorm_mode_16_64 3
		.amdhsa_dx10_clamp 1
		.amdhsa_ieee_mode 1
		.amdhsa_fp16_overflow 0
		.amdhsa_workgroup_processor_mode 1
		.amdhsa_memory_ordered 1
		.amdhsa_forward_progress 0
		.amdhsa_shared_vgpr_count 0
		.amdhsa_exception_fp_ieee_invalid_op 0
		.amdhsa_exception_fp_denorm_src 0
		.amdhsa_exception_fp_ieee_div_zero 0
		.amdhsa_exception_fp_ieee_overflow 0
		.amdhsa_exception_fp_ieee_underflow 0
		.amdhsa_exception_fp_ieee_inexact 0
		.amdhsa_exception_int_div_zero 0
	.end_amdhsa_kernel
	.section	.text._ZN2at6native12_GLOBAL__N_125multi_tensor_apply_kernelINS1_18TensorListMetadataILi2EEENS1_11CopyFunctorIihLi2ELi1ELi1EEEJNS0_4CopyIihEEEEEvT_T0_DpT1_,"axG",@progbits,_ZN2at6native12_GLOBAL__N_125multi_tensor_apply_kernelINS1_18TensorListMetadataILi2EEENS1_11CopyFunctorIihLi2ELi1ELi1EEEJNS0_4CopyIihEEEEEvT_T0_DpT1_,comdat
.Lfunc_end188:
	.size	_ZN2at6native12_GLOBAL__N_125multi_tensor_apply_kernelINS1_18TensorListMetadataILi2EEENS1_11CopyFunctorIihLi2ELi1ELi1EEEJNS0_4CopyIihEEEEEvT_T0_DpT1_, .Lfunc_end188-_ZN2at6native12_GLOBAL__N_125multi_tensor_apply_kernelINS1_18TensorListMetadataILi2EEENS1_11CopyFunctorIihLi2ELi1ELi1EEEJNS0_4CopyIihEEEEEvT_T0_DpT1_
                                        ; -- End function
	.section	.AMDGPU.csdata,"",@progbits
; Kernel info:
; codeLenInByte = 1476
; NumSgprs: 23
; NumVgprs: 32
; ScratchSize: 0
; MemoryBound: 0
; FloatMode: 240
; IeeeMode: 1
; LDSByteSize: 0 bytes/workgroup (compile time only)
; SGPRBlocks: 2
; VGPRBlocks: 3
; NumSGPRsForWavesPerEU: 23
; NumVGPRsForWavesPerEU: 32
; Occupancy: 16
; WaveLimiterHint : 0
; COMPUTE_PGM_RSRC2:SCRATCH_EN: 0
; COMPUTE_PGM_RSRC2:USER_SGPR: 15
; COMPUTE_PGM_RSRC2:TRAP_HANDLER: 0
; COMPUTE_PGM_RSRC2:TGID_X_EN: 1
; COMPUTE_PGM_RSRC2:TGID_Y_EN: 0
; COMPUTE_PGM_RSRC2:TGID_Z_EN: 0
; COMPUTE_PGM_RSRC2:TIDIG_COMP_CNT: 0
	.section	.text._ZN2at6native12_GLOBAL__N_125multi_tensor_apply_kernelINS1_18TensorListMetadataILi2EEENS1_11CopyFunctorIiaLi2ELi1ELi1EEEJNS0_4CopyIiaEEEEEvT_T0_DpT1_,"axG",@progbits,_ZN2at6native12_GLOBAL__N_125multi_tensor_apply_kernelINS1_18TensorListMetadataILi2EEENS1_11CopyFunctorIiaLi2ELi1ELi1EEEJNS0_4CopyIiaEEEEEvT_T0_DpT1_,comdat
	.globl	_ZN2at6native12_GLOBAL__N_125multi_tensor_apply_kernelINS1_18TensorListMetadataILi2EEENS1_11CopyFunctorIiaLi2ELi1ELi1EEEJNS0_4CopyIiaEEEEEvT_T0_DpT1_ ; -- Begin function _ZN2at6native12_GLOBAL__N_125multi_tensor_apply_kernelINS1_18TensorListMetadataILi2EEENS1_11CopyFunctorIiaLi2ELi1ELi1EEEJNS0_4CopyIiaEEEEEvT_T0_DpT1_
	.p2align	8
	.type	_ZN2at6native12_GLOBAL__N_125multi_tensor_apply_kernelINS1_18TensorListMetadataILi2EEENS1_11CopyFunctorIiaLi2ELi1ELi1EEEJNS0_4CopyIiaEEEEEvT_T0_DpT1_,@function
_ZN2at6native12_GLOBAL__N_125multi_tensor_apply_kernelINS1_18TensorListMetadataILi2EEENS1_11CopyFunctorIiaLi2ELi1ELi1EEEJNS0_4CopyIiaEEEEEvT_T0_DpT1_: ; @_ZN2at6native12_GLOBAL__N_125multi_tensor_apply_kernelINS1_18TensorListMetadataILi2EEENS1_11CopyFunctorIiaLi2ELi1ELi1EEEJNS0_4CopyIiaEEEEEvT_T0_DpT1_
; %bb.0:
	v_mov_b32_e32 v1, s15
	s_add_u32 s2, s0, s15
	s_mul_hi_u32 s3, s15, 3
	s_mul_i32 s15, s15, 3
	s_addc_u32 s4, s1, 0
	global_load_u8 v1, v1, s[0:1] offset:1536
	s_add_u32 s2, s2, s15
	s_addc_u32 s3, s4, s3
	s_mov_b32 s15, 0
	s_load_b32 s10, s[2:3], 0x740
	s_mov_b32 s17, s15
	s_waitcnt lgkmcnt(0)
	s_ashr_i32 s11, s10, 31
	s_delay_alu instid0(SALU_CYCLE_1) | instskip(SKIP_2) | instid1(VALU_DEP_1)
	s_lshl_b64 s[8:9], s[10:11], 16
	s_waitcnt vmcnt(0)
	v_readfirstlane_b32 s5, v1
	s_lshl_b32 s2, s5, 3
	s_clause 0x2
	s_load_b64 s[6:7], s[0:1], s2 offset:0x0
	s_load_b64 s[12:13], s[0:1], s2 offset:0x200
	;; [unrolled: 1-line block ×3, first 2 shown]
	s_waitcnt lgkmcnt(0)
	s_add_u32 s3, s6, s8
	s_addc_u32 s18, s7, s9
	s_and_b32 s2, s12, 15
	s_and_b32 s16, s4, 3
	;; [unrolled: 1-line block ×3, first 2 shown]
	s_or_b32 s16, s16, s2
	s_mov_b32 s2, -1
	s_or_b64 s[14:15], s[14:15], s[16:17]
	s_sub_u32 s4, s4, s8
	s_subb_u32 s5, s5, s9
	s_cmp_eq_u64 s[14:15], 0
	s_cbranch_scc0 .LBB189_5
; %bb.1:
	v_dual_mov_b32 v2, 0 :: v_dual_lshlrev_b32 v1, 2, v0
	s_mov_b32 s19, exec_lo
	s_delay_alu instid0(VALU_DEP_1)
	v_cmpx_gt_i64_e64 s[4:5], v[1:2]
	s_cbranch_execz .LBB189_4
; %bb.2:
	s_load_b32 s2, s[0:1], 0xc5c
	v_lshlrev_b32_e32 v2, 4, v0
	s_lshl_b64 s[16:17], s[10:11], 18
	s_waitcnt lgkmcnt(0)
	s_and_b32 s2, s2, 0xffff
	s_delay_alu instid0(SALU_CYCLE_1) | instskip(SKIP_3) | instid1(VALU_DEP_1)
	s_lshl_b32 s14, s2, 2
	s_add_u32 s15, s12, s16
	s_addc_u32 s16, s13, s17
	v_add_co_u32 v2, s15, s15, v2
	v_add_co_ci_u32_e64 v3, null, s16, 0, s15
	s_mov_b32 s15, 0
	s_delay_alu instid0(VALU_DEP_2) | instskip(NEXT) | instid1(VALU_DEP_2)
	v_add_co_u32 v2, vcc_lo, v2, 8
	v_add_co_ci_u32_e32 v3, vcc_lo, 0, v3, vcc_lo
	s_lshl_b32 s20, s2, 4
	s_mov_b64 s[16:17], s[14:15]
	s_set_inst_prefetch_distance 0x1
	.p2align	6
.LBB189_3:                              ; =>This Inner Loop Header: Depth=1
	v_add_co_u32 v4, s2, s3, v1
	s_delay_alu instid0(VALU_DEP_1) | instskip(SKIP_2) | instid1(VALU_DEP_1)
	v_add_co_ci_u32_e64 v5, null, s18, 0, s2
	global_load_b32 v7, v[4:5], off
	v_add_co_u32 v4, s2, v1, s16
	v_add_co_ci_u32_e64 v5, null, 0, s17, s2
	s_delay_alu instid0(VALU_DEP_1) | instskip(SKIP_1) | instid1(VALU_DEP_1)
	v_cmp_le_i64_e32 vcc_lo, s[4:5], v[4:5]
	v_cmp_lt_u64_e64 s2, 0xffff, v[4:5]
	s_or_b32 s2, vcc_lo, s2
	s_add_u32 s16, s16, s14
	s_addc_u32 s17, s17, 0
	s_add_u32 s3, s3, s14
	s_addc_u32 s18, s18, 0
	s_and_b32 s2, exec_lo, s2
	s_delay_alu instid0(SALU_CYCLE_1)
	s_or_b32 s15, s2, s15
	s_waitcnt vmcnt(0)
	v_bfe_i32 v4, v7, 0, 8
	v_bfe_i32 v5, v7, 8, 8
	;; [unrolled: 1-line block ×3, first 2 shown]
	v_ashrrev_i32_e32 v7, 24, v7
	global_store_b128 v[2:3], v[4:7], off offset:-8
	v_add_co_u32 v2, vcc_lo, v2, s20
	v_add_co_ci_u32_e32 v3, vcc_lo, 0, v3, vcc_lo
	s_and_not1_b32 exec_lo, exec_lo, s15
	s_cbranch_execnz .LBB189_3
.LBB189_4:
	s_set_inst_prefetch_distance 0x2
	s_or_b32 exec_lo, exec_lo, s19
	s_mov_b32 s2, 0
.LBB189_5:
	s_delay_alu instid0(SALU_CYCLE_1)
	s_and_not1_b32 vcc_lo, exec_lo, s2
	s_cbranch_vccnz .LBB189_25
; %bb.6:
	v_cmp_lt_i64_e64 s2, s[4:5], 1
	s_delay_alu instid0(VALU_DEP_1)
	s_and_b32 vcc_lo, exec_lo, s2
	s_cbranch_vccnz .LBB189_25
; %bb.7:
	s_load_b32 s0, s[0:1], 0xc5c
	v_cmp_gt_u64_e64 s1, 0x10000, s[4:5]
	v_add_co_u32 v3, s2, s8, v0
	v_lshlrev_b32_e32 v1, 2, v0
	v_add_co_ci_u32_e64 v4, null, s9, 0, s2
	s_delay_alu instid0(VALU_DEP_3) | instskip(NEXT) | instid1(VALU_DEP_2)
	v_add_co_u32 v13, vcc_lo, s6, v3
                                        ; implicit-def: $vgpr27
                                        ; implicit-def: $vgpr28
                                        ; implicit-def: $vgpr29
                                        ; implicit-def: $vgpr30
	v_add_co_ci_u32_e32 v14, vcc_lo, s7, v4, vcc_lo
	s_waitcnt lgkmcnt(0)
	s_and_b32 s0, s0, 0xffff
	s_and_b32 s1, s1, exec_lo
	s_cselect_b32 s3, s5, 0
	s_cselect_b32 s2, s4, 0x10000
	s_lshl_b64 s[10:11], s[10:11], 18
	s_lshl_b32 s14, s0, 1
	s_lshl_b32 s1, s0, 2
	s_add_u32 s12, s12, s10
	s_mul_i32 s15, s0, 3
	s_addc_u32 s11, s13, s11
	s_lshl_b32 s10, s0, 4
	v_add_co_u32 v1, s16, s12, v1
	s_add_u32 s13, s8, s15
	v_add_co_ci_u32_e64 v2, null, s11, 0, s16
	s_addc_u32 s16, s9, 0
	s_add_u32 s13, s6, s13
	s_addc_u32 s16, s7, s16
	s_add_u32 s8, s8, s14
	;; [unrolled: 2-line block ×3, first 2 shown]
	s_addc_u32 s9, s7, s9
	v_add_co_u32 v19, s8, s8, v0
	s_delay_alu instid0(VALU_DEP_1) | instskip(SKIP_1) | instid1(VALU_DEP_1)
	v_add_co_ci_u32_e64 v20, null, s9, 0, s8
	v_add_co_u32 v21, s9, s14, v0
	v_add_co_ci_u32_e64 v22, null, 0, 0, s9
	v_add_co_u32 v23, s9, v0, s0
	s_lshl_b32 s8, s0, 3
	v_add_co_u32 v15, s13, s13, v0
	s_delay_alu instid0(VALU_DEP_2)
	v_lshlrev_b32_e32 v5, 2, v23
	s_add_u32 s6, s6, s0
	v_add_co_ci_u32_e64 v16, null, s16, 0, s13
	v_add_co_u32 v17, s13, s15, v0
	s_addc_u32 s7, s7, 0
	v_add_co_u32 v25, vcc_lo, s6, v3
	v_add_co_u32 v3, s6, s12, v5
	v_add_co_ci_u32_e64 v18, null, 0, 0, s13
	v_add_co_ci_u32_e64 v24, null, 0, 0, s9
	v_add_co_ci_u32_e32 v26, vcc_lo, s7, v4, vcc_lo
	v_add_co_ci_u32_e64 v4, null, s11, 0, s6
	s_mul_i32 s9, s0, 12
	s_mov_b64 s[6:7], 0
	s_branch .LBB189_9
.LBB189_8:                              ;   in Loop: Header=BB189_9 Depth=1
	s_or_b32 exec_lo, exec_lo, s0
	s_add_u32 s6, s6, s1
	s_addc_u32 s7, s7, 0
	v_add_co_u32 v1, vcc_lo, v1, s10
	v_cmp_ge_i64_e64 s0, s[6:7], s[4:5]
	v_cmp_lt_u64_e64 s11, 0xffff, s[6:7]
	v_add_co_ci_u32_e32 v2, vcc_lo, 0, v2, vcc_lo
	v_add_co_u32 v3, vcc_lo, v3, s10
	v_add_co_ci_u32_e32 v4, vcc_lo, 0, v4, vcc_lo
	s_delay_alu instid0(VALU_DEP_4) | instskip(NEXT) | instid1(SALU_CYCLE_1)
	s_or_b32 s0, s0, s11
	s_and_b32 vcc_lo, exec_lo, s0
	s_cbranch_vccnz .LBB189_25
.LBB189_9:                              ; =>This Inner Loop Header: Depth=1
	v_add_co_u32 v5, s0, v0, s6
	s_delay_alu instid0(VALU_DEP_1) | instskip(NEXT) | instid1(VALU_DEP_1)
	v_add_co_ci_u32_e64 v6, null, 0, s7, s0
	v_cmp_gt_i64_e32 vcc_lo, s[4:5], v[5:6]
	v_cmp_gt_u64_e64 s0, 0x10000, v[5:6]
	s_delay_alu instid0(VALU_DEP_1) | instskip(NEXT) | instid1(SALU_CYCLE_1)
	s_and_b32 s11, vcc_lo, s0
	s_and_saveexec_b32 s0, s11
	s_cbranch_execz .LBB189_11
; %bb.10:                               ;   in Loop: Header=BB189_9 Depth=1
	v_add_co_u32 v7, vcc_lo, v13, s6
	v_add_co_ci_u32_e32 v8, vcc_lo, s7, v14, vcc_lo
	global_load_u8 v27, v[7:8], off
.LBB189_11:                             ;   in Loop: Header=BB189_9 Depth=1
	s_or_b32 exec_lo, exec_lo, s0
	v_add_co_u32 v7, vcc_lo, v23, s6
	v_add_co_ci_u32_e32 v8, vcc_lo, s7, v24, vcc_lo
	s_delay_alu instid0(VALU_DEP_1) | instskip(SKIP_1) | instid1(VALU_DEP_1)
	v_cmp_gt_i64_e32 vcc_lo, s[4:5], v[7:8]
	v_cmp_gt_u64_e64 s0, 0x10000, v[7:8]
	s_and_b32 s11, vcc_lo, s0
	s_delay_alu instid0(SALU_CYCLE_1)
	s_and_saveexec_b32 s0, s11
	s_cbranch_execz .LBB189_13
; %bb.12:                               ;   in Loop: Header=BB189_9 Depth=1
	v_add_co_u32 v9, vcc_lo, v25, s6
	v_add_co_ci_u32_e32 v10, vcc_lo, s7, v26, vcc_lo
	global_load_u8 v28, v[9:10], off
.LBB189_13:                             ;   in Loop: Header=BB189_9 Depth=1
	s_or_b32 exec_lo, exec_lo, s0
	v_add_co_u32 v9, vcc_lo, v21, s6
	v_add_co_ci_u32_e32 v10, vcc_lo, s7, v22, vcc_lo
	s_delay_alu instid0(VALU_DEP_1) | instskip(SKIP_1) | instid1(VALU_DEP_1)
	v_cmp_gt_i64_e32 vcc_lo, s[4:5], v[9:10]
	v_cmp_gt_u64_e64 s0, 0x10000, v[9:10]
	s_and_b32 s11, vcc_lo, s0
	s_delay_alu instid0(SALU_CYCLE_1)
	;; [unrolled: 15-line block ×3, first 2 shown]
	s_and_saveexec_b32 s0, s11
	s_cbranch_execnz .LBB189_20
; %bb.16:                               ;   in Loop: Header=BB189_9 Depth=1
	s_or_b32 exec_lo, exec_lo, s0
	s_delay_alu instid0(SALU_CYCLE_1)
	s_mov_b32 s0, exec_lo
	v_cmpx_gt_u64_e64 s[2:3], v[5:6]
	s_cbranch_execnz .LBB189_21
.LBB189_17:                             ;   in Loop: Header=BB189_9 Depth=1
	s_or_b32 exec_lo, exec_lo, s0
	s_delay_alu instid0(SALU_CYCLE_1)
	s_mov_b32 s0, exec_lo
	v_cmpx_gt_u64_e64 s[2:3], v[7:8]
	s_cbranch_execnz .LBB189_22
.LBB189_18:                             ;   in Loop: Header=BB189_9 Depth=1
	s_or_b32 exec_lo, exec_lo, s0
	s_delay_alu instid0(SALU_CYCLE_1)
	s_mov_b32 s0, exec_lo
	v_cmpx_gt_u64_e64 s[2:3], v[9:10]
	s_cbranch_execnz .LBB189_23
.LBB189_19:                             ;   in Loop: Header=BB189_9 Depth=1
	s_or_b32 exec_lo, exec_lo, s0
	s_delay_alu instid0(SALU_CYCLE_1)
	s_mov_b32 s0, exec_lo
	v_cmpx_gt_u64_e64 s[2:3], v[11:12]
	s_cbranch_execz .LBB189_8
	s_branch .LBB189_24
.LBB189_20:                             ;   in Loop: Header=BB189_9 Depth=1
	s_waitcnt vmcnt(0)
	v_add_co_u32 v30, vcc_lo, v15, s6
	v_add_co_ci_u32_e32 v31, vcc_lo, s7, v16, vcc_lo
	global_load_u8 v30, v[30:31], off
	s_or_b32 exec_lo, exec_lo, s0
	s_delay_alu instid0(SALU_CYCLE_1)
	s_mov_b32 s0, exec_lo
	v_cmpx_gt_u64_e64 s[2:3], v[5:6]
	s_cbranch_execz .LBB189_17
.LBB189_21:                             ;   in Loop: Header=BB189_9 Depth=1
	s_waitcnt vmcnt(0)
	v_bfe_i32 v5, v27, 0, 8
	global_store_b32 v[1:2], v5, off
	s_or_b32 exec_lo, exec_lo, s0
	s_delay_alu instid0(SALU_CYCLE_1)
	s_mov_b32 s0, exec_lo
	v_cmpx_gt_u64_e64 s[2:3], v[7:8]
	s_cbranch_execz .LBB189_18
.LBB189_22:                             ;   in Loop: Header=BB189_9 Depth=1
	s_waitcnt vmcnt(0)
	v_bfe_i32 v5, v28, 0, 8
	global_store_b32 v[3:4], v5, off
	s_or_b32 exec_lo, exec_lo, s0
	s_delay_alu instid0(SALU_CYCLE_1)
	s_mov_b32 s0, exec_lo
	v_cmpx_gt_u64_e64 s[2:3], v[9:10]
	s_cbranch_execz .LBB189_19
.LBB189_23:                             ;   in Loop: Header=BB189_9 Depth=1
	v_add_co_u32 v5, vcc_lo, v1, s8
	s_waitcnt vmcnt(0)
	v_bfe_i32 v7, v29, 0, 8
	v_add_co_ci_u32_e32 v6, vcc_lo, 0, v2, vcc_lo
	global_store_b32 v[5:6], v7, off
	s_or_b32 exec_lo, exec_lo, s0
	s_delay_alu instid0(SALU_CYCLE_1)
	s_mov_b32 s0, exec_lo
	v_cmpx_gt_u64_e64 s[2:3], v[11:12]
	s_cbranch_execz .LBB189_8
.LBB189_24:                             ;   in Loop: Header=BB189_9 Depth=1
	v_add_co_u32 v5, vcc_lo, v1, s9
	s_waitcnt vmcnt(0)
	v_bfe_i32 v7, v30, 0, 8
	v_add_co_ci_u32_e32 v6, vcc_lo, 0, v2, vcc_lo
	global_store_b32 v[5:6], v7, off
	s_branch .LBB189_8
.LBB189_25:
	s_nop 0
	s_sendmsg sendmsg(MSG_DEALLOC_VGPRS)
	s_endpgm
	.section	.rodata,"a",@progbits
	.p2align	6, 0x0
	.amdhsa_kernel _ZN2at6native12_GLOBAL__N_125multi_tensor_apply_kernelINS1_18TensorListMetadataILi2EEENS1_11CopyFunctorIiaLi2ELi1ELi1EEEJNS0_4CopyIiaEEEEEvT_T0_DpT1_
		.amdhsa_group_segment_fixed_size 0
		.amdhsa_private_segment_fixed_size 0
		.amdhsa_kernarg_size 3408
		.amdhsa_user_sgpr_count 15
		.amdhsa_user_sgpr_dispatch_ptr 0
		.amdhsa_user_sgpr_queue_ptr 0
		.amdhsa_user_sgpr_kernarg_segment_ptr 1
		.amdhsa_user_sgpr_dispatch_id 0
		.amdhsa_user_sgpr_private_segment_size 0
		.amdhsa_wavefront_size32 1
		.amdhsa_uses_dynamic_stack 0
		.amdhsa_enable_private_segment 0
		.amdhsa_system_sgpr_workgroup_id_x 1
		.amdhsa_system_sgpr_workgroup_id_y 0
		.amdhsa_system_sgpr_workgroup_id_z 0
		.amdhsa_system_sgpr_workgroup_info 0
		.amdhsa_system_vgpr_workitem_id 0
		.amdhsa_next_free_vgpr 32
		.amdhsa_next_free_sgpr 21
		.amdhsa_reserve_vcc 1
		.amdhsa_float_round_mode_32 0
		.amdhsa_float_round_mode_16_64 0
		.amdhsa_float_denorm_mode_32 3
		.amdhsa_float_denorm_mode_16_64 3
		.amdhsa_dx10_clamp 1
		.amdhsa_ieee_mode 1
		.amdhsa_fp16_overflow 0
		.amdhsa_workgroup_processor_mode 1
		.amdhsa_memory_ordered 1
		.amdhsa_forward_progress 0
		.amdhsa_shared_vgpr_count 0
		.amdhsa_exception_fp_ieee_invalid_op 0
		.amdhsa_exception_fp_denorm_src 0
		.amdhsa_exception_fp_ieee_div_zero 0
		.amdhsa_exception_fp_ieee_overflow 0
		.amdhsa_exception_fp_ieee_underflow 0
		.amdhsa_exception_fp_ieee_inexact 0
		.amdhsa_exception_int_div_zero 0
	.end_amdhsa_kernel
	.section	.text._ZN2at6native12_GLOBAL__N_125multi_tensor_apply_kernelINS1_18TensorListMetadataILi2EEENS1_11CopyFunctorIiaLi2ELi1ELi1EEEJNS0_4CopyIiaEEEEEvT_T0_DpT1_,"axG",@progbits,_ZN2at6native12_GLOBAL__N_125multi_tensor_apply_kernelINS1_18TensorListMetadataILi2EEENS1_11CopyFunctorIiaLi2ELi1ELi1EEEJNS0_4CopyIiaEEEEEvT_T0_DpT1_,comdat
.Lfunc_end189:
	.size	_ZN2at6native12_GLOBAL__N_125multi_tensor_apply_kernelINS1_18TensorListMetadataILi2EEENS1_11CopyFunctorIiaLi2ELi1ELi1EEEJNS0_4CopyIiaEEEEEvT_T0_DpT1_, .Lfunc_end189-_ZN2at6native12_GLOBAL__N_125multi_tensor_apply_kernelINS1_18TensorListMetadataILi2EEENS1_11CopyFunctorIiaLi2ELi1ELi1EEEJNS0_4CopyIiaEEEEEvT_T0_DpT1_
                                        ; -- End function
	.section	.AMDGPU.csdata,"",@progbits
; Kernel info:
; codeLenInByte = 1464
; NumSgprs: 23
; NumVgprs: 32
; ScratchSize: 0
; MemoryBound: 0
; FloatMode: 240
; IeeeMode: 1
; LDSByteSize: 0 bytes/workgroup (compile time only)
; SGPRBlocks: 2
; VGPRBlocks: 3
; NumSGPRsForWavesPerEU: 23
; NumVGPRsForWavesPerEU: 32
; Occupancy: 16
; WaveLimiterHint : 0
; COMPUTE_PGM_RSRC2:SCRATCH_EN: 0
; COMPUTE_PGM_RSRC2:USER_SGPR: 15
; COMPUTE_PGM_RSRC2:TRAP_HANDLER: 0
; COMPUTE_PGM_RSRC2:TGID_X_EN: 1
; COMPUTE_PGM_RSRC2:TGID_Y_EN: 0
; COMPUTE_PGM_RSRC2:TGID_Z_EN: 0
; COMPUTE_PGM_RSRC2:TIDIG_COMP_CNT: 0
	.section	.text._ZN2at6native12_GLOBAL__N_125multi_tensor_apply_kernelINS1_18TensorListMetadataILi2EEENS1_11CopyFunctorIilLi2ELi1ELi1EEEJNS0_4CopyIilEEEEEvT_T0_DpT1_,"axG",@progbits,_ZN2at6native12_GLOBAL__N_125multi_tensor_apply_kernelINS1_18TensorListMetadataILi2EEENS1_11CopyFunctorIilLi2ELi1ELi1EEEJNS0_4CopyIilEEEEEvT_T0_DpT1_,comdat
	.globl	_ZN2at6native12_GLOBAL__N_125multi_tensor_apply_kernelINS1_18TensorListMetadataILi2EEENS1_11CopyFunctorIilLi2ELi1ELi1EEEJNS0_4CopyIilEEEEEvT_T0_DpT1_ ; -- Begin function _ZN2at6native12_GLOBAL__N_125multi_tensor_apply_kernelINS1_18TensorListMetadataILi2EEENS1_11CopyFunctorIilLi2ELi1ELi1EEEJNS0_4CopyIilEEEEEvT_T0_DpT1_
	.p2align	8
	.type	_ZN2at6native12_GLOBAL__N_125multi_tensor_apply_kernelINS1_18TensorListMetadataILi2EEENS1_11CopyFunctorIilLi2ELi1ELi1EEEJNS0_4CopyIilEEEEEvT_T0_DpT1_,@function
_ZN2at6native12_GLOBAL__N_125multi_tensor_apply_kernelINS1_18TensorListMetadataILi2EEENS1_11CopyFunctorIilLi2ELi1ELi1EEEJNS0_4CopyIilEEEEEvT_T0_DpT1_: ; @_ZN2at6native12_GLOBAL__N_125multi_tensor_apply_kernelINS1_18TensorListMetadataILi2EEENS1_11CopyFunctorIilLi2ELi1ELi1EEEJNS0_4CopyIilEEEEEvT_T0_DpT1_
; %bb.0:
	v_mov_b32_e32 v1, s15
	s_add_u32 s2, s0, s15
	s_mul_hi_u32 s3, s15, 3
	s_mul_i32 s15, s15, 3
	s_addc_u32 s4, s1, 0
	global_load_u8 v1, v1, s[0:1] offset:1536
	s_add_u32 s2, s2, s15
	s_addc_u32 s3, s4, s3
	s_mov_b32 s15, 0
	s_load_b32 s8, s[2:3], 0x740
	s_waitcnt lgkmcnt(0)
	s_ashr_i32 s9, s8, 31
	s_delay_alu instid0(SALU_CYCLE_1) | instskip(SKIP_3) | instid1(VALU_DEP_1)
	s_lshl_b64 s[10:11], s[8:9], 19
	s_lshl_b64 s[16:17], s[8:9], 16
	s_waitcnt vmcnt(0)
	v_readfirstlane_b32 s5, v1
	s_lshl_b32 s4, s5, 3
	s_clause 0x2
	s_load_b64 s[2:3], s[0:1], s4 offset:0x0
	s_load_b64 s[6:7], s[0:1], s4 offset:0x200
	;; [unrolled: 1-line block ×3, first 2 shown]
	s_waitcnt lgkmcnt(0)
	s_add_u32 s12, s2, s10
	s_addc_u32 s13, s3, s11
	s_and_b32 s18, s6, 15
	s_and_b32 s19, s4, 3
	;; [unrolled: 1-line block ×3, first 2 shown]
	s_or_b32 s18, s19, s18
	s_mov_b32 s19, s15
	s_delay_alu instid0(SALU_CYCLE_1)
	s_or_b64 s[14:15], s[14:15], s[18:19]
	s_sub_u32 s4, s4, s16
	s_subb_u32 s5, s5, s17
	s_cmp_eq_u64 s[14:15], 0
	s_mov_b32 s14, -1
	s_cbranch_scc0 .LBB190_5
; %bb.1:
	v_dual_mov_b32 v2, 0 :: v_dual_lshlrev_b32 v1, 2, v0
	s_mov_b32 s14, exec_lo
	s_delay_alu instid0(VALU_DEP_1)
	v_cmpx_gt_i64_e64 s[4:5], v[1:2]
	s_cbranch_execz .LBB190_4
; %bb.2:
	s_load_b32 s15, s[0:1], 0xc5c
	v_lshlrev_b32_e32 v4, 4, v0
	v_lshlrev_b32_e32 v3, 5, v0
	s_waitcnt lgkmcnt(0)
	s_and_b32 s16, s15, 0xffff
	s_delay_alu instid0(SALU_CYCLE_1)
	s_lshl_b32 s15, s16, 2
	s_add_u32 s17, s2, s10
	s_addc_u32 s11, s3, s11
	s_lshl_b64 s[2:3], s[8:9], 18
	s_lshl_b32 s10, s16, 5
	s_add_u32 s2, s6, s2
	s_addc_u32 s3, s7, s3
	v_add_co_u32 v5, s2, s2, v4
	s_delay_alu instid0(VALU_DEP_1) | instskip(SKIP_1) | instid1(VALU_DEP_3)
	v_add_co_ci_u32_e64 v6, null, s3, 0, s2
	v_add_co_u32 v3, s2, s17, v3
	v_add_co_u32 v5, vcc_lo, v5, 8
	v_add_lshl_u32 v1, v0, s16, 2
	v_add_co_ci_u32_e64 v4, null, s11, 0, s2
	v_add_co_ci_u32_e32 v6, vcc_lo, 0, v6, vcc_lo
	s_mov_b32 s11, 0
	s_lshl_b32 s16, s16, 4
	.p2align	6
.LBB190_3:                              ; =>This Inner Loop Header: Depth=1
	s_clause 0x1
	global_load_b128 v[7:10], v[3:4], off
	global_load_b128 v[10:13], v[3:4], off offset:16
	v_cmp_le_i64_e32 vcc_lo, s[4:5], v[1:2]
	v_cmp_lt_u64_e64 s2, 0xffff, v[1:2]
	v_add_co_u32 v1, s3, v1, s15
	s_delay_alu instid0(VALU_DEP_1) | instskip(SKIP_1) | instid1(VALU_DEP_4)
	v_add_co_ci_u32_e64 v2, s3, 0, v2, s3
	v_add_co_u32 v3, s3, v3, s10
	s_or_b32 s2, vcc_lo, s2
	v_add_co_ci_u32_e64 v4, s3, 0, v4, s3
	s_and_b32 s2, exec_lo, s2
	s_delay_alu instid0(SALU_CYCLE_1)
	s_or_b32 s11, s2, s11
	s_waitcnt vmcnt(0)
	v_dual_mov_b32 v8, v9 :: v_dual_mov_b32 v9, v10
	v_mov_b32_e32 v10, v12
	global_store_b128 v[5:6], v[7:10], off offset:-8
	v_add_co_u32 v5, vcc_lo, v5, s16
	v_add_co_ci_u32_e32 v6, vcc_lo, 0, v6, vcc_lo
	s_and_not1_b32 exec_lo, exec_lo, s11
	s_cbranch_execnz .LBB190_3
.LBB190_4:
	s_or_b32 exec_lo, exec_lo, s14
	s_mov_b32 s14, 0
.LBB190_5:
	s_delay_alu instid0(SALU_CYCLE_1)
	s_and_not1_b32 vcc_lo, exec_lo, s14
	s_cbranch_vccnz .LBB190_25
; %bb.6:
	v_cmp_lt_i64_e64 s2, s[4:5], 1
	s_delay_alu instid0(VALU_DEP_1)
	s_and_b32 vcc_lo, exec_lo, s2
	s_cbranch_vccnz .LBB190_25
; %bb.7:
	s_load_b32 s0, s[0:1], 0xc5c
	v_cmp_gt_u64_e64 s1, 0x10000, s[4:5]
	v_dual_mov_b32 v2, 0 :: v_dual_lshlrev_b32 v5, 2, v0
	v_lshlrev_b32_e32 v1, 3, v0
                                        ; implicit-def: $vgpr9_vgpr10
                                        ; implicit-def: $vgpr11_vgpr12
                                        ; implicit-def: $vgpr13_vgpr14
                                        ; implicit-def: $vgpr15_vgpr16
	s_waitcnt lgkmcnt(0)
	s_and_b32 s0, s0, 0xffff
	s_delay_alu instid0(VALU_DEP_3)
	s_and_b32 s1, s1, exec_lo
	s_cselect_b32 s3, s5, 0
	s_cselect_b32 s2, s4, 0x10000
	s_lshl_b64 s[8:9], s[8:9], 18
	s_lshl_b32 s11, s0, 1
	s_lshl_b32 s1, s0, 2
	;; [unrolled: 1-line block ×3, first 2 shown]
	s_add_u32 s6, s6, s8
	s_addc_u32 s7, s7, s9
	v_add_co_u32 v5, s9, s6, v5
	s_delay_alu instid0(VALU_DEP_1) | instskip(SKIP_3) | instid1(VALU_DEP_2)
	v_add_co_ci_u32_e64 v6, null, s7, 0, s9
	v_add_co_u32 v26, s9, v0, s0
	s_mul_i32 s14, s0, 3
	v_mad_u64_u32 v[3:4], null, s0, 24, v[1:2]
	v_lshlrev_b32_e32 v7, 2, v26
	v_add_co_u32 v2, s8, s14, v0
	s_delay_alu instid0(VALU_DEP_1)
	v_add_co_ci_u32_e64 v25, null, 0, 0, s8
	s_lshl_b32 s8, s0, 4
	v_add_co_ci_u32_e64 v29, null, 0, 0, s9
	v_add_co_u32 v27, s14, s8, v1
	v_add_co_u32 v30, s9, s11, v0
	;; [unrolled: 1-line block ×3, first 2 shown]
	v_add_co_ci_u32_e64 v28, null, 0, 0, s14
	v_add_co_ci_u32_e64 v31, null, 0, 0, s9
	v_lshlrev_b32_e32 v32, 3, v26
	v_add_co_ci_u32_e64 v8, null, s7, 0, s6
	s_mul_i32 s9, s0, 12
	s_lshl_b32 s11, s0, 3
	s_mov_b64 s[6:7], 0
	s_branch .LBB190_9
.LBB190_8:                              ;   in Loop: Header=BB190_9 Depth=1
	s_or_b32 exec_lo, exec_lo, s0
	s_add_u32 s6, s6, s1
	s_addc_u32 s7, s7, 0
	v_add_co_u32 v5, vcc_lo, v5, s8
	v_cmp_ge_i64_e64 s0, s[6:7], s[4:5]
	v_cmp_lt_u64_e64 s14, 0xffff, s[6:7]
	v_add_co_ci_u32_e32 v6, vcc_lo, 0, v6, vcc_lo
	v_add_co_u32 v7, vcc_lo, v7, s8
	v_add_co_ci_u32_e32 v8, vcc_lo, 0, v8, vcc_lo
	s_delay_alu instid0(VALU_DEP_4)
	s_or_b32 s0, s0, s14
	s_add_u32 s12, s12, s10
	s_addc_u32 s13, s13, 0
	s_and_b32 vcc_lo, exec_lo, s0
	s_cbranch_vccnz .LBB190_25
.LBB190_9:                              ; =>This Inner Loop Header: Depth=1
	v_add_co_u32 v17, s0, v0, s6
	s_delay_alu instid0(VALU_DEP_1) | instskip(NEXT) | instid1(VALU_DEP_1)
	v_add_co_ci_u32_e64 v18, null, 0, s7, s0
	v_cmp_gt_i64_e32 vcc_lo, s[4:5], v[17:18]
	v_cmp_gt_u64_e64 s0, 0x10000, v[17:18]
	s_delay_alu instid0(VALU_DEP_1) | instskip(NEXT) | instid1(SALU_CYCLE_1)
	s_and_b32 s14, vcc_lo, s0
	s_and_saveexec_b32 s0, s14
	s_cbranch_execz .LBB190_11
; %bb.10:                               ;   in Loop: Header=BB190_9 Depth=1
	s_waitcnt vmcnt(0)
	v_add_co_u32 v14, s14, s12, v1
	s_delay_alu instid0(VALU_DEP_1)
	v_add_co_ci_u32_e64 v15, null, s13, 0, s14
	global_load_b64 v[15:16], v[14:15], off
.LBB190_11:                             ;   in Loop: Header=BB190_9 Depth=1
	s_or_b32 exec_lo, exec_lo, s0
	v_add_co_u32 v19, vcc_lo, v26, s6
	v_add_co_ci_u32_e32 v20, vcc_lo, s7, v29, vcc_lo
	s_delay_alu instid0(VALU_DEP_1) | instskip(SKIP_1) | instid1(VALU_DEP_1)
	v_cmp_gt_i64_e32 vcc_lo, s[4:5], v[19:20]
	v_cmp_gt_u64_e64 s0, 0x10000, v[19:20]
	s_and_b32 s14, vcc_lo, s0
	s_delay_alu instid0(SALU_CYCLE_1)
	s_and_saveexec_b32 s0, s14
	s_cbranch_execz .LBB190_13
; %bb.12:                               ;   in Loop: Header=BB190_9 Depth=1
	s_waitcnt vmcnt(0)
	v_add_co_u32 v12, s14, s12, v32
	s_delay_alu instid0(VALU_DEP_1)
	v_add_co_ci_u32_e64 v13, null, s13, 0, s14
	global_load_b64 v[13:14], v[12:13], off
.LBB190_13:                             ;   in Loop: Header=BB190_9 Depth=1
	s_or_b32 exec_lo, exec_lo, s0
	v_add_co_u32 v21, vcc_lo, v30, s6
	v_add_co_ci_u32_e32 v22, vcc_lo, s7, v31, vcc_lo
	s_delay_alu instid0(VALU_DEP_1) | instskip(SKIP_1) | instid1(VALU_DEP_1)
	v_cmp_gt_i64_e32 vcc_lo, s[4:5], v[21:22]
	v_cmp_gt_u64_e64 s0, 0x10000, v[21:22]
	s_and_b32 s14, vcc_lo, s0
	s_delay_alu instid0(SALU_CYCLE_1)
	s_and_saveexec_b32 s0, s14
	s_cbranch_execz .LBB190_15
; %bb.14:                               ;   in Loop: Header=BB190_9 Depth=1
	s_waitcnt vmcnt(0)
	v_add_co_u32 v10, vcc_lo, s12, v27
	v_add_co_ci_u32_e32 v11, vcc_lo, s13, v28, vcc_lo
	global_load_b64 v[11:12], v[10:11], off
.LBB190_15:                             ;   in Loop: Header=BB190_9 Depth=1
	s_or_b32 exec_lo, exec_lo, s0
	v_add_co_u32 v23, vcc_lo, v2, s6
	v_add_co_ci_u32_e32 v24, vcc_lo, s7, v25, vcc_lo
	s_delay_alu instid0(VALU_DEP_1) | instskip(SKIP_1) | instid1(VALU_DEP_1)
	v_cmp_gt_i64_e32 vcc_lo, s[4:5], v[23:24]
	v_cmp_gt_u64_e64 s0, 0x10000, v[23:24]
	s_and_b32 s14, vcc_lo, s0
	s_delay_alu instid0(SALU_CYCLE_1)
	s_and_saveexec_b32 s0, s14
	s_cbranch_execnz .LBB190_20
; %bb.16:                               ;   in Loop: Header=BB190_9 Depth=1
	s_or_b32 exec_lo, exec_lo, s0
	s_delay_alu instid0(SALU_CYCLE_1)
	s_mov_b32 s0, exec_lo
	v_cmpx_gt_u64_e64 s[2:3], v[17:18]
	s_cbranch_execnz .LBB190_21
.LBB190_17:                             ;   in Loop: Header=BB190_9 Depth=1
	s_or_b32 exec_lo, exec_lo, s0
	s_delay_alu instid0(SALU_CYCLE_1)
	s_mov_b32 s0, exec_lo
	v_cmpx_gt_u64_e64 s[2:3], v[19:20]
	s_cbranch_execnz .LBB190_22
.LBB190_18:                             ;   in Loop: Header=BB190_9 Depth=1
	s_or_b32 exec_lo, exec_lo, s0
	s_delay_alu instid0(SALU_CYCLE_1)
	s_mov_b32 s0, exec_lo
	v_cmpx_gt_u64_e64 s[2:3], v[21:22]
	s_cbranch_execnz .LBB190_23
.LBB190_19:                             ;   in Loop: Header=BB190_9 Depth=1
	s_or_b32 exec_lo, exec_lo, s0
	s_delay_alu instid0(SALU_CYCLE_1)
	s_mov_b32 s0, exec_lo
	v_cmpx_gt_u64_e64 s[2:3], v[23:24]
	s_cbranch_execz .LBB190_8
	s_branch .LBB190_24
.LBB190_20:                             ;   in Loop: Header=BB190_9 Depth=1
	s_waitcnt vmcnt(0)
	v_add_co_u32 v9, vcc_lo, s12, v3
	v_add_co_ci_u32_e32 v10, vcc_lo, s13, v4, vcc_lo
	global_load_b64 v[9:10], v[9:10], off
	s_or_b32 exec_lo, exec_lo, s0
	s_delay_alu instid0(SALU_CYCLE_1)
	s_mov_b32 s0, exec_lo
	v_cmpx_gt_u64_e64 s[2:3], v[17:18]
	s_cbranch_execz .LBB190_17
.LBB190_21:                             ;   in Loop: Header=BB190_9 Depth=1
	s_waitcnt vmcnt(0)
	global_store_b32 v[5:6], v15, off
	s_or_b32 exec_lo, exec_lo, s0
	s_delay_alu instid0(SALU_CYCLE_1)
	s_mov_b32 s0, exec_lo
	v_cmpx_gt_u64_e64 s[2:3], v[19:20]
	s_cbranch_execz .LBB190_18
.LBB190_22:                             ;   in Loop: Header=BB190_9 Depth=1
	s_waitcnt vmcnt(0)
	global_store_b32 v[7:8], v13, off
	s_or_b32 exec_lo, exec_lo, s0
	s_delay_alu instid0(SALU_CYCLE_1)
	s_mov_b32 s0, exec_lo
	v_cmpx_gt_u64_e64 s[2:3], v[21:22]
	s_cbranch_execz .LBB190_19
.LBB190_23:                             ;   in Loop: Header=BB190_9 Depth=1
	s_waitcnt vmcnt(0)
	v_add_co_u32 v16, vcc_lo, v5, s11
	v_add_co_ci_u32_e32 v17, vcc_lo, 0, v6, vcc_lo
	global_store_b32 v[16:17], v11, off
	s_or_b32 exec_lo, exec_lo, s0
	s_delay_alu instid0(SALU_CYCLE_1)
	s_mov_b32 s0, exec_lo
	v_cmpx_gt_u64_e64 s[2:3], v[23:24]
	s_cbranch_execz .LBB190_8
.LBB190_24:                             ;   in Loop: Header=BB190_9 Depth=1
	s_waitcnt vmcnt(0)
	v_add_co_u32 v16, vcc_lo, v5, s9
	v_add_co_ci_u32_e32 v17, vcc_lo, 0, v6, vcc_lo
	global_store_b32 v[16:17], v9, off
	s_branch .LBB190_8
.LBB190_25:
	s_nop 0
	s_sendmsg sendmsg(MSG_DEALLOC_VGPRS)
	s_endpgm
	.section	.rodata,"a",@progbits
	.p2align	6, 0x0
	.amdhsa_kernel _ZN2at6native12_GLOBAL__N_125multi_tensor_apply_kernelINS1_18TensorListMetadataILi2EEENS1_11CopyFunctorIilLi2ELi1ELi1EEEJNS0_4CopyIilEEEEEvT_T0_DpT1_
		.amdhsa_group_segment_fixed_size 0
		.amdhsa_private_segment_fixed_size 0
		.amdhsa_kernarg_size 3408
		.amdhsa_user_sgpr_count 15
		.amdhsa_user_sgpr_dispatch_ptr 0
		.amdhsa_user_sgpr_queue_ptr 0
		.amdhsa_user_sgpr_kernarg_segment_ptr 1
		.amdhsa_user_sgpr_dispatch_id 0
		.amdhsa_user_sgpr_private_segment_size 0
		.amdhsa_wavefront_size32 1
		.amdhsa_uses_dynamic_stack 0
		.amdhsa_enable_private_segment 0
		.amdhsa_system_sgpr_workgroup_id_x 1
		.amdhsa_system_sgpr_workgroup_id_y 0
		.amdhsa_system_sgpr_workgroup_id_z 0
		.amdhsa_system_sgpr_workgroup_info 0
		.amdhsa_system_vgpr_workitem_id 0
		.amdhsa_next_free_vgpr 33
		.amdhsa_next_free_sgpr 20
		.amdhsa_reserve_vcc 1
		.amdhsa_float_round_mode_32 0
		.amdhsa_float_round_mode_16_64 0
		.amdhsa_float_denorm_mode_32 3
		.amdhsa_float_denorm_mode_16_64 3
		.amdhsa_dx10_clamp 1
		.amdhsa_ieee_mode 1
		.amdhsa_fp16_overflow 0
		.amdhsa_workgroup_processor_mode 1
		.amdhsa_memory_ordered 1
		.amdhsa_forward_progress 0
		.amdhsa_shared_vgpr_count 0
		.amdhsa_exception_fp_ieee_invalid_op 0
		.amdhsa_exception_fp_denorm_src 0
		.amdhsa_exception_fp_ieee_div_zero 0
		.amdhsa_exception_fp_ieee_overflow 0
		.amdhsa_exception_fp_ieee_underflow 0
		.amdhsa_exception_fp_ieee_inexact 0
		.amdhsa_exception_int_div_zero 0
	.end_amdhsa_kernel
	.section	.text._ZN2at6native12_GLOBAL__N_125multi_tensor_apply_kernelINS1_18TensorListMetadataILi2EEENS1_11CopyFunctorIilLi2ELi1ELi1EEEJNS0_4CopyIilEEEEEvT_T0_DpT1_,"axG",@progbits,_ZN2at6native12_GLOBAL__N_125multi_tensor_apply_kernelINS1_18TensorListMetadataILi2EEENS1_11CopyFunctorIilLi2ELi1ELi1EEEJNS0_4CopyIilEEEEEvT_T0_DpT1_,comdat
.Lfunc_end190:
	.size	_ZN2at6native12_GLOBAL__N_125multi_tensor_apply_kernelINS1_18TensorListMetadataILi2EEENS1_11CopyFunctorIilLi2ELi1ELi1EEEJNS0_4CopyIilEEEEEvT_T0_DpT1_, .Lfunc_end190-_ZN2at6native12_GLOBAL__N_125multi_tensor_apply_kernelINS1_18TensorListMetadataILi2EEENS1_11CopyFunctorIilLi2ELi1ELi1EEEJNS0_4CopyIilEEEEEvT_T0_DpT1_
                                        ; -- End function
	.section	.AMDGPU.csdata,"",@progbits
; Kernel info:
; codeLenInByte = 1408
; NumSgprs: 22
; NumVgprs: 33
; ScratchSize: 0
; MemoryBound: 0
; FloatMode: 240
; IeeeMode: 1
; LDSByteSize: 0 bytes/workgroup (compile time only)
; SGPRBlocks: 2
; VGPRBlocks: 4
; NumSGPRsForWavesPerEU: 22
; NumVGPRsForWavesPerEU: 33
; Occupancy: 16
; WaveLimiterHint : 0
; COMPUTE_PGM_RSRC2:SCRATCH_EN: 0
; COMPUTE_PGM_RSRC2:USER_SGPR: 15
; COMPUTE_PGM_RSRC2:TRAP_HANDLER: 0
; COMPUTE_PGM_RSRC2:TGID_X_EN: 1
; COMPUTE_PGM_RSRC2:TGID_Y_EN: 0
; COMPUTE_PGM_RSRC2:TGID_Z_EN: 0
; COMPUTE_PGM_RSRC2:TIDIG_COMP_CNT: 0
	.section	.text._ZN2at6native12_GLOBAL__N_125multi_tensor_apply_kernelINS1_18TensorListMetadataILi2EEENS1_11CopyFunctorIisLi2ELi1ELi1EEEJNS0_4CopyIisEEEEEvT_T0_DpT1_,"axG",@progbits,_ZN2at6native12_GLOBAL__N_125multi_tensor_apply_kernelINS1_18TensorListMetadataILi2EEENS1_11CopyFunctorIisLi2ELi1ELi1EEEJNS0_4CopyIisEEEEEvT_T0_DpT1_,comdat
	.globl	_ZN2at6native12_GLOBAL__N_125multi_tensor_apply_kernelINS1_18TensorListMetadataILi2EEENS1_11CopyFunctorIisLi2ELi1ELi1EEEJNS0_4CopyIisEEEEEvT_T0_DpT1_ ; -- Begin function _ZN2at6native12_GLOBAL__N_125multi_tensor_apply_kernelINS1_18TensorListMetadataILi2EEENS1_11CopyFunctorIisLi2ELi1ELi1EEEJNS0_4CopyIisEEEEEvT_T0_DpT1_
	.p2align	8
	.type	_ZN2at6native12_GLOBAL__N_125multi_tensor_apply_kernelINS1_18TensorListMetadataILi2EEENS1_11CopyFunctorIisLi2ELi1ELi1EEEJNS0_4CopyIisEEEEEvT_T0_DpT1_,@function
_ZN2at6native12_GLOBAL__N_125multi_tensor_apply_kernelINS1_18TensorListMetadataILi2EEENS1_11CopyFunctorIisLi2ELi1ELi1EEEJNS0_4CopyIisEEEEEvT_T0_DpT1_: ; @_ZN2at6native12_GLOBAL__N_125multi_tensor_apply_kernelINS1_18TensorListMetadataILi2EEENS1_11CopyFunctorIisLi2ELi1ELi1EEEJNS0_4CopyIisEEEEEvT_T0_DpT1_
; %bb.0:
	v_mov_b32_e32 v1, s15
	s_add_u32 s2, s0, s15
	s_mul_hi_u32 s3, s15, 3
	s_mul_i32 s15, s15, 3
	s_addc_u32 s4, s1, 0
	global_load_u8 v1, v1, s[0:1] offset:1536
	s_add_u32 s2, s2, s15
	s_addc_u32 s3, s4, s3
	s_mov_b32 s15, 0
	s_load_b32 s8, s[2:3], 0x740
	s_waitcnt lgkmcnt(0)
	s_ashr_i32 s9, s8, 31
	s_delay_alu instid0(SALU_CYCLE_1) | instskip(SKIP_3) | instid1(VALU_DEP_1)
	s_lshl_b64 s[10:11], s[8:9], 17
	s_lshl_b64 s[16:17], s[8:9], 16
	s_waitcnt vmcnt(0)
	v_readfirstlane_b32 s5, v1
	s_lshl_b32 s4, s5, 3
	s_clause 0x2
	s_load_b64 s[2:3], s[0:1], s4 offset:0x0
	s_load_b64 s[6:7], s[0:1], s4 offset:0x200
	;; [unrolled: 1-line block ×3, first 2 shown]
	s_waitcnt lgkmcnt(0)
	s_add_u32 s12, s2, s10
	s_addc_u32 s13, s3, s11
	s_and_b32 s18, s6, 15
	s_and_b32 s19, s4, 3
	;; [unrolled: 1-line block ×3, first 2 shown]
	s_or_b32 s18, s19, s18
	s_mov_b32 s19, s15
	s_delay_alu instid0(SALU_CYCLE_1)
	s_or_b64 s[14:15], s[14:15], s[18:19]
	s_sub_u32 s4, s4, s16
	s_subb_u32 s5, s5, s17
	s_cmp_eq_u64 s[14:15], 0
	s_mov_b32 s14, -1
	s_cbranch_scc0 .LBB191_5
; %bb.1:
	v_dual_mov_b32 v2, 0 :: v_dual_lshlrev_b32 v1, 2, v0
	s_mov_b32 s14, exec_lo
	s_delay_alu instid0(VALU_DEP_1)
	v_cmpx_gt_i64_e64 s[4:5], v[1:2]
	s_cbranch_execz .LBB191_4
; %bb.2:
	s_load_b32 s15, s[0:1], 0xc5c
	v_lshlrev_b32_e32 v4, 4, v0
	v_lshlrev_b32_e32 v3, 3, v0
	s_waitcnt lgkmcnt(0)
	s_and_b32 s16, s15, 0xffff
	s_add_u32 s15, s2, s10
	s_addc_u32 s17, s3, s11
	s_lshl_b64 s[2:3], s[8:9], 18
	s_lshl_b32 s10, s16, 3
	s_lshl_b32 s11, s16, 2
	s_add_u32 s2, s6, s2
	s_addc_u32 s3, s7, s3
	v_add_co_u32 v5, s2, s2, v4
	s_delay_alu instid0(VALU_DEP_1) | instskip(SKIP_1) | instid1(VALU_DEP_3)
	v_add_co_ci_u32_e64 v6, null, s3, 0, s2
	v_add_co_u32 v3, s2, s15, v3
	v_add_co_u32 v5, vcc_lo, v5, 8
	v_add_lshl_u32 v1, v0, s16, 2
	v_add_co_ci_u32_e64 v4, null, s17, 0, s2
	v_add_co_ci_u32_e32 v6, vcc_lo, 0, v6, vcc_lo
	s_mov_b32 s15, 0
	s_lshl_b32 s16, s16, 4
	.p2align	6
.LBB191_3:                              ; =>This Inner Loop Header: Depth=1
	global_load_b64 v[9:10], v[3:4], off
	v_cmp_le_i64_e32 vcc_lo, s[4:5], v[1:2]
	v_cmp_lt_u64_e64 s2, 0xffff, v[1:2]
	v_add_co_u32 v3, s3, v3, s10
	s_delay_alu instid0(VALU_DEP_1) | instskip(SKIP_1) | instid1(VALU_DEP_4)
	v_add_co_ci_u32_e64 v4, s3, 0, v4, s3
	v_add_co_u32 v1, s3, v1, s11
	s_or_b32 s2, vcc_lo, s2
	v_add_co_ci_u32_e64 v2, s3, 0, v2, s3
	s_and_b32 s2, exec_lo, s2
	s_delay_alu instid0(SALU_CYCLE_1)
	s_or_b32 s15, s2, s15
	s_waitcnt vmcnt(0)
	v_bfe_i32 v7, v9, 0, 16
	v_ashrrev_i32_e32 v8, 16, v9
	v_bfe_i32 v9, v10, 0, 16
	v_ashrrev_i32_e32 v10, 16, v10
	global_store_b128 v[5:6], v[7:10], off offset:-8
	v_add_co_u32 v5, vcc_lo, v5, s16
	v_add_co_ci_u32_e32 v6, vcc_lo, 0, v6, vcc_lo
	s_and_not1_b32 exec_lo, exec_lo, s15
	s_cbranch_execnz .LBB191_3
.LBB191_4:
	s_or_b32 exec_lo, exec_lo, s14
	s_mov_b32 s14, 0
.LBB191_5:
	s_delay_alu instid0(SALU_CYCLE_1)
	s_and_not1_b32 vcc_lo, exec_lo, s14
	s_cbranch_vccnz .LBB191_25
; %bb.6:
	v_cmp_lt_i64_e64 s2, s[4:5], 1
	s_delay_alu instid0(VALU_DEP_1)
	s_and_b32 vcc_lo, exec_lo, s2
	s_cbranch_vccnz .LBB191_25
; %bb.7:
	s_load_b32 s0, s[0:1], 0xc5c
	v_cmp_gt_u64_e64 s1, 0x10000, s[4:5]
	v_dual_mov_b32 v2, 0 :: v_dual_lshlrev_b32 v1, 1, v0
	v_lshlrev_b32_e32 v5, 2, v0
                                        ; implicit-def: $vgpr9_vgpr10
	s_waitcnt lgkmcnt(0)
	s_and_b32 s0, s0, 0xffff
	s_delay_alu instid0(VALU_DEP_3)
	s_and_b32 s1, s1, exec_lo
	v_mad_u64_u32 v[3:4], null, s0, 6, v[1:2]
	v_add_co_u32 v2, s15, v0, s0
	s_cselect_b32 s3, s5, 0
	s_cselect_b32 s2, s4, 0x10000
	s_mul_i32 s14, s0, 3
	s_lshl_b64 s[8:9], s[8:9], 18
	s_lshl_b32 s11, s0, 1
	s_lshl_b32 s1, s0, 2
	;; [unrolled: 1-line block ×3, first 2 shown]
	s_add_u32 s6, s6, s8
	v_add_co_u32 v19, s8, s14, v0
	v_lshlrev_b32_e32 v7, 2, v2
	v_add_co_ci_u32_e64 v20, null, 0, 0, s8
	s_addc_u32 s7, s7, s9
	v_add_co_u32 v5, s8, s6, v5
	s_delay_alu instid0(VALU_DEP_1) | instskip(SKIP_1) | instid1(VALU_DEP_1)
	v_add_co_ci_u32_e64 v6, null, s7, 0, s8
	v_add_co_u32 v21, s8, s1, v1
	v_add_co_ci_u32_e64 v22, null, 0, 0, s8
	v_add_co_u32 v24, s8, s11, v0
	v_add_co_u32 v7, s6, s6, v7
	v_add_co_ci_u32_e64 v23, null, 0, 0, s15
	v_add_co_ci_u32_e64 v25, null, 0, 0, s8
	v_lshlrev_b32_e32 v26, 1, v2
	v_add_co_ci_u32_e64 v8, null, s7, 0, s6
	s_lshl_b32 s8, s0, 4
	s_mul_i32 s9, s0, 12
	s_mov_b64 s[6:7], 0
	s_branch .LBB191_9
.LBB191_8:                              ;   in Loop: Header=BB191_9 Depth=1
	s_or_b32 exec_lo, exec_lo, s0
	s_add_u32 s6, s6, s1
	s_addc_u32 s7, s7, 0
	v_add_co_u32 v5, vcc_lo, v5, s8
	v_cmp_ge_i64_e64 s0, s[6:7], s[4:5]
	v_cmp_lt_u64_e64 s11, 0xffff, s[6:7]
	v_add_co_ci_u32_e32 v6, vcc_lo, 0, v6, vcc_lo
	v_add_co_u32 v7, vcc_lo, v7, s8
	v_add_co_ci_u32_e32 v8, vcc_lo, 0, v8, vcc_lo
	s_delay_alu instid0(VALU_DEP_4)
	s_or_b32 s0, s0, s11
	s_add_u32 s12, s12, s10
	s_addc_u32 s13, s13, 0
	s_and_b32 vcc_lo, exec_lo, s0
	s_cbranch_vccnz .LBB191_25
.LBB191_9:                              ; =>This Inner Loop Header: Depth=1
	v_add_co_u32 v11, s0, v0, s6
	s_delay_alu instid0(VALU_DEP_1) | instskip(NEXT) | instid1(VALU_DEP_1)
	v_add_co_ci_u32_e64 v12, null, 0, s7, s0
	v_cmp_gt_i64_e32 vcc_lo, s[4:5], v[11:12]
	v_cmp_gt_u64_e64 s0, 0x10000, v[11:12]
	s_delay_alu instid0(VALU_DEP_1) | instskip(NEXT) | instid1(SALU_CYCLE_1)
	s_and_b32 s11, vcc_lo, s0
	s_and_saveexec_b32 s0, s11
	s_cbranch_execz .LBB191_11
; %bb.10:                               ;   in Loop: Header=BB191_9 Depth=1
	v_add_co_u32 v13, s11, s12, v1
	s_delay_alu instid0(VALU_DEP_1)
	v_add_co_ci_u32_e64 v14, null, s13, 0, s11
	global_load_d16_b16 v9, v[13:14], off
.LBB191_11:                             ;   in Loop: Header=BB191_9 Depth=1
	s_or_b32 exec_lo, exec_lo, s0
	v_add_co_u32 v13, vcc_lo, v2, s6
	v_add_co_ci_u32_e32 v14, vcc_lo, s7, v23, vcc_lo
	s_delay_alu instid0(VALU_DEP_1) | instskip(SKIP_1) | instid1(VALU_DEP_1)
	v_cmp_gt_i64_e32 vcc_lo, s[4:5], v[13:14]
	v_cmp_gt_u64_e64 s0, 0x10000, v[13:14]
	s_and_b32 s11, vcc_lo, s0
	s_delay_alu instid0(SALU_CYCLE_1)
	s_and_saveexec_b32 s0, s11
	s_cbranch_execz .LBB191_13
; %bb.12:                               ;   in Loop: Header=BB191_9 Depth=1
	v_add_co_u32 v15, s11, s12, v26
	s_delay_alu instid0(VALU_DEP_1)
	v_add_co_ci_u32_e64 v16, null, s13, 0, s11
	global_load_d16_hi_b16 v9, v[15:16], off
.LBB191_13:                             ;   in Loop: Header=BB191_9 Depth=1
	s_or_b32 exec_lo, exec_lo, s0
	v_add_co_u32 v15, vcc_lo, v24, s6
	v_add_co_ci_u32_e32 v16, vcc_lo, s7, v25, vcc_lo
	s_delay_alu instid0(VALU_DEP_1) | instskip(SKIP_1) | instid1(VALU_DEP_1)
	v_cmp_gt_i64_e32 vcc_lo, s[4:5], v[15:16]
	v_cmp_gt_u64_e64 s0, 0x10000, v[15:16]
	s_and_b32 s11, vcc_lo, s0
	s_delay_alu instid0(SALU_CYCLE_1)
	s_and_saveexec_b32 s0, s11
	s_cbranch_execz .LBB191_15
; %bb.14:                               ;   in Loop: Header=BB191_9 Depth=1
	v_add_co_u32 v17, vcc_lo, s12, v21
	v_add_co_ci_u32_e32 v18, vcc_lo, s13, v22, vcc_lo
	global_load_d16_b16 v10, v[17:18], off
.LBB191_15:                             ;   in Loop: Header=BB191_9 Depth=1
	s_or_b32 exec_lo, exec_lo, s0
	v_add_co_u32 v17, vcc_lo, v19, s6
	v_add_co_ci_u32_e32 v18, vcc_lo, s7, v20, vcc_lo
	s_delay_alu instid0(VALU_DEP_1) | instskip(SKIP_1) | instid1(VALU_DEP_1)
	v_cmp_gt_i64_e32 vcc_lo, s[4:5], v[17:18]
	v_cmp_gt_u64_e64 s0, 0x10000, v[17:18]
	s_and_b32 s11, vcc_lo, s0
	s_delay_alu instid0(SALU_CYCLE_1)
	s_and_saveexec_b32 s0, s11
	s_cbranch_execnz .LBB191_20
; %bb.16:                               ;   in Loop: Header=BB191_9 Depth=1
	s_or_b32 exec_lo, exec_lo, s0
	s_delay_alu instid0(SALU_CYCLE_1)
	s_mov_b32 s0, exec_lo
	v_cmpx_gt_u64_e64 s[2:3], v[11:12]
	s_cbranch_execnz .LBB191_21
.LBB191_17:                             ;   in Loop: Header=BB191_9 Depth=1
	s_or_b32 exec_lo, exec_lo, s0
	s_delay_alu instid0(SALU_CYCLE_1)
	s_mov_b32 s0, exec_lo
	v_cmpx_gt_u64_e64 s[2:3], v[13:14]
	s_cbranch_execnz .LBB191_22
.LBB191_18:                             ;   in Loop: Header=BB191_9 Depth=1
	s_or_b32 exec_lo, exec_lo, s0
	s_delay_alu instid0(SALU_CYCLE_1)
	s_mov_b32 s0, exec_lo
	v_cmpx_gt_u64_e64 s[2:3], v[15:16]
	s_cbranch_execnz .LBB191_23
.LBB191_19:                             ;   in Loop: Header=BB191_9 Depth=1
	s_or_b32 exec_lo, exec_lo, s0
	s_delay_alu instid0(SALU_CYCLE_1)
	s_mov_b32 s0, exec_lo
	v_cmpx_gt_u64_e64 s[2:3], v[17:18]
	s_cbranch_execz .LBB191_8
	s_branch .LBB191_24
.LBB191_20:                             ;   in Loop: Header=BB191_9 Depth=1
	v_add_co_u32 v27, vcc_lo, s12, v3
	v_add_co_ci_u32_e32 v28, vcc_lo, s13, v4, vcc_lo
	global_load_d16_hi_b16 v10, v[27:28], off
	s_or_b32 exec_lo, exec_lo, s0
	s_delay_alu instid0(SALU_CYCLE_1)
	s_mov_b32 s0, exec_lo
	v_cmpx_gt_u64_e64 s[2:3], v[11:12]
	s_cbranch_execz .LBB191_17
.LBB191_21:                             ;   in Loop: Header=BB191_9 Depth=1
	s_waitcnt vmcnt(0)
	v_bfe_i32 v11, v9, 0, 16
	global_store_b32 v[5:6], v11, off
	s_or_b32 exec_lo, exec_lo, s0
	s_delay_alu instid0(SALU_CYCLE_1)
	s_mov_b32 s0, exec_lo
	v_cmpx_gt_u64_e64 s[2:3], v[13:14]
	s_cbranch_execz .LBB191_18
.LBB191_22:                             ;   in Loop: Header=BB191_9 Depth=1
	s_waitcnt vmcnt(0)
	v_ashrrev_i32_e32 v11, 16, v9
	global_store_b32 v[7:8], v11, off
	s_or_b32 exec_lo, exec_lo, s0
	s_delay_alu instid0(SALU_CYCLE_1)
	s_mov_b32 s0, exec_lo
	v_cmpx_gt_u64_e64 s[2:3], v[15:16]
	s_cbranch_execz .LBB191_19
.LBB191_23:                             ;   in Loop: Header=BB191_9 Depth=1
	v_add_co_u32 v11, vcc_lo, v5, s10
	s_waitcnt vmcnt(0)
	v_bfe_i32 v13, v10, 0, 16
	v_add_co_ci_u32_e32 v12, vcc_lo, 0, v6, vcc_lo
	global_store_b32 v[11:12], v13, off
	s_or_b32 exec_lo, exec_lo, s0
	s_delay_alu instid0(SALU_CYCLE_1)
	s_mov_b32 s0, exec_lo
	v_cmpx_gt_u64_e64 s[2:3], v[17:18]
	s_cbranch_execz .LBB191_8
.LBB191_24:                             ;   in Loop: Header=BB191_9 Depth=1
	v_add_co_u32 v11, vcc_lo, v5, s9
	s_waitcnt vmcnt(0)
	v_ashrrev_i32_e32 v13, 16, v10
	v_add_co_ci_u32_e32 v12, vcc_lo, 0, v6, vcc_lo
	global_store_b32 v[11:12], v13, off
	s_branch .LBB191_8
.LBB191_25:
	s_nop 0
	s_sendmsg sendmsg(MSG_DEALLOC_VGPRS)
	s_endpgm
	.section	.rodata,"a",@progbits
	.p2align	6, 0x0
	.amdhsa_kernel _ZN2at6native12_GLOBAL__N_125multi_tensor_apply_kernelINS1_18TensorListMetadataILi2EEENS1_11CopyFunctorIisLi2ELi1ELi1EEEJNS0_4CopyIisEEEEEvT_T0_DpT1_
		.amdhsa_group_segment_fixed_size 0
		.amdhsa_private_segment_fixed_size 0
		.amdhsa_kernarg_size 3408
		.amdhsa_user_sgpr_count 15
		.amdhsa_user_sgpr_dispatch_ptr 0
		.amdhsa_user_sgpr_queue_ptr 0
		.amdhsa_user_sgpr_kernarg_segment_ptr 1
		.amdhsa_user_sgpr_dispatch_id 0
		.amdhsa_user_sgpr_private_segment_size 0
		.amdhsa_wavefront_size32 1
		.amdhsa_uses_dynamic_stack 0
		.amdhsa_enable_private_segment 0
		.amdhsa_system_sgpr_workgroup_id_x 1
		.amdhsa_system_sgpr_workgroup_id_y 0
		.amdhsa_system_sgpr_workgroup_id_z 0
		.amdhsa_system_sgpr_workgroup_info 0
		.amdhsa_system_vgpr_workitem_id 0
		.amdhsa_next_free_vgpr 29
		.amdhsa_next_free_sgpr 20
		.amdhsa_reserve_vcc 1
		.amdhsa_float_round_mode_32 0
		.amdhsa_float_round_mode_16_64 0
		.amdhsa_float_denorm_mode_32 3
		.amdhsa_float_denorm_mode_16_64 3
		.amdhsa_dx10_clamp 1
		.amdhsa_ieee_mode 1
		.amdhsa_fp16_overflow 0
		.amdhsa_workgroup_processor_mode 1
		.amdhsa_memory_ordered 1
		.amdhsa_forward_progress 0
		.amdhsa_shared_vgpr_count 0
		.amdhsa_exception_fp_ieee_invalid_op 0
		.amdhsa_exception_fp_denorm_src 0
		.amdhsa_exception_fp_ieee_div_zero 0
		.amdhsa_exception_fp_ieee_overflow 0
		.amdhsa_exception_fp_ieee_underflow 0
		.amdhsa_exception_fp_ieee_inexact 0
		.amdhsa_exception_int_div_zero 0
	.end_amdhsa_kernel
	.section	.text._ZN2at6native12_GLOBAL__N_125multi_tensor_apply_kernelINS1_18TensorListMetadataILi2EEENS1_11CopyFunctorIisLi2ELi1ELi1EEEJNS0_4CopyIisEEEEEvT_T0_DpT1_,"axG",@progbits,_ZN2at6native12_GLOBAL__N_125multi_tensor_apply_kernelINS1_18TensorListMetadataILi2EEENS1_11CopyFunctorIisLi2ELi1ELi1EEEJNS0_4CopyIisEEEEEvT_T0_DpT1_,comdat
.Lfunc_end191:
	.size	_ZN2at6native12_GLOBAL__N_125multi_tensor_apply_kernelINS1_18TensorListMetadataILi2EEENS1_11CopyFunctorIisLi2ELi1ELi1EEEJNS0_4CopyIisEEEEEvT_T0_DpT1_, .Lfunc_end191-_ZN2at6native12_GLOBAL__N_125multi_tensor_apply_kernelINS1_18TensorListMetadataILi2EEENS1_11CopyFunctorIisLi2ELi1ELi1EEEJNS0_4CopyIisEEEEEvT_T0_DpT1_
                                        ; -- End function
	.section	.AMDGPU.csdata,"",@progbits
; Kernel info:
; codeLenInByte = 1404
; NumSgprs: 22
; NumVgprs: 29
; ScratchSize: 0
; MemoryBound: 0
; FloatMode: 240
; IeeeMode: 1
; LDSByteSize: 0 bytes/workgroup (compile time only)
; SGPRBlocks: 2
; VGPRBlocks: 3
; NumSGPRsForWavesPerEU: 22
; NumVGPRsForWavesPerEU: 29
; Occupancy: 16
; WaveLimiterHint : 0
; COMPUTE_PGM_RSRC2:SCRATCH_EN: 0
; COMPUTE_PGM_RSRC2:USER_SGPR: 15
; COMPUTE_PGM_RSRC2:TRAP_HANDLER: 0
; COMPUTE_PGM_RSRC2:TGID_X_EN: 1
; COMPUTE_PGM_RSRC2:TGID_Y_EN: 0
; COMPUTE_PGM_RSRC2:TGID_Z_EN: 0
; COMPUTE_PGM_RSRC2:TIDIG_COMP_CNT: 0
	.section	.text._ZN2at6native12_GLOBAL__N_125multi_tensor_apply_kernelINS1_18TensorListMetadataILi2EEENS1_14UnaryOpFunctorIiLi2ELi1ELi1EEEJNS0_4CopyIiiEEEEEvT_T0_DpT1_,"axG",@progbits,_ZN2at6native12_GLOBAL__N_125multi_tensor_apply_kernelINS1_18TensorListMetadataILi2EEENS1_14UnaryOpFunctorIiLi2ELi1ELi1EEEJNS0_4CopyIiiEEEEEvT_T0_DpT1_,comdat
	.globl	_ZN2at6native12_GLOBAL__N_125multi_tensor_apply_kernelINS1_18TensorListMetadataILi2EEENS1_14UnaryOpFunctorIiLi2ELi1ELi1EEEJNS0_4CopyIiiEEEEEvT_T0_DpT1_ ; -- Begin function _ZN2at6native12_GLOBAL__N_125multi_tensor_apply_kernelINS1_18TensorListMetadataILi2EEENS1_14UnaryOpFunctorIiLi2ELi1ELi1EEEJNS0_4CopyIiiEEEEEvT_T0_DpT1_
	.p2align	8
	.type	_ZN2at6native12_GLOBAL__N_125multi_tensor_apply_kernelINS1_18TensorListMetadataILi2EEENS1_14UnaryOpFunctorIiLi2ELi1ELi1EEEJNS0_4CopyIiiEEEEEvT_T0_DpT1_,@function
_ZN2at6native12_GLOBAL__N_125multi_tensor_apply_kernelINS1_18TensorListMetadataILi2EEENS1_14UnaryOpFunctorIiLi2ELi1ELi1EEEJNS0_4CopyIiiEEEEEvT_T0_DpT1_: ; @_ZN2at6native12_GLOBAL__N_125multi_tensor_apply_kernelINS1_18TensorListMetadataILi2EEENS1_14UnaryOpFunctorIiLi2ELi1ELi1EEEJNS0_4CopyIiiEEEEEvT_T0_DpT1_
; %bb.0:
	v_mov_b32_e32 v1, s15
	s_add_u32 s2, s0, s15
	s_mul_hi_u32 s3, s15, 3
	s_mul_i32 s15, s15, 3
	s_addc_u32 s4, s1, 0
	global_load_u8 v1, v1, s[0:1] offset:1536
	s_add_u32 s2, s2, s15
	s_addc_u32 s3, s4, s3
	s_mov_b32 s17, 0
	s_load_b32 s2, s[2:3], 0x740
	s_mov_b32 s19, s17
	s_mov_b32 s21, s17
	s_waitcnt vmcnt(0)
	v_readfirstlane_b32 s5, v1
	s_delay_alu instid0(VALU_DEP_1)
	s_lshl_b32 s3, s5, 3
	s_clause 0x2
	s_load_b64 s[10:11], s[0:1], s3 offset:0x0
	s_load_b64 s[12:13], s[0:1], s3 offset:0x200
	;; [unrolled: 1-line block ×3, first 2 shown]
	s_waitcnt lgkmcnt(0)
	s_ashr_i32 s3, s2, 31
	s_delay_alu instid0(SALU_CYCLE_1) | instskip(NEXT) | instid1(SALU_CYCLE_1)
	s_lshl_b64 s[4:5], s[2:3], 18
	s_add_u32 s8, s10, s4
	s_addc_u32 s9, s11, s5
	s_and_b32 s16, s8, 15
	s_add_u32 s14, s12, s4
	s_addc_u32 s15, s13, s5
	s_and_b32 s18, s6, 3
	s_and_b32 s20, s14, 15
	s_or_b64 s[16:17], s[16:17], s[18:19]
	s_lshl_b64 s[2:3], s[2:3], 16
	s_or_b64 s[16:17], s[20:21], s[16:17]
	s_sub_u32 s6, s6, s2
	s_subb_u32 s7, s7, s3
	s_cmp_eq_u64 s[16:17], 0
	s_mov_b32 s2, -1
	s_cbranch_scc0 .LBB192_5
; %bb.1:
	v_dual_mov_b32 v2, 0 :: v_dual_lshlrev_b32 v1, 2, v0
	s_mov_b32 s16, exec_lo
	s_delay_alu instid0(VALU_DEP_1)
	v_cmpx_gt_i64_e64 s[6:7], v[1:2]
	s_cbranch_execz .LBB192_4
; %bb.2:
	s_load_b32 s2, s[0:1], 0xc5c
	v_lshlrev_b32_e32 v3, 4, v0
	s_mov_b32 s17, 0
	s_waitcnt lgkmcnt(0)
	s_and_b32 s2, s2, 0xffff
	s_delay_alu instid0(SALU_CYCLE_1)
	v_add_lshl_u32 v1, v0, s2, 2
	s_lshl_b32 s18, s2, 2
	s_lshl_b32 s19, s2, 4
	.p2align	6
.LBB192_3:                              ; =>This Inner Loop Header: Depth=1
	v_add_co_u32 v4, s2, s8, v3
	s_delay_alu instid0(VALU_DEP_1)
	v_add_co_ci_u32_e64 v5, null, s9, 0, s2
	v_cmp_le_i64_e32 vcc_lo, s[6:7], v[1:2]
	v_cmp_lt_u64_e64 s2, 0xffff, v[1:2]
	v_add_co_u32 v8, s3, s14, v3
	global_load_b128 v[4:7], v[4:5], off
	v_add_co_ci_u32_e64 v9, null, s15, 0, s3
	s_or_b32 s2, vcc_lo, s2
	s_add_u32 s8, s8, s19
	v_add_co_u32 v1, s3, v1, s18
	s_addc_u32 s9, s9, 0
	s_add_u32 s14, s14, s19
	v_add_co_ci_u32_e64 v2, s3, 0, v2, s3
	s_addc_u32 s15, s15, 0
	s_and_b32 s2, exec_lo, s2
	s_delay_alu instid0(SALU_CYCLE_1)
	s_or_b32 s17, s2, s17
	s_waitcnt vmcnt(0)
	global_store_b128 v[8:9], v[4:7], off
	s_and_not1_b32 exec_lo, exec_lo, s17
	s_cbranch_execnz .LBB192_3
.LBB192_4:
	s_or_b32 exec_lo, exec_lo, s16
	s_mov_b32 s2, 0
.LBB192_5:
	s_delay_alu instid0(SALU_CYCLE_1)
	s_and_not1_b32 vcc_lo, exec_lo, s2
	s_cbranch_vccnz .LBB192_25
; %bb.6:
	v_cmp_lt_i64_e64 s2, s[6:7], 1
	s_delay_alu instid0(VALU_DEP_1)
	s_and_b32 vcc_lo, exec_lo, s2
	s_cbranch_vccnz .LBB192_25
; %bb.7:
	s_load_b32 s0, s[0:1], 0xc5c
	v_dual_mov_b32 v10, 0 :: v_dual_lshlrev_b32 v9, 2, v0
	v_cmp_gt_u64_e64 s1, 0x10000, s[6:7]
	s_delay_alu instid0(VALU_DEP_2) | instskip(NEXT) | instid1(VALU_DEP_1)
	v_add_co_u32 v1, s2, s10, v9
	v_add_co_ci_u32_e64 v2, null, s11, 0, s2
	v_add_co_u32 v3, s2, s12, v9
	s_delay_alu instid0(VALU_DEP_1)
	v_add_co_ci_u32_e64 v4, null, s13, 0, s2
	s_waitcnt lgkmcnt(0)
	s_and_b32 s0, s0, 0xffff
	s_and_b32 s1, s1, exec_lo
	v_mad_u64_u32 v[7:8], null, s0, 12, v[9:10]
	s_cselect_b32 s9, s7, 0
	s_cselect_b32 s8, s6, 0x10000
	s_mul_i32 s2, s0, 3
	s_lshl_b32 s3, s0, 3
	s_lshl_b32 s1, s0, 1
	v_add_co_u32 v14, s3, s3, v9
	v_add_co_u32 v9, s2, s2, v0
	s_delay_alu instid0(VALU_DEP_1) | instskip(SKIP_3) | instid1(VALU_DEP_3)
	v_add_co_ci_u32_e64 v10, null, 0, 0, s2
	v_add_co_u32 v13, s2, v0, s0
	v_add_co_u32 v5, vcc_lo, s10, v7
	v_add_co_ci_u32_e32 v6, vcc_lo, s11, v8, vcc_lo
	v_lshlrev_b32_e32 v21, 2, v13
	v_add_co_u32 v7, vcc_lo, s12, v7
	v_add_co_ci_u32_e64 v15, null, 0, 0, s3
	v_add_co_ci_u32_e32 v8, vcc_lo, s13, v8, vcc_lo
	v_add_co_u32 v17, s1, s1, v0
	v_add_co_u32 v11, vcc_lo, s10, v14
	v_add_co_ci_u32_e64 v18, null, 0, 0, s1
	v_add_co_u32 v19, s1, s10, v21
	v_add_co_ci_u32_e32 v12, vcc_lo, s11, v15, vcc_lo
	v_add_co_u32 v14, vcc_lo, s12, v14
	v_add_co_ci_u32_e64 v20, null, s11, 0, s1
	v_add_co_u32 v21, s1, s12, v21
	v_add_co_ci_u32_e32 v15, vcc_lo, s13, v15, vcc_lo
	v_add_co_ci_u32_e64 v16, null, 0, 0, s2
	v_add_co_ci_u32_e64 v22, null, s13, 0, s1
	s_lshl_b32 s12, s0, 2
	s_lshl_b32 s13, s0, 4
	s_mov_b64 s[10:11], 0
	s_branch .LBB192_9
.LBB192_8:                              ;   in Loop: Header=BB192_9 Depth=1
	s_or_b32 exec_lo, exec_lo, s0
	v_add_co_u32 v1, vcc_lo, v1, s13
	v_add_co_ci_u32_e32 v2, vcc_lo, 0, v2, vcc_lo
	v_add_co_u32 v3, vcc_lo, v3, s13
	v_add_co_ci_u32_e32 v4, vcc_lo, 0, v4, vcc_lo
	;; [unrolled: 2-line block ×5, first 2 shown]
	s_add_u32 s10, s10, s12
	v_add_co_u32 v14, vcc_lo, v14, s13
	s_addc_u32 s11, s11, 0
	v_add_co_ci_u32_e32 v15, vcc_lo, 0, v15, vcc_lo
	v_cmp_ge_i64_e64 s0, s[10:11], s[6:7]
	v_cmp_lt_u64_e64 s1, 0xffff, s[10:11]
	v_add_co_u32 v19, vcc_lo, v19, s13
	v_add_co_ci_u32_e32 v20, vcc_lo, 0, v20, vcc_lo
	v_add_co_u32 v21, vcc_lo, v21, s13
	v_add_co_ci_u32_e32 v22, vcc_lo, 0, v22, vcc_lo
	s_or_b32 s0, s0, s1
	s_delay_alu instid0(SALU_CYCLE_1)
	s_and_b32 vcc_lo, exec_lo, s0
	s_cbranch_vccnz .LBB192_25
.LBB192_9:                              ; =>This Inner Loop Header: Depth=1
	s_waitcnt vmcnt(0)
	v_add_co_u32 v23, s0, v0, s10
	s_delay_alu instid0(VALU_DEP_1) | instskip(NEXT) | instid1(VALU_DEP_1)
	v_add_co_ci_u32_e64 v24, null, 0, s11, s0
	v_cmp_gt_u64_e32 vcc_lo, s[8:9], v[23:24]
	v_mov_b32_e32 v23, 0
	s_and_saveexec_b32 s1, vcc_lo
	s_cbranch_execz .LBB192_11
; %bb.10:                               ;   in Loop: Header=BB192_9 Depth=1
	v_add_co_u32 v23, s0, v1, s4
	s_delay_alu instid0(VALU_DEP_1)
	v_add_co_ci_u32_e64 v24, s0, s5, v2, s0
	global_load_b32 v23, v[23:24], off
.LBB192_11:                             ;   in Loop: Header=BB192_9 Depth=1
	s_or_b32 exec_lo, exec_lo, s1
	v_add_co_u32 v24, s0, v13, s10
	s_delay_alu instid0(VALU_DEP_1) | instskip(NEXT) | instid1(VALU_DEP_1)
	v_add_co_ci_u32_e64 v25, s0, s11, v16, s0
	v_cmp_gt_u64_e64 s0, s[8:9], v[24:25]
	v_mov_b32_e32 v25, 0
	s_delay_alu instid0(VALU_DEP_2)
	s_and_saveexec_b32 s2, s0
	s_cbranch_execz .LBB192_13
; %bb.12:                               ;   in Loop: Header=BB192_9 Depth=1
	v_add_co_u32 v24, s1, v19, s4
	s_delay_alu instid0(VALU_DEP_1)
	v_add_co_ci_u32_e64 v25, s1, s5, v20, s1
	global_load_b32 v25, v[24:25], off
.LBB192_13:                             ;   in Loop: Header=BB192_9 Depth=1
	s_or_b32 exec_lo, exec_lo, s2
	v_add_co_u32 v26, s1, v17, s10
	s_delay_alu instid0(VALU_DEP_1) | instskip(SKIP_1) | instid1(VALU_DEP_2)
	v_add_co_ci_u32_e64 v27, s1, s11, v18, s1
	v_mov_b32_e32 v24, 0
	v_cmp_gt_u64_e64 s1, s[8:9], v[26:27]
	v_mov_b32_e32 v26, 0
	s_delay_alu instid0(VALU_DEP_2)
	s_and_saveexec_b32 s3, s1
	s_cbranch_execz .LBB192_15
; %bb.14:                               ;   in Loop: Header=BB192_9 Depth=1
	v_add_co_u32 v26, s2, v11, s4
	s_delay_alu instid0(VALU_DEP_1)
	v_add_co_ci_u32_e64 v27, s2, s5, v12, s2
	global_load_b32 v26, v[26:27], off
.LBB192_15:                             ;   in Loop: Header=BB192_9 Depth=1
	s_or_b32 exec_lo, exec_lo, s3
	v_add_co_u32 v27, s2, v9, s10
	s_delay_alu instid0(VALU_DEP_1) | instskip(NEXT) | instid1(VALU_DEP_1)
	v_add_co_ci_u32_e64 v28, s2, s11, v10, s2
	v_cmp_gt_u64_e64 s2, s[8:9], v[27:28]
	s_delay_alu instid0(VALU_DEP_1)
	s_and_saveexec_b32 s14, s2
	s_cbranch_execnz .LBB192_20
; %bb.16:                               ;   in Loop: Header=BB192_9 Depth=1
	s_or_b32 exec_lo, exec_lo, s14
	s_and_saveexec_b32 s3, vcc_lo
	s_cbranch_execnz .LBB192_21
.LBB192_17:                             ;   in Loop: Header=BB192_9 Depth=1
	s_or_b32 exec_lo, exec_lo, s3
	s_and_saveexec_b32 s3, s0
	s_cbranch_execnz .LBB192_22
.LBB192_18:                             ;   in Loop: Header=BB192_9 Depth=1
	s_or_b32 exec_lo, exec_lo, s3
	s_and_saveexec_b32 s0, s1
	s_cbranch_execnz .LBB192_23
.LBB192_19:                             ;   in Loop: Header=BB192_9 Depth=1
	s_or_b32 exec_lo, exec_lo, s0
	s_and_saveexec_b32 s0, s2
	s_cbranch_execz .LBB192_8
	s_branch .LBB192_24
.LBB192_20:                             ;   in Loop: Header=BB192_9 Depth=1
	v_add_co_u32 v27, s3, v5, s4
	s_delay_alu instid0(VALU_DEP_1)
	v_add_co_ci_u32_e64 v28, s3, s5, v6, s3
	global_load_b32 v24, v[27:28], off
	s_or_b32 exec_lo, exec_lo, s14
	s_and_saveexec_b32 s3, vcc_lo
	s_cbranch_execz .LBB192_17
.LBB192_21:                             ;   in Loop: Header=BB192_9 Depth=1
	v_add_co_u32 v27, vcc_lo, v3, s4
	v_add_co_ci_u32_e32 v28, vcc_lo, s5, v4, vcc_lo
	s_waitcnt vmcnt(0)
	global_store_b32 v[27:28], v23, off
	s_or_b32 exec_lo, exec_lo, s3
	s_and_saveexec_b32 s3, s0
	s_cbranch_execz .LBB192_18
.LBB192_22:                             ;   in Loop: Header=BB192_9 Depth=1
	v_add_co_u32 v27, vcc_lo, v21, s4
	v_add_co_ci_u32_e32 v28, vcc_lo, s5, v22, vcc_lo
	s_waitcnt vmcnt(0)
	global_store_b32 v[27:28], v25, off
	s_or_b32 exec_lo, exec_lo, s3
	s_and_saveexec_b32 s0, s1
	s_cbranch_execz .LBB192_19
.LBB192_23:                             ;   in Loop: Header=BB192_9 Depth=1
	v_add_co_u32 v27, vcc_lo, v14, s4
	v_add_co_ci_u32_e32 v28, vcc_lo, s5, v15, vcc_lo
	s_waitcnt vmcnt(0)
	global_store_b32 v[27:28], v26, off
	s_or_b32 exec_lo, exec_lo, s0
	s_and_saveexec_b32 s0, s2
	s_cbranch_execz .LBB192_8
.LBB192_24:                             ;   in Loop: Header=BB192_9 Depth=1
	s_waitcnt vmcnt(0)
	v_add_co_u32 v25, vcc_lo, v7, s4
	v_add_co_ci_u32_e32 v26, vcc_lo, s5, v8, vcc_lo
	global_store_b32 v[25:26], v24, off
	s_branch .LBB192_8
.LBB192_25:
	s_nop 0
	s_sendmsg sendmsg(MSG_DEALLOC_VGPRS)
	s_endpgm
	.section	.rodata,"a",@progbits
	.p2align	6, 0x0
	.amdhsa_kernel _ZN2at6native12_GLOBAL__N_125multi_tensor_apply_kernelINS1_18TensorListMetadataILi2EEENS1_14UnaryOpFunctorIiLi2ELi1ELi1EEEJNS0_4CopyIiiEEEEEvT_T0_DpT1_
		.amdhsa_group_segment_fixed_size 0
		.amdhsa_private_segment_fixed_size 0
		.amdhsa_kernarg_size 3408
		.amdhsa_user_sgpr_count 15
		.amdhsa_user_sgpr_dispatch_ptr 0
		.amdhsa_user_sgpr_queue_ptr 0
		.amdhsa_user_sgpr_kernarg_segment_ptr 1
		.amdhsa_user_sgpr_dispatch_id 0
		.amdhsa_user_sgpr_private_segment_size 0
		.amdhsa_wavefront_size32 1
		.amdhsa_uses_dynamic_stack 0
		.amdhsa_enable_private_segment 0
		.amdhsa_system_sgpr_workgroup_id_x 1
		.amdhsa_system_sgpr_workgroup_id_y 0
		.amdhsa_system_sgpr_workgroup_id_z 0
		.amdhsa_system_sgpr_workgroup_info 0
		.amdhsa_system_vgpr_workitem_id 0
		.amdhsa_next_free_vgpr 29
		.amdhsa_next_free_sgpr 22
		.amdhsa_reserve_vcc 1
		.amdhsa_float_round_mode_32 0
		.amdhsa_float_round_mode_16_64 0
		.amdhsa_float_denorm_mode_32 3
		.amdhsa_float_denorm_mode_16_64 3
		.amdhsa_dx10_clamp 1
		.amdhsa_ieee_mode 1
		.amdhsa_fp16_overflow 0
		.amdhsa_workgroup_processor_mode 1
		.amdhsa_memory_ordered 1
		.amdhsa_forward_progress 0
		.amdhsa_shared_vgpr_count 0
		.amdhsa_exception_fp_ieee_invalid_op 0
		.amdhsa_exception_fp_denorm_src 0
		.amdhsa_exception_fp_ieee_div_zero 0
		.amdhsa_exception_fp_ieee_overflow 0
		.amdhsa_exception_fp_ieee_underflow 0
		.amdhsa_exception_fp_ieee_inexact 0
		.amdhsa_exception_int_div_zero 0
	.end_amdhsa_kernel
	.section	.text._ZN2at6native12_GLOBAL__N_125multi_tensor_apply_kernelINS1_18TensorListMetadataILi2EEENS1_14UnaryOpFunctorIiLi2ELi1ELi1EEEJNS0_4CopyIiiEEEEEvT_T0_DpT1_,"axG",@progbits,_ZN2at6native12_GLOBAL__N_125multi_tensor_apply_kernelINS1_18TensorListMetadataILi2EEENS1_14UnaryOpFunctorIiLi2ELi1ELi1EEEJNS0_4CopyIiiEEEEEvT_T0_DpT1_,comdat
.Lfunc_end192:
	.size	_ZN2at6native12_GLOBAL__N_125multi_tensor_apply_kernelINS1_18TensorListMetadataILi2EEENS1_14UnaryOpFunctorIiLi2ELi1ELi1EEEJNS0_4CopyIiiEEEEEvT_T0_DpT1_, .Lfunc_end192-_ZN2at6native12_GLOBAL__N_125multi_tensor_apply_kernelINS1_18TensorListMetadataILi2EEENS1_14UnaryOpFunctorIiLi2ELi1ELi1EEEJNS0_4CopyIiiEEEEEvT_T0_DpT1_
                                        ; -- End function
	.section	.AMDGPU.csdata,"",@progbits
; Kernel info:
; codeLenInByte = 1356
; NumSgprs: 24
; NumVgprs: 29
; ScratchSize: 0
; MemoryBound: 0
; FloatMode: 240
; IeeeMode: 1
; LDSByteSize: 0 bytes/workgroup (compile time only)
; SGPRBlocks: 2
; VGPRBlocks: 3
; NumSGPRsForWavesPerEU: 24
; NumVGPRsForWavesPerEU: 29
; Occupancy: 16
; WaveLimiterHint : 0
; COMPUTE_PGM_RSRC2:SCRATCH_EN: 0
; COMPUTE_PGM_RSRC2:USER_SGPR: 15
; COMPUTE_PGM_RSRC2:TRAP_HANDLER: 0
; COMPUTE_PGM_RSRC2:TGID_X_EN: 1
; COMPUTE_PGM_RSRC2:TGID_Y_EN: 0
; COMPUTE_PGM_RSRC2:TGID_Z_EN: 0
; COMPUTE_PGM_RSRC2:TIDIG_COMP_CNT: 0
	.section	.text._ZN2at6native12_GLOBAL__N_125multi_tensor_apply_kernelINS1_18TensorListMetadataILi2EEENS1_11CopyFunctorIidLi2ELi1ELi1EEEJNS0_4CopyIidEEEEEvT_T0_DpT1_,"axG",@progbits,_ZN2at6native12_GLOBAL__N_125multi_tensor_apply_kernelINS1_18TensorListMetadataILi2EEENS1_11CopyFunctorIidLi2ELi1ELi1EEEJNS0_4CopyIidEEEEEvT_T0_DpT1_,comdat
	.globl	_ZN2at6native12_GLOBAL__N_125multi_tensor_apply_kernelINS1_18TensorListMetadataILi2EEENS1_11CopyFunctorIidLi2ELi1ELi1EEEJNS0_4CopyIidEEEEEvT_T0_DpT1_ ; -- Begin function _ZN2at6native12_GLOBAL__N_125multi_tensor_apply_kernelINS1_18TensorListMetadataILi2EEENS1_11CopyFunctorIidLi2ELi1ELi1EEEJNS0_4CopyIidEEEEEvT_T0_DpT1_
	.p2align	8
	.type	_ZN2at6native12_GLOBAL__N_125multi_tensor_apply_kernelINS1_18TensorListMetadataILi2EEENS1_11CopyFunctorIidLi2ELi1ELi1EEEJNS0_4CopyIidEEEEEvT_T0_DpT1_,@function
_ZN2at6native12_GLOBAL__N_125multi_tensor_apply_kernelINS1_18TensorListMetadataILi2EEENS1_11CopyFunctorIidLi2ELi1ELi1EEEJNS0_4CopyIidEEEEEvT_T0_DpT1_: ; @_ZN2at6native12_GLOBAL__N_125multi_tensor_apply_kernelINS1_18TensorListMetadataILi2EEENS1_11CopyFunctorIidLi2ELi1ELi1EEEJNS0_4CopyIidEEEEEvT_T0_DpT1_
; %bb.0:
	v_mov_b32_e32 v1, s15
	s_add_u32 s2, s0, s15
	s_mul_hi_u32 s3, s15, 3
	s_mul_i32 s15, s15, 3
	s_addc_u32 s4, s1, 0
	global_load_u8 v1, v1, s[0:1] offset:1536
	s_add_u32 s2, s2, s15
	s_addc_u32 s3, s4, s3
	s_mov_b32 s15, 0
	s_load_b32 s8, s[2:3], 0x740
	s_waitcnt lgkmcnt(0)
	s_ashr_i32 s9, s8, 31
	s_delay_alu instid0(SALU_CYCLE_1) | instskip(SKIP_3) | instid1(VALU_DEP_1)
	s_lshl_b64 s[10:11], s[8:9], 19
	s_lshl_b64 s[16:17], s[8:9], 16
	s_waitcnt vmcnt(0)
	v_readfirstlane_b32 s5, v1
	s_lshl_b32 s4, s5, 3
	s_clause 0x2
	s_load_b64 s[2:3], s[0:1], s4 offset:0x0
	s_load_b64 s[6:7], s[0:1], s4 offset:0x200
	;; [unrolled: 1-line block ×3, first 2 shown]
	s_waitcnt lgkmcnt(0)
	s_add_u32 s12, s2, s10
	s_addc_u32 s13, s3, s11
	s_and_b32 s18, s6, 15
	s_and_b32 s19, s4, 3
	;; [unrolled: 1-line block ×3, first 2 shown]
	s_or_b32 s18, s19, s18
	s_mov_b32 s19, s15
	s_delay_alu instid0(SALU_CYCLE_1)
	s_or_b64 s[14:15], s[14:15], s[18:19]
	s_sub_u32 s4, s4, s16
	s_subb_u32 s5, s5, s17
	s_cmp_eq_u64 s[14:15], 0
	s_mov_b32 s14, -1
	s_cbranch_scc0 .LBB193_5
; %bb.1:
	v_dual_mov_b32 v2, 0 :: v_dual_lshlrev_b32 v1, 2, v0
	s_mov_b32 s14, exec_lo
	s_delay_alu instid0(VALU_DEP_1)
	v_cmpx_gt_i64_e64 s[4:5], v[1:2]
	s_cbranch_execz .LBB193_4
; %bb.2:
	s_load_b32 s15, s[0:1], 0xc5c
	v_lshlrev_b32_e32 v4, 4, v0
	v_lshlrev_b32_e32 v3, 5, v0
	s_waitcnt lgkmcnt(0)
	s_and_b32 s16, s15, 0xffff
	s_delay_alu instid0(SALU_CYCLE_1)
	s_lshl_b32 s15, s16, 2
	s_add_u32 s17, s2, s10
	s_addc_u32 s11, s3, s11
	s_lshl_b64 s[2:3], s[8:9], 18
	s_lshl_b32 s10, s16, 5
	s_add_u32 s2, s6, s2
	s_addc_u32 s3, s7, s3
	v_add_co_u32 v5, s2, s2, v4
	s_delay_alu instid0(VALU_DEP_1) | instskip(SKIP_1) | instid1(VALU_DEP_3)
	v_add_co_ci_u32_e64 v6, null, s3, 0, s2
	v_add_co_u32 v3, s2, s17, v3
	v_add_co_u32 v5, vcc_lo, v5, 8
	v_add_lshl_u32 v1, v0, s16, 2
	v_add_co_ci_u32_e64 v4, null, s11, 0, s2
	v_add_co_ci_u32_e32 v6, vcc_lo, 0, v6, vcc_lo
	s_mov_b32 s11, 0
	s_lshl_b32 s16, s16, 4
	.p2align	6
.LBB193_3:                              ; =>This Inner Loop Header: Depth=1
	s_clause 0x1
	global_load_b128 v[7:10], v[3:4], off
	global_load_b128 v[11:14], v[3:4], off offset:16
	v_cmp_le_i64_e32 vcc_lo, s[4:5], v[1:2]
	v_cmp_lt_u64_e64 s2, 0xffff, v[1:2]
	v_add_co_u32 v1, s3, v1, s15
	s_delay_alu instid0(VALU_DEP_1) | instskip(SKIP_1) | instid1(VALU_DEP_4)
	v_add_co_ci_u32_e64 v2, s3, 0, v2, s3
	v_add_co_u32 v3, s3, v3, s10
	s_or_b32 s2, vcc_lo, s2
	v_add_co_ci_u32_e64 v4, s3, 0, v4, s3
	s_and_b32 s2, exec_lo, s2
	s_delay_alu instid0(SALU_CYCLE_1)
	s_or_b32 s11, s2, s11
	s_waitcnt vmcnt(1)
	v_cvt_i32_f64_e32 v7, v[7:8]
	v_cvt_i32_f64_e32 v8, v[9:10]
	s_waitcnt vmcnt(0)
	v_cvt_i32_f64_e32 v9, v[11:12]
	v_cvt_i32_f64_e32 v10, v[13:14]
	global_store_b128 v[5:6], v[7:10], off offset:-8
	v_add_co_u32 v5, vcc_lo, v5, s16
	v_add_co_ci_u32_e32 v6, vcc_lo, 0, v6, vcc_lo
	s_and_not1_b32 exec_lo, exec_lo, s11
	s_cbranch_execnz .LBB193_3
.LBB193_4:
	s_or_b32 exec_lo, exec_lo, s14
	s_mov_b32 s14, 0
.LBB193_5:
	s_delay_alu instid0(SALU_CYCLE_1)
	s_and_not1_b32 vcc_lo, exec_lo, s14
	s_cbranch_vccnz .LBB193_25
; %bb.6:
	v_cmp_lt_i64_e64 s2, s[4:5], 1
	s_delay_alu instid0(VALU_DEP_1)
	s_and_b32 vcc_lo, exec_lo, s2
	s_cbranch_vccnz .LBB193_25
; %bb.7:
	s_load_b32 s0, s[0:1], 0xc5c
	v_cmp_gt_u64_e64 s1, 0x10000, s[4:5]
	v_dual_mov_b32 v2, 0 :: v_dual_lshlrev_b32 v5, 2, v0
	v_lshlrev_b32_e32 v1, 3, v0
                                        ; implicit-def: $vgpr9_vgpr10
                                        ; implicit-def: $vgpr11_vgpr12
                                        ; implicit-def: $vgpr13_vgpr14
                                        ; implicit-def: $vgpr15_vgpr16
	s_waitcnt lgkmcnt(0)
	s_and_b32 s0, s0, 0xffff
	s_delay_alu instid0(VALU_DEP_3)
	s_and_b32 s1, s1, exec_lo
	s_cselect_b32 s3, s5, 0
	s_cselect_b32 s2, s4, 0x10000
	s_lshl_b64 s[8:9], s[8:9], 18
	s_lshl_b32 s11, s0, 1
	s_lshl_b32 s1, s0, 2
	s_lshl_b32 s10, s0, 5
	s_add_u32 s6, s6, s8
	s_addc_u32 s7, s7, s9
	v_add_co_u32 v5, s9, s6, v5
	s_delay_alu instid0(VALU_DEP_1) | instskip(SKIP_3) | instid1(VALU_DEP_2)
	v_add_co_ci_u32_e64 v6, null, s7, 0, s9
	v_add_co_u32 v26, s9, v0, s0
	s_mul_i32 s14, s0, 3
	v_mad_u64_u32 v[3:4], null, s0, 24, v[1:2]
	v_lshlrev_b32_e32 v7, 2, v26
	v_add_co_u32 v2, s8, s14, v0
	s_delay_alu instid0(VALU_DEP_1)
	v_add_co_ci_u32_e64 v25, null, 0, 0, s8
	s_lshl_b32 s8, s0, 4
	v_add_co_ci_u32_e64 v29, null, 0, 0, s9
	v_add_co_u32 v27, s14, s8, v1
	v_add_co_u32 v30, s9, s11, v0
	;; [unrolled: 1-line block ×3, first 2 shown]
	v_add_co_ci_u32_e64 v28, null, 0, 0, s14
	v_add_co_ci_u32_e64 v31, null, 0, 0, s9
	v_lshlrev_b32_e32 v32, 3, v26
	v_add_co_ci_u32_e64 v8, null, s7, 0, s6
	s_mul_i32 s9, s0, 12
	s_lshl_b32 s11, s0, 3
	s_mov_b64 s[6:7], 0
	s_branch .LBB193_9
.LBB193_8:                              ;   in Loop: Header=BB193_9 Depth=1
	s_or_b32 exec_lo, exec_lo, s0
	s_add_u32 s6, s6, s1
	s_addc_u32 s7, s7, 0
	v_add_co_u32 v5, vcc_lo, v5, s8
	v_cmp_ge_i64_e64 s0, s[6:7], s[4:5]
	v_cmp_lt_u64_e64 s14, 0xffff, s[6:7]
	v_add_co_ci_u32_e32 v6, vcc_lo, 0, v6, vcc_lo
	v_add_co_u32 v7, vcc_lo, v7, s8
	v_add_co_ci_u32_e32 v8, vcc_lo, 0, v8, vcc_lo
	s_delay_alu instid0(VALU_DEP_4)
	s_or_b32 s0, s0, s14
	s_add_u32 s12, s12, s10
	s_addc_u32 s13, s13, 0
	s_and_b32 vcc_lo, exec_lo, s0
	s_cbranch_vccnz .LBB193_25
.LBB193_9:                              ; =>This Inner Loop Header: Depth=1
	v_add_co_u32 v17, s0, v0, s6
	s_delay_alu instid0(VALU_DEP_1) | instskip(NEXT) | instid1(VALU_DEP_1)
	v_add_co_ci_u32_e64 v18, null, 0, s7, s0
	v_cmp_gt_i64_e32 vcc_lo, s[4:5], v[17:18]
	v_cmp_gt_u64_e64 s0, 0x10000, v[17:18]
	s_delay_alu instid0(VALU_DEP_1) | instskip(NEXT) | instid1(SALU_CYCLE_1)
	s_and_b32 s14, vcc_lo, s0
	s_and_saveexec_b32 s0, s14
	s_cbranch_execz .LBB193_11
; %bb.10:                               ;   in Loop: Header=BB193_9 Depth=1
	s_waitcnt vmcnt(0)
	v_add_co_u32 v15, s14, s12, v1
	s_delay_alu instid0(VALU_DEP_1)
	v_add_co_ci_u32_e64 v16, null, s13, 0, s14
	global_load_b64 v[15:16], v[15:16], off
.LBB193_11:                             ;   in Loop: Header=BB193_9 Depth=1
	s_or_b32 exec_lo, exec_lo, s0
	v_add_co_u32 v19, vcc_lo, v26, s6
	v_add_co_ci_u32_e32 v20, vcc_lo, s7, v29, vcc_lo
	s_delay_alu instid0(VALU_DEP_1) | instskip(SKIP_1) | instid1(VALU_DEP_1)
	v_cmp_gt_i64_e32 vcc_lo, s[4:5], v[19:20]
	v_cmp_gt_u64_e64 s0, 0x10000, v[19:20]
	s_and_b32 s14, vcc_lo, s0
	s_delay_alu instid0(SALU_CYCLE_1)
	s_and_saveexec_b32 s0, s14
	s_cbranch_execz .LBB193_13
; %bb.12:                               ;   in Loop: Header=BB193_9 Depth=1
	s_waitcnt vmcnt(0)
	v_add_co_u32 v13, s14, s12, v32
	s_delay_alu instid0(VALU_DEP_1)
	v_add_co_ci_u32_e64 v14, null, s13, 0, s14
	global_load_b64 v[13:14], v[13:14], off
.LBB193_13:                             ;   in Loop: Header=BB193_9 Depth=1
	s_or_b32 exec_lo, exec_lo, s0
	v_add_co_u32 v21, vcc_lo, v30, s6
	v_add_co_ci_u32_e32 v22, vcc_lo, s7, v31, vcc_lo
	s_delay_alu instid0(VALU_DEP_1) | instskip(SKIP_1) | instid1(VALU_DEP_1)
	v_cmp_gt_i64_e32 vcc_lo, s[4:5], v[21:22]
	v_cmp_gt_u64_e64 s0, 0x10000, v[21:22]
	s_and_b32 s14, vcc_lo, s0
	s_delay_alu instid0(SALU_CYCLE_1)
	s_and_saveexec_b32 s0, s14
	s_cbranch_execz .LBB193_15
; %bb.14:                               ;   in Loop: Header=BB193_9 Depth=1
	s_waitcnt vmcnt(0)
	v_add_co_u32 v11, vcc_lo, s12, v27
	v_add_co_ci_u32_e32 v12, vcc_lo, s13, v28, vcc_lo
	global_load_b64 v[11:12], v[11:12], off
.LBB193_15:                             ;   in Loop: Header=BB193_9 Depth=1
	s_or_b32 exec_lo, exec_lo, s0
	v_add_co_u32 v23, vcc_lo, v2, s6
	v_add_co_ci_u32_e32 v24, vcc_lo, s7, v25, vcc_lo
	s_delay_alu instid0(VALU_DEP_1) | instskip(SKIP_1) | instid1(VALU_DEP_1)
	v_cmp_gt_i64_e32 vcc_lo, s[4:5], v[23:24]
	v_cmp_gt_u64_e64 s0, 0x10000, v[23:24]
	s_and_b32 s14, vcc_lo, s0
	s_delay_alu instid0(SALU_CYCLE_1)
	s_and_saveexec_b32 s0, s14
	s_cbranch_execnz .LBB193_20
; %bb.16:                               ;   in Loop: Header=BB193_9 Depth=1
	s_or_b32 exec_lo, exec_lo, s0
	s_delay_alu instid0(SALU_CYCLE_1)
	s_mov_b32 s0, exec_lo
	v_cmpx_gt_u64_e64 s[2:3], v[17:18]
	s_cbranch_execnz .LBB193_21
.LBB193_17:                             ;   in Loop: Header=BB193_9 Depth=1
	s_or_b32 exec_lo, exec_lo, s0
	s_delay_alu instid0(SALU_CYCLE_1)
	s_mov_b32 s0, exec_lo
	v_cmpx_gt_u64_e64 s[2:3], v[19:20]
	s_cbranch_execnz .LBB193_22
.LBB193_18:                             ;   in Loop: Header=BB193_9 Depth=1
	s_or_b32 exec_lo, exec_lo, s0
	s_delay_alu instid0(SALU_CYCLE_1)
	s_mov_b32 s0, exec_lo
	v_cmpx_gt_u64_e64 s[2:3], v[21:22]
	s_cbranch_execnz .LBB193_23
.LBB193_19:                             ;   in Loop: Header=BB193_9 Depth=1
	s_or_b32 exec_lo, exec_lo, s0
	s_delay_alu instid0(SALU_CYCLE_1)
	s_mov_b32 s0, exec_lo
	v_cmpx_gt_u64_e64 s[2:3], v[23:24]
	s_cbranch_execz .LBB193_8
	s_branch .LBB193_24
.LBB193_20:                             ;   in Loop: Header=BB193_9 Depth=1
	s_waitcnt vmcnt(0)
	v_add_co_u32 v9, vcc_lo, s12, v3
	v_add_co_ci_u32_e32 v10, vcc_lo, s13, v4, vcc_lo
	global_load_b64 v[9:10], v[9:10], off
	s_or_b32 exec_lo, exec_lo, s0
	s_delay_alu instid0(SALU_CYCLE_1)
	s_mov_b32 s0, exec_lo
	v_cmpx_gt_u64_e64 s[2:3], v[17:18]
	s_cbranch_execz .LBB193_17
.LBB193_21:                             ;   in Loop: Header=BB193_9 Depth=1
	s_waitcnt vmcnt(0)
	v_cvt_i32_f64_e32 v17, v[15:16]
	global_store_b32 v[5:6], v17, off
	s_or_b32 exec_lo, exec_lo, s0
	s_delay_alu instid0(SALU_CYCLE_1)
	s_mov_b32 s0, exec_lo
	v_cmpx_gt_u64_e64 s[2:3], v[19:20]
	s_cbranch_execz .LBB193_18
.LBB193_22:                             ;   in Loop: Header=BB193_9 Depth=1
	s_waitcnt vmcnt(0)
	v_cvt_i32_f64_e32 v17, v[13:14]
	global_store_b32 v[7:8], v17, off
	s_or_b32 exec_lo, exec_lo, s0
	s_delay_alu instid0(SALU_CYCLE_1)
	s_mov_b32 s0, exec_lo
	v_cmpx_gt_u64_e64 s[2:3], v[21:22]
	s_cbranch_execz .LBB193_19
.LBB193_23:                             ;   in Loop: Header=BB193_9 Depth=1
	s_waitcnt vmcnt(0)
	v_cvt_i32_f64_e32 v19, v[11:12]
	v_add_co_u32 v17, vcc_lo, v5, s11
	v_add_co_ci_u32_e32 v18, vcc_lo, 0, v6, vcc_lo
	global_store_b32 v[17:18], v19, off
	s_or_b32 exec_lo, exec_lo, s0
	s_delay_alu instid0(SALU_CYCLE_1)
	s_mov_b32 s0, exec_lo
	v_cmpx_gt_u64_e64 s[2:3], v[23:24]
	s_cbranch_execz .LBB193_8
.LBB193_24:                             ;   in Loop: Header=BB193_9 Depth=1
	s_waitcnt vmcnt(0)
	v_cvt_i32_f64_e32 v19, v[9:10]
	v_add_co_u32 v17, vcc_lo, v5, s9
	v_add_co_ci_u32_e32 v18, vcc_lo, 0, v6, vcc_lo
	global_store_b32 v[17:18], v19, off
	s_branch .LBB193_8
.LBB193_25:
	s_nop 0
	s_sendmsg sendmsg(MSG_DEALLOC_VGPRS)
	s_endpgm
	.section	.rodata,"a",@progbits
	.p2align	6, 0x0
	.amdhsa_kernel _ZN2at6native12_GLOBAL__N_125multi_tensor_apply_kernelINS1_18TensorListMetadataILi2EEENS1_11CopyFunctorIidLi2ELi1ELi1EEEJNS0_4CopyIidEEEEEvT_T0_DpT1_
		.amdhsa_group_segment_fixed_size 0
		.amdhsa_private_segment_fixed_size 0
		.amdhsa_kernarg_size 3408
		.amdhsa_user_sgpr_count 15
		.amdhsa_user_sgpr_dispatch_ptr 0
		.amdhsa_user_sgpr_queue_ptr 0
		.amdhsa_user_sgpr_kernarg_segment_ptr 1
		.amdhsa_user_sgpr_dispatch_id 0
		.amdhsa_user_sgpr_private_segment_size 0
		.amdhsa_wavefront_size32 1
		.amdhsa_uses_dynamic_stack 0
		.amdhsa_enable_private_segment 0
		.amdhsa_system_sgpr_workgroup_id_x 1
		.amdhsa_system_sgpr_workgroup_id_y 0
		.amdhsa_system_sgpr_workgroup_id_z 0
		.amdhsa_system_sgpr_workgroup_info 0
		.amdhsa_system_vgpr_workitem_id 0
		.amdhsa_next_free_vgpr 33
		.amdhsa_next_free_sgpr 20
		.amdhsa_reserve_vcc 1
		.amdhsa_float_round_mode_32 0
		.amdhsa_float_round_mode_16_64 0
		.amdhsa_float_denorm_mode_32 3
		.amdhsa_float_denorm_mode_16_64 3
		.amdhsa_dx10_clamp 1
		.amdhsa_ieee_mode 1
		.amdhsa_fp16_overflow 0
		.amdhsa_workgroup_processor_mode 1
		.amdhsa_memory_ordered 1
		.amdhsa_forward_progress 0
		.amdhsa_shared_vgpr_count 0
		.amdhsa_exception_fp_ieee_invalid_op 0
		.amdhsa_exception_fp_denorm_src 0
		.amdhsa_exception_fp_ieee_div_zero 0
		.amdhsa_exception_fp_ieee_overflow 0
		.amdhsa_exception_fp_ieee_underflow 0
		.amdhsa_exception_fp_ieee_inexact 0
		.amdhsa_exception_int_div_zero 0
	.end_amdhsa_kernel
	.section	.text._ZN2at6native12_GLOBAL__N_125multi_tensor_apply_kernelINS1_18TensorListMetadataILi2EEENS1_11CopyFunctorIidLi2ELi1ELi1EEEJNS0_4CopyIidEEEEEvT_T0_DpT1_,"axG",@progbits,_ZN2at6native12_GLOBAL__N_125multi_tensor_apply_kernelINS1_18TensorListMetadataILi2EEENS1_11CopyFunctorIidLi2ELi1ELi1EEEJNS0_4CopyIidEEEEEvT_T0_DpT1_,comdat
.Lfunc_end193:
	.size	_ZN2at6native12_GLOBAL__N_125multi_tensor_apply_kernelINS1_18TensorListMetadataILi2EEENS1_11CopyFunctorIidLi2ELi1ELi1EEEJNS0_4CopyIidEEEEEvT_T0_DpT1_, .Lfunc_end193-_ZN2at6native12_GLOBAL__N_125multi_tensor_apply_kernelINS1_18TensorListMetadataILi2EEENS1_11CopyFunctorIidLi2ELi1ELi1EEEJNS0_4CopyIidEEEEEvT_T0_DpT1_
                                        ; -- End function
	.section	.AMDGPU.csdata,"",@progbits
; Kernel info:
; codeLenInByte = 1432
; NumSgprs: 22
; NumVgprs: 33
; ScratchSize: 0
; MemoryBound: 0
; FloatMode: 240
; IeeeMode: 1
; LDSByteSize: 0 bytes/workgroup (compile time only)
; SGPRBlocks: 2
; VGPRBlocks: 4
; NumSGPRsForWavesPerEU: 22
; NumVGPRsForWavesPerEU: 33
; Occupancy: 16
; WaveLimiterHint : 0
; COMPUTE_PGM_RSRC2:SCRATCH_EN: 0
; COMPUTE_PGM_RSRC2:USER_SGPR: 15
; COMPUTE_PGM_RSRC2:TRAP_HANDLER: 0
; COMPUTE_PGM_RSRC2:TGID_X_EN: 1
; COMPUTE_PGM_RSRC2:TGID_Y_EN: 0
; COMPUTE_PGM_RSRC2:TGID_Z_EN: 0
; COMPUTE_PGM_RSRC2:TIDIG_COMP_CNT: 0
	.section	.text._ZN2at6native12_GLOBAL__N_125multi_tensor_apply_kernelINS1_18TensorListMetadataILi2EEENS1_11CopyFunctorIifLi2ELi1ELi1EEEJNS0_4CopyIifEEEEEvT_T0_DpT1_,"axG",@progbits,_ZN2at6native12_GLOBAL__N_125multi_tensor_apply_kernelINS1_18TensorListMetadataILi2EEENS1_11CopyFunctorIifLi2ELi1ELi1EEEJNS0_4CopyIifEEEEEvT_T0_DpT1_,comdat
	.globl	_ZN2at6native12_GLOBAL__N_125multi_tensor_apply_kernelINS1_18TensorListMetadataILi2EEENS1_11CopyFunctorIifLi2ELi1ELi1EEEJNS0_4CopyIifEEEEEvT_T0_DpT1_ ; -- Begin function _ZN2at6native12_GLOBAL__N_125multi_tensor_apply_kernelINS1_18TensorListMetadataILi2EEENS1_11CopyFunctorIifLi2ELi1ELi1EEEJNS0_4CopyIifEEEEEvT_T0_DpT1_
	.p2align	8
	.type	_ZN2at6native12_GLOBAL__N_125multi_tensor_apply_kernelINS1_18TensorListMetadataILi2EEENS1_11CopyFunctorIifLi2ELi1ELi1EEEJNS0_4CopyIifEEEEEvT_T0_DpT1_,@function
_ZN2at6native12_GLOBAL__N_125multi_tensor_apply_kernelINS1_18TensorListMetadataILi2EEENS1_11CopyFunctorIifLi2ELi1ELi1EEEJNS0_4CopyIifEEEEEvT_T0_DpT1_: ; @_ZN2at6native12_GLOBAL__N_125multi_tensor_apply_kernelINS1_18TensorListMetadataILi2EEENS1_11CopyFunctorIifLi2ELi1ELi1EEEJNS0_4CopyIifEEEEEvT_T0_DpT1_
; %bb.0:
	v_mov_b32_e32 v1, s15
	s_add_u32 s2, s0, s15
	s_mul_hi_u32 s3, s15, 3
	s_mul_i32 s15, s15, 3
	s_addc_u32 s4, s1, 0
	global_load_u8 v1, v1, s[0:1] offset:1536
	s_add_u32 s2, s2, s15
	s_addc_u32 s3, s4, s3
	s_mov_b32 s17, 0
	s_load_b32 s2, s[2:3], 0x740
	s_mov_b32 s19, s17
	s_mov_b32 s21, s17
	s_waitcnt vmcnt(0)
	v_readfirstlane_b32 s5, v1
	s_delay_alu instid0(VALU_DEP_1)
	s_lshl_b32 s3, s5, 3
	s_clause 0x2
	s_load_b64 s[10:11], s[0:1], s3 offset:0x0
	s_load_b64 s[12:13], s[0:1], s3 offset:0x200
	s_load_b64 s[6:7], s[0:1], s3 offset:0x400
	s_waitcnt lgkmcnt(0)
	s_ashr_i32 s3, s2, 31
	s_delay_alu instid0(SALU_CYCLE_1)
	s_lshl_b64 s[4:5], s[2:3], 18
	s_lshl_b64 s[2:3], s[2:3], 16
	s_add_u32 s8, s10, s4
	s_addc_u32 s9, s11, s5
	s_add_u32 s14, s12, s4
	s_addc_u32 s15, s13, s5
	s_and_b32 s20, s6, 3
	s_and_b32 s18, s14, 15
	;; [unrolled: 1-line block ×3, first 2 shown]
	s_or_b64 s[18:19], s[18:19], s[20:21]
	s_delay_alu instid0(SALU_CYCLE_1)
	s_or_b64 s[16:17], s[16:17], s[18:19]
	s_sub_u32 s6, s6, s2
	s_subb_u32 s7, s7, s3
	s_cmp_eq_u64 s[16:17], 0
	s_mov_b32 s2, -1
	s_cbranch_scc0 .LBB194_5
; %bb.1:
	v_dual_mov_b32 v2, 0 :: v_dual_lshlrev_b32 v1, 2, v0
	s_mov_b32 s16, exec_lo
	s_delay_alu instid0(VALU_DEP_1)
	v_cmpx_gt_i64_e64 s[6:7], v[1:2]
	s_cbranch_execz .LBB194_4
; %bb.2:
	s_load_b32 s2, s[0:1], 0xc5c
	v_lshlrev_b32_e32 v3, 4, v0
	s_mov_b32 s17, 0
	s_waitcnt lgkmcnt(0)
	s_and_b32 s2, s2, 0xffff
	s_delay_alu instid0(SALU_CYCLE_1)
	v_add_lshl_u32 v1, v0, s2, 2
	s_lshl_b32 s18, s2, 2
	s_lshl_b32 s19, s2, 4
	s_set_inst_prefetch_distance 0x1
	.p2align	6
.LBB194_3:                              ; =>This Inner Loop Header: Depth=1
	v_add_co_u32 v4, s2, s8, v3
	s_delay_alu instid0(VALU_DEP_1)
	v_add_co_ci_u32_e64 v5, null, s9, 0, s2
	v_cmp_le_i64_e32 vcc_lo, s[6:7], v[1:2]
	v_cmp_lt_u64_e64 s2, 0xffff, v[1:2]
	v_add_co_u32 v8, s3, s14, v3
	global_load_b128 v[4:7], v[4:5], off
	v_add_co_ci_u32_e64 v9, null, s15, 0, s3
	s_or_b32 s2, vcc_lo, s2
	s_add_u32 s8, s8, s19
	v_add_co_u32 v1, s3, v1, s18
	s_addc_u32 s9, s9, 0
	s_add_u32 s14, s14, s19
	v_add_co_ci_u32_e64 v2, s3, 0, v2, s3
	s_addc_u32 s15, s15, 0
	s_and_b32 s2, exec_lo, s2
	s_delay_alu instid0(SALU_CYCLE_1)
	s_or_b32 s17, s2, s17
	s_waitcnt vmcnt(0)
	v_cvt_i32_f32_e32 v4, v4
	v_cvt_i32_f32_e32 v5, v5
	;; [unrolled: 1-line block ×4, first 2 shown]
	global_store_b128 v[8:9], v[4:7], off
	s_and_not1_b32 exec_lo, exec_lo, s17
	s_cbranch_execnz .LBB194_3
.LBB194_4:
	s_set_inst_prefetch_distance 0x2
	s_or_b32 exec_lo, exec_lo, s16
	s_mov_b32 s2, 0
.LBB194_5:
	s_delay_alu instid0(SALU_CYCLE_1)
	s_and_not1_b32 vcc_lo, exec_lo, s2
	s_cbranch_vccnz .LBB194_25
; %bb.6:
	v_cmp_lt_i64_e64 s2, s[6:7], 1
	s_delay_alu instid0(VALU_DEP_1)
	s_and_b32 vcc_lo, exec_lo, s2
	s_cbranch_vccnz .LBB194_25
; %bb.7:
	s_load_b32 s0, s[0:1], 0xc5c
	v_dual_mov_b32 v1, 0 :: v_dual_lshlrev_b32 v2, 2, v0
	v_cmp_gt_u64_e64 s2, 0x10000, s[6:7]
	s_mov_b32 s3, 0
                                        ; implicit-def: $vgpr24
                                        ; implicit-def: $vgpr25
                                        ; implicit-def: $vgpr26
                                        ; implicit-def: $vgpr27
	s_delay_alu instid0(VALU_DEP_2) | instskip(NEXT) | instid1(VALU_DEP_3)
	v_mov_b32_e32 v3, v1
	v_add_co_u32 v8, s1, s10, v2
	s_delay_alu instid0(VALU_DEP_1) | instskip(SKIP_1) | instid1(VALU_DEP_1)
	v_add_co_ci_u32_e64 v9, null, s11, 0, s1
	v_add_co_u32 v10, s1, s12, v2
	v_add_co_ci_u32_e64 v11, null, s13, 0, s1
	s_waitcnt lgkmcnt(0)
	s_and_b32 s1, s0, 0xffff
	s_and_b32 s0, s2, exec_lo
	v_mad_u64_u32 v[4:5], null, s1, 12, v[2:3]
	s_cselect_b32 s9, s7, 0
	s_cselect_b32 s8, s6, 0x10000
	s_lshl_b32 s0, s1, 3
	s_lshl_b32 s2, s1, 2
	v_add_co_u32 v2, s0, s0, v2
	s_delay_alu instid0(VALU_DEP_2) | instskip(NEXT) | instid1(VALU_DEP_3)
	v_add_co_u32 v12, vcc_lo, s10, v4
	v_add_co_ci_u32_e32 v13, vcc_lo, s11, v5, vcc_lo
	v_add_co_u32 v14, vcc_lo, s12, v4
	v_add_lshl_u32 v4, v0, s1, 2
	v_add_co_ci_u32_e64 v3, null, 0, 0, s0
	v_add_co_ci_u32_e32 v15, vcc_lo, s13, v5, vcc_lo
	v_add_co_u32 v16, vcc_lo, s10, v2
	s_delay_alu instid0(VALU_DEP_4) | instskip(NEXT) | instid1(VALU_DEP_4)
	v_add_co_u32 v20, s0, s10, v4
	v_add_co_ci_u32_e32 v17, vcc_lo, s11, v3, vcc_lo
	v_add_co_u32 v18, vcc_lo, s12, v2
	v_add_co_ci_u32_e64 v21, null, s11, 0, s0
	v_add_co_u32 v22, s0, s12, v4
	v_add_co_ci_u32_e32 v19, vcc_lo, s13, v3, vcc_lo
	v_add_co_ci_u32_e64 v23, null, s13, 0, s0
	s_lshl_b32 s14, s1, 1
	s_mul_i32 s15, s1, 3
	s_lshl_b32 s12, s1, 4
	s_mov_b64 s[10:11], s[2:3]
	s_branch .LBB194_9
.LBB194_8:                              ;   in Loop: Header=BB194_9 Depth=1
	s_or_b32 exec_lo, exec_lo, s0
	v_add_co_u32 v8, vcc_lo, v8, s12
	v_add_co_ci_u32_e32 v9, vcc_lo, 0, v9, vcc_lo
	v_add_co_u32 v10, vcc_lo, v10, s12
	v_add_co_ci_u32_e32 v11, vcc_lo, 0, v11, vcc_lo
	;; [unrolled: 2-line block ×7, first 2 shown]
	v_cmp_ge_i64_e64 s0, s[10:11], s[6:7]
	v_cmp_lt_u64_e64 s3, 0xffff, s[10:11]
	v_add_co_u32 v20, vcc_lo, v20, s12
	v_add_co_ci_u32_e32 v21, vcc_lo, 0, v21, vcc_lo
	v_add_co_u32 v22, vcc_lo, v22, s12
	v_add_co_ci_u32_e32 v23, vcc_lo, 0, v23, vcc_lo
	s_or_b32 s0, s0, s3
	s_add_u32 s10, s10, s2
	s_addc_u32 s11, s11, 0
	s_and_b32 vcc_lo, exec_lo, s0
	s_cbranch_vccnz .LBB194_25
.LBB194_9:                              ; =>This Inner Loop Header: Depth=1
	v_cmp_gt_i64_e32 vcc_lo, s[6:7], v[0:1]
	v_cmp_gt_u64_e64 s0, 0x10000, v[0:1]
	s_delay_alu instid0(VALU_DEP_1) | instskip(NEXT) | instid1(SALU_CYCLE_1)
	s_and_b32 s3, vcc_lo, s0
	s_and_saveexec_b32 s0, s3
	s_cbranch_execz .LBB194_11
; %bb.10:                               ;   in Loop: Header=BB194_9 Depth=1
	v_add_co_u32 v2, vcc_lo, v8, s4
	v_add_co_ci_u32_e32 v3, vcc_lo, s5, v9, vcc_lo
	global_load_b32 v27, v[2:3], off
.LBB194_11:                             ;   in Loop: Header=BB194_9 Depth=1
	s_or_b32 exec_lo, exec_lo, s0
	v_add_co_u32 v2, vcc_lo, s1, v0
	v_add_co_ci_u32_e32 v3, vcc_lo, 0, v1, vcc_lo
	s_delay_alu instid0(VALU_DEP_1) | instskip(SKIP_1) | instid1(VALU_DEP_1)
	v_cmp_gt_i64_e32 vcc_lo, s[6:7], v[2:3]
	v_cmp_gt_u64_e64 s0, 0x10000, v[2:3]
	s_and_b32 s3, vcc_lo, s0
	s_delay_alu instid0(SALU_CYCLE_1)
	s_and_saveexec_b32 s0, s3
	s_cbranch_execz .LBB194_13
; %bb.12:                               ;   in Loop: Header=BB194_9 Depth=1
	v_add_co_u32 v4, vcc_lo, v20, s4
	v_add_co_ci_u32_e32 v5, vcc_lo, s5, v21, vcc_lo
	global_load_b32 v26, v[4:5], off
.LBB194_13:                             ;   in Loop: Header=BB194_9 Depth=1
	s_or_b32 exec_lo, exec_lo, s0
	v_add_co_u32 v4, vcc_lo, s14, v0
	v_add_co_ci_u32_e32 v5, vcc_lo, 0, v1, vcc_lo
	s_delay_alu instid0(VALU_DEP_1) | instskip(SKIP_1) | instid1(VALU_DEP_1)
	v_cmp_gt_i64_e32 vcc_lo, s[6:7], v[4:5]
	v_cmp_gt_u64_e64 s0, 0x10000, v[4:5]
	s_and_b32 s3, vcc_lo, s0
	s_delay_alu instid0(SALU_CYCLE_1)
	;; [unrolled: 15-line block ×3, first 2 shown]
	s_and_saveexec_b32 s0, s3
	s_cbranch_execnz .LBB194_20
; %bb.16:                               ;   in Loop: Header=BB194_9 Depth=1
	s_or_b32 exec_lo, exec_lo, s0
	s_delay_alu instid0(SALU_CYCLE_1)
	s_mov_b32 s0, exec_lo
	v_cmpx_gt_u64_e64 s[8:9], v[0:1]
	s_cbranch_execnz .LBB194_21
.LBB194_17:                             ;   in Loop: Header=BB194_9 Depth=1
	s_or_b32 exec_lo, exec_lo, s0
	s_delay_alu instid0(SALU_CYCLE_1)
	s_mov_b32 s0, exec_lo
	v_cmpx_gt_u64_e64 s[8:9], v[2:3]
	s_cbranch_execnz .LBB194_22
.LBB194_18:                             ;   in Loop: Header=BB194_9 Depth=1
	s_or_b32 exec_lo, exec_lo, s0
	s_delay_alu instid0(SALU_CYCLE_1)
	s_mov_b32 s0, exec_lo
	v_cmpx_gt_u64_e64 s[8:9], v[4:5]
	s_cbranch_execnz .LBB194_23
.LBB194_19:                             ;   in Loop: Header=BB194_9 Depth=1
	s_or_b32 exec_lo, exec_lo, s0
	s_delay_alu instid0(SALU_CYCLE_1)
	s_mov_b32 s0, exec_lo
	v_cmpx_gt_u64_e64 s[8:9], v[6:7]
	s_cbranch_execz .LBB194_8
	s_branch .LBB194_24
.LBB194_20:                             ;   in Loop: Header=BB194_9 Depth=1
	v_add_co_u32 v28, vcc_lo, v12, s4
	v_add_co_ci_u32_e32 v29, vcc_lo, s5, v13, vcc_lo
	global_load_b32 v24, v[28:29], off
	s_or_b32 exec_lo, exec_lo, s0
	s_delay_alu instid0(SALU_CYCLE_1)
	s_mov_b32 s0, exec_lo
	v_cmpx_gt_u64_e64 s[8:9], v[0:1]
	s_cbranch_execz .LBB194_17
.LBB194_21:                             ;   in Loop: Header=BB194_9 Depth=1
	v_add_co_u32 v28, vcc_lo, v10, s4
	v_add_co_ci_u32_e32 v29, vcc_lo, s5, v11, vcc_lo
	s_waitcnt vmcnt(0)
	v_cvt_i32_f32_e32 v30, v27
	global_store_b32 v[28:29], v30, off
	s_or_b32 exec_lo, exec_lo, s0
	s_delay_alu instid0(SALU_CYCLE_1)
	s_mov_b32 s0, exec_lo
	v_cmpx_gt_u64_e64 s[8:9], v[2:3]
	s_cbranch_execz .LBB194_18
.LBB194_22:                             ;   in Loop: Header=BB194_9 Depth=1
	v_add_co_u32 v2, vcc_lo, v22, s4
	s_waitcnt vmcnt(0)
	v_cvt_i32_f32_e32 v28, v26
	v_add_co_ci_u32_e32 v3, vcc_lo, s5, v23, vcc_lo
	global_store_b32 v[2:3], v28, off
	s_or_b32 exec_lo, exec_lo, s0
	s_delay_alu instid0(SALU_CYCLE_1)
	s_mov_b32 s0, exec_lo
	v_cmpx_gt_u64_e64 s[8:9], v[4:5]
	s_cbranch_execz .LBB194_19
.LBB194_23:                             ;   in Loop: Header=BB194_9 Depth=1
	v_add_co_u32 v2, vcc_lo, v18, s4
	s_waitcnt vmcnt(0)
	v_cvt_i32_f32_e32 v4, v25
	v_add_co_ci_u32_e32 v3, vcc_lo, s5, v19, vcc_lo
	global_store_b32 v[2:3], v4, off
	s_or_b32 exec_lo, exec_lo, s0
	s_delay_alu instid0(SALU_CYCLE_1)
	s_mov_b32 s0, exec_lo
	v_cmpx_gt_u64_e64 s[8:9], v[6:7]
	s_cbranch_execz .LBB194_8
.LBB194_24:                             ;   in Loop: Header=BB194_9 Depth=1
	v_add_co_u32 v2, vcc_lo, v14, s4
	s_waitcnt vmcnt(0)
	v_cvt_i32_f32_e32 v4, v24
	v_add_co_ci_u32_e32 v3, vcc_lo, s5, v15, vcc_lo
	global_store_b32 v[2:3], v4, off
	s_branch .LBB194_8
.LBB194_25:
	s_nop 0
	s_sendmsg sendmsg(MSG_DEALLOC_VGPRS)
	s_endpgm
	.section	.rodata,"a",@progbits
	.p2align	6, 0x0
	.amdhsa_kernel _ZN2at6native12_GLOBAL__N_125multi_tensor_apply_kernelINS1_18TensorListMetadataILi2EEENS1_11CopyFunctorIifLi2ELi1ELi1EEEJNS0_4CopyIifEEEEEvT_T0_DpT1_
		.amdhsa_group_segment_fixed_size 0
		.amdhsa_private_segment_fixed_size 0
		.amdhsa_kernarg_size 3408
		.amdhsa_user_sgpr_count 15
		.amdhsa_user_sgpr_dispatch_ptr 0
		.amdhsa_user_sgpr_queue_ptr 0
		.amdhsa_user_sgpr_kernarg_segment_ptr 1
		.amdhsa_user_sgpr_dispatch_id 0
		.amdhsa_user_sgpr_private_segment_size 0
		.amdhsa_wavefront_size32 1
		.amdhsa_uses_dynamic_stack 0
		.amdhsa_enable_private_segment 0
		.amdhsa_system_sgpr_workgroup_id_x 1
		.amdhsa_system_sgpr_workgroup_id_y 0
		.amdhsa_system_sgpr_workgroup_id_z 0
		.amdhsa_system_sgpr_workgroup_info 0
		.amdhsa_system_vgpr_workitem_id 0
		.amdhsa_next_free_vgpr 31
		.amdhsa_next_free_sgpr 22
		.amdhsa_reserve_vcc 1
		.amdhsa_float_round_mode_32 0
		.amdhsa_float_round_mode_16_64 0
		.amdhsa_float_denorm_mode_32 3
		.amdhsa_float_denorm_mode_16_64 3
		.amdhsa_dx10_clamp 1
		.amdhsa_ieee_mode 1
		.amdhsa_fp16_overflow 0
		.amdhsa_workgroup_processor_mode 1
		.amdhsa_memory_ordered 1
		.amdhsa_forward_progress 0
		.amdhsa_shared_vgpr_count 0
		.amdhsa_exception_fp_ieee_invalid_op 0
		.amdhsa_exception_fp_denorm_src 0
		.amdhsa_exception_fp_ieee_div_zero 0
		.amdhsa_exception_fp_ieee_overflow 0
		.amdhsa_exception_fp_ieee_underflow 0
		.amdhsa_exception_fp_ieee_inexact 0
		.amdhsa_exception_int_div_zero 0
	.end_amdhsa_kernel
	.section	.text._ZN2at6native12_GLOBAL__N_125multi_tensor_apply_kernelINS1_18TensorListMetadataILi2EEENS1_11CopyFunctorIifLi2ELi1ELi1EEEJNS0_4CopyIifEEEEEvT_T0_DpT1_,"axG",@progbits,_ZN2at6native12_GLOBAL__N_125multi_tensor_apply_kernelINS1_18TensorListMetadataILi2EEENS1_11CopyFunctorIifLi2ELi1ELi1EEEJNS0_4CopyIifEEEEEvT_T0_DpT1_,comdat
.Lfunc_end194:
	.size	_ZN2at6native12_GLOBAL__N_125multi_tensor_apply_kernelINS1_18TensorListMetadataILi2EEENS1_11CopyFunctorIifLi2ELi1ELi1EEEJNS0_4CopyIifEEEEEvT_T0_DpT1_, .Lfunc_end194-_ZN2at6native12_GLOBAL__N_125multi_tensor_apply_kernelINS1_18TensorListMetadataILi2EEENS1_11CopyFunctorIifLi2ELi1ELi1EEEJNS0_4CopyIifEEEEEvT_T0_DpT1_
                                        ; -- End function
	.section	.AMDGPU.csdata,"",@progbits
; Kernel info:
; codeLenInByte = 1444
; NumSgprs: 24
; NumVgprs: 31
; ScratchSize: 0
; MemoryBound: 0
; FloatMode: 240
; IeeeMode: 1
; LDSByteSize: 0 bytes/workgroup (compile time only)
; SGPRBlocks: 2
; VGPRBlocks: 3
; NumSGPRsForWavesPerEU: 24
; NumVGPRsForWavesPerEU: 31
; Occupancy: 16
; WaveLimiterHint : 0
; COMPUTE_PGM_RSRC2:SCRATCH_EN: 0
; COMPUTE_PGM_RSRC2:USER_SGPR: 15
; COMPUTE_PGM_RSRC2:TRAP_HANDLER: 0
; COMPUTE_PGM_RSRC2:TGID_X_EN: 1
; COMPUTE_PGM_RSRC2:TGID_Y_EN: 0
; COMPUTE_PGM_RSRC2:TGID_Z_EN: 0
; COMPUTE_PGM_RSRC2:TIDIG_COMP_CNT: 0
	.section	.text._ZN2at6native12_GLOBAL__N_125multi_tensor_apply_kernelINS1_18TensorListMetadataILi2EEENS1_11CopyFunctorIiN3c107complexIdEELi2ELi1ELi1EEEJNS0_4CopyIiS8_EEEEEvT_T0_DpT1_,"axG",@progbits,_ZN2at6native12_GLOBAL__N_125multi_tensor_apply_kernelINS1_18TensorListMetadataILi2EEENS1_11CopyFunctorIiN3c107complexIdEELi2ELi1ELi1EEEJNS0_4CopyIiS8_EEEEEvT_T0_DpT1_,comdat
	.globl	_ZN2at6native12_GLOBAL__N_125multi_tensor_apply_kernelINS1_18TensorListMetadataILi2EEENS1_11CopyFunctorIiN3c107complexIdEELi2ELi1ELi1EEEJNS0_4CopyIiS8_EEEEEvT_T0_DpT1_ ; -- Begin function _ZN2at6native12_GLOBAL__N_125multi_tensor_apply_kernelINS1_18TensorListMetadataILi2EEENS1_11CopyFunctorIiN3c107complexIdEELi2ELi1ELi1EEEJNS0_4CopyIiS8_EEEEEvT_T0_DpT1_
	.p2align	8
	.type	_ZN2at6native12_GLOBAL__N_125multi_tensor_apply_kernelINS1_18TensorListMetadataILi2EEENS1_11CopyFunctorIiN3c107complexIdEELi2ELi1ELi1EEEJNS0_4CopyIiS8_EEEEEvT_T0_DpT1_,@function
_ZN2at6native12_GLOBAL__N_125multi_tensor_apply_kernelINS1_18TensorListMetadataILi2EEENS1_11CopyFunctorIiN3c107complexIdEELi2ELi1ELi1EEEJNS0_4CopyIiS8_EEEEEvT_T0_DpT1_: ; @_ZN2at6native12_GLOBAL__N_125multi_tensor_apply_kernelINS1_18TensorListMetadataILi2EEENS1_11CopyFunctorIiN3c107complexIdEELi2ELi1ELi1EEEJNS0_4CopyIiS8_EEEEEvT_T0_DpT1_
; %bb.0:
	v_mov_b32_e32 v1, s15
	s_add_u32 s2, s0, s15
	s_mul_hi_u32 s3, s15, 3
	s_mul_i32 s15, s15, 3
	s_addc_u32 s4, s1, 0
	global_load_u8 v1, v1, s[0:1] offset:1536
	s_add_u32 s2, s2, s15
	s_addc_u32 s3, s4, s3
	s_mov_b32 s15, 0
	s_load_b32 s8, s[2:3], 0x740
	s_waitcnt lgkmcnt(0)
	s_ashr_i32 s9, s8, 31
	s_delay_alu instid0(SALU_CYCLE_1) | instskip(SKIP_3) | instid1(VALU_DEP_1)
	s_lshl_b64 s[10:11], s[8:9], 20
	s_lshl_b64 s[16:17], s[8:9], 16
	s_waitcnt vmcnt(0)
	v_readfirstlane_b32 s5, v1
	s_lshl_b32 s4, s5, 3
	s_clause 0x2
	s_load_b64 s[2:3], s[0:1], s4 offset:0x0
	s_load_b64 s[6:7], s[0:1], s4 offset:0x200
	s_load_b64 s[4:5], s[0:1], s4 offset:0x400
	s_waitcnt lgkmcnt(0)
	s_add_u32 s12, s2, s10
	s_addc_u32 s13, s3, s11
	s_and_b32 s18, s6, 15
	s_and_b32 s19, s4, 3
	;; [unrolled: 1-line block ×3, first 2 shown]
	s_or_b32 s18, s19, s18
	s_mov_b32 s19, s15
	s_delay_alu instid0(SALU_CYCLE_1)
	s_or_b64 s[14:15], s[14:15], s[18:19]
	s_sub_u32 s4, s4, s16
	s_subb_u32 s5, s5, s17
	s_cmp_eq_u64 s[14:15], 0
	s_mov_b32 s14, -1
	s_cbranch_scc0 .LBB195_5
; %bb.1:
	v_dual_mov_b32 v2, 0 :: v_dual_lshlrev_b32 v1, 2, v0
	s_mov_b32 s14, exec_lo
	s_delay_alu instid0(VALU_DEP_1)
	v_cmpx_gt_i64_e64 s[4:5], v[1:2]
	s_cbranch_execz .LBB195_4
; %bb.2:
	s_load_b32 s15, s[0:1], 0xc5c
	v_lshlrev_b32_e32 v4, 4, v0
	v_lshlrev_b32_e32 v3, 6, v0
	s_waitcnt lgkmcnt(0)
	s_and_b32 s16, s15, 0xffff
	s_delay_alu instid0(SALU_CYCLE_1)
	s_lshl_b32 s15, s16, 2
	s_add_u32 s17, s2, s10
	s_addc_u32 s11, s3, s11
	s_lshl_b64 s[2:3], s[8:9], 18
	s_lshl_b32 s10, s16, 6
	s_add_u32 s2, s6, s2
	s_addc_u32 s3, s7, s3
	v_add_co_u32 v5, s2, s2, v4
	s_delay_alu instid0(VALU_DEP_1) | instskip(SKIP_1) | instid1(VALU_DEP_3)
	v_add_co_ci_u32_e64 v6, null, s3, 0, s2
	v_add_co_u32 v3, s2, s17, v3
	v_add_co_u32 v5, vcc_lo, v5, 8
	v_add_lshl_u32 v1, v0, s16, 2
	v_add_co_ci_u32_e64 v4, null, s11, 0, s2
	v_add_co_ci_u32_e32 v6, vcc_lo, 0, v6, vcc_lo
	s_mov_b32 s11, 0
	s_lshl_b32 s16, s16, 4
	s_set_inst_prefetch_distance 0x1
	.p2align	6
.LBB195_3:                              ; =>This Inner Loop Header: Depth=1
	s_clause 0x3
	global_load_b64 v[7:8], v[3:4], off
	global_load_b64 v[9:10], v[3:4], off offset:16
	global_load_b64 v[11:12], v[3:4], off offset:32
	;; [unrolled: 1-line block ×3, first 2 shown]
	v_cmp_le_i64_e32 vcc_lo, s[4:5], v[1:2]
	v_cmp_lt_u64_e64 s2, 0xffff, v[1:2]
	v_add_co_u32 v1, s3, v1, s15
	s_delay_alu instid0(VALU_DEP_1) | instskip(SKIP_1) | instid1(VALU_DEP_4)
	v_add_co_ci_u32_e64 v2, s3, 0, v2, s3
	v_add_co_u32 v3, s3, v3, s10
	s_or_b32 s2, vcc_lo, s2
	v_add_co_ci_u32_e64 v4, s3, 0, v4, s3
	s_and_b32 s2, exec_lo, s2
	s_delay_alu instid0(SALU_CYCLE_1)
	s_or_b32 s11, s2, s11
	s_waitcnt vmcnt(3)
	v_cvt_i32_f64_e32 v7, v[7:8]
	s_waitcnt vmcnt(2)
	v_cvt_i32_f64_e32 v8, v[9:10]
	s_waitcnt vmcnt(1)
	v_cvt_i32_f64_e32 v9, v[11:12]
	s_waitcnt vmcnt(0)
	v_cvt_i32_f64_e32 v10, v[13:14]
	global_store_b128 v[5:6], v[7:10], off offset:-8
	v_add_co_u32 v5, vcc_lo, v5, s16
	v_add_co_ci_u32_e32 v6, vcc_lo, 0, v6, vcc_lo
	s_and_not1_b32 exec_lo, exec_lo, s11
	s_cbranch_execnz .LBB195_3
.LBB195_4:
	s_set_inst_prefetch_distance 0x2
	s_or_b32 exec_lo, exec_lo, s14
	s_mov_b32 s14, 0
.LBB195_5:
	s_delay_alu instid0(SALU_CYCLE_1)
	s_and_not1_b32 vcc_lo, exec_lo, s14
	s_cbranch_vccnz .LBB195_25
; %bb.6:
	v_cmp_lt_i64_e64 s2, s[4:5], 1
	s_delay_alu instid0(VALU_DEP_1)
	s_and_b32 vcc_lo, exec_lo, s2
	s_cbranch_vccnz .LBB195_25
; %bb.7:
	s_load_b32 s0, s[0:1], 0xc5c
	v_cmp_gt_u64_e64 s1, 0x10000, s[4:5]
	v_dual_mov_b32 v2, 0 :: v_dual_lshlrev_b32 v1, 4, v0
	v_lshlrev_b32_e32 v5, 2, v0
	v_mov_b32_e32 v9, 0
	v_mov_b32_e32 v10, 0
	s_delay_alu instid0(VALU_DEP_1)
	v_dual_mov_b32 v12, v10 :: v_dual_mov_b32 v11, v9
	v_dual_mov_b32 v14, v10 :: v_dual_mov_b32 v13, v9
	;; [unrolled: 1-line block ×3, first 2 shown]
	s_waitcnt lgkmcnt(0)
	s_and_b32 s0, s0, 0xffff
	s_and_b32 s1, s1, exec_lo
	s_cselect_b32 s3, s5, 0
	s_cselect_b32 s2, s4, 0x10000
	s_lshl_b64 s[8:9], s[8:9], 18
	s_lshl_b32 s11, s0, 1
	s_lshl_b32 s1, s0, 2
	s_lshl_b32 s10, s0, 6
	s_mul_i32 s14, s0, 3
	s_add_u32 s6, s6, s8
	v_mad_u64_u32 v[3:4], null, s0, 48, v[1:2]
	v_add_co_u32 v2, s8, s14, v0
	s_addc_u32 s7, s7, s9
	v_add_co_u32 v5, s14, s6, v5
	s_delay_alu instid0(VALU_DEP_1) | instskip(SKIP_3) | instid1(VALU_DEP_2)
	v_add_co_ci_u32_e64 v6, null, s7, 0, s14
	v_add_co_u32 v26, s14, v0, s0
	s_lshl_b32 s9, s0, 5
	v_add_co_ci_u32_e64 v25, null, 0, 0, s8
	v_lshlrev_b32_e32 v7, 2, v26
	v_add_co_u32 v27, s9, s9, v1
	s_delay_alu instid0(VALU_DEP_1) | instskip(SKIP_1) | instid1(VALU_DEP_4)
	v_add_co_ci_u32_e64 v28, null, 0, 0, s9
	v_add_co_u32 v30, s9, s11, v0
	v_add_co_u32 v7, s6, s6, v7
	v_add_co_ci_u32_e64 v29, null, 0, 0, s14
	v_add_co_ci_u32_e64 v31, null, 0, 0, s9
	v_lshlrev_b32_e32 v32, 4, v26
	v_add_co_ci_u32_e64 v8, null, s7, 0, s6
	s_lshl_b32 s8, s0, 4
	s_mul_i32 s9, s0, 12
	s_lshl_b32 s11, s0, 3
	s_mov_b64 s[6:7], 0
	s_branch .LBB195_9
.LBB195_8:                              ;   in Loop: Header=BB195_9 Depth=1
	s_or_b32 exec_lo, exec_lo, s0
	s_add_u32 s6, s6, s1
	s_addc_u32 s7, s7, 0
	v_add_co_u32 v5, vcc_lo, v5, s8
	v_cmp_ge_i64_e64 s0, s[6:7], s[4:5]
	v_cmp_lt_u64_e64 s14, 0xffff, s[6:7]
	v_add_co_ci_u32_e32 v6, vcc_lo, 0, v6, vcc_lo
	v_add_co_u32 v7, vcc_lo, v7, s8
	v_add_co_ci_u32_e32 v8, vcc_lo, 0, v8, vcc_lo
	s_delay_alu instid0(VALU_DEP_4)
	s_or_b32 s0, s0, s14
	s_add_u32 s12, s12, s10
	s_addc_u32 s13, s13, 0
	s_and_b32 vcc_lo, exec_lo, s0
	s_cbranch_vccnz .LBB195_25
.LBB195_9:                              ; =>This Inner Loop Header: Depth=1
	v_add_co_u32 v17, s0, v0, s6
	s_delay_alu instid0(VALU_DEP_1) | instskip(NEXT) | instid1(VALU_DEP_1)
	v_add_co_ci_u32_e64 v18, null, 0, s7, s0
	v_cmp_gt_i64_e32 vcc_lo, s[4:5], v[17:18]
	v_cmp_gt_u64_e64 s0, 0x10000, v[17:18]
	s_delay_alu instid0(VALU_DEP_1) | instskip(NEXT) | instid1(SALU_CYCLE_1)
	s_and_b32 s14, vcc_lo, s0
	s_and_saveexec_b32 s0, s14
	s_cbranch_execz .LBB195_11
; %bb.10:                               ;   in Loop: Header=BB195_9 Depth=1
	s_waitcnt vmcnt(0)
	v_add_co_u32 v15, s14, s12, v1
	s_delay_alu instid0(VALU_DEP_1)
	v_add_co_ci_u32_e64 v16, null, s13, 0, s14
	global_load_b64 v[15:16], v[15:16], off
.LBB195_11:                             ;   in Loop: Header=BB195_9 Depth=1
	s_or_b32 exec_lo, exec_lo, s0
	v_add_co_u32 v19, vcc_lo, v26, s6
	v_add_co_ci_u32_e32 v20, vcc_lo, s7, v29, vcc_lo
	s_delay_alu instid0(VALU_DEP_1) | instskip(SKIP_1) | instid1(VALU_DEP_1)
	v_cmp_gt_i64_e32 vcc_lo, s[4:5], v[19:20]
	v_cmp_gt_u64_e64 s0, 0x10000, v[19:20]
	s_and_b32 s14, vcc_lo, s0
	s_delay_alu instid0(SALU_CYCLE_1)
	s_and_saveexec_b32 s0, s14
	s_cbranch_execz .LBB195_13
; %bb.12:                               ;   in Loop: Header=BB195_9 Depth=1
	s_waitcnt vmcnt(0)
	v_add_co_u32 v13, s14, s12, v32
	s_delay_alu instid0(VALU_DEP_1)
	v_add_co_ci_u32_e64 v14, null, s13, 0, s14
	global_load_b64 v[13:14], v[13:14], off
.LBB195_13:                             ;   in Loop: Header=BB195_9 Depth=1
	s_or_b32 exec_lo, exec_lo, s0
	v_add_co_u32 v21, vcc_lo, v30, s6
	v_add_co_ci_u32_e32 v22, vcc_lo, s7, v31, vcc_lo
	s_delay_alu instid0(VALU_DEP_1) | instskip(SKIP_1) | instid1(VALU_DEP_1)
	v_cmp_gt_i64_e32 vcc_lo, s[4:5], v[21:22]
	v_cmp_gt_u64_e64 s0, 0x10000, v[21:22]
	s_and_b32 s14, vcc_lo, s0
	s_delay_alu instid0(SALU_CYCLE_1)
	s_and_saveexec_b32 s0, s14
	s_cbranch_execz .LBB195_15
; %bb.14:                               ;   in Loop: Header=BB195_9 Depth=1
	s_waitcnt vmcnt(0)
	v_add_co_u32 v11, vcc_lo, s12, v27
	v_add_co_ci_u32_e32 v12, vcc_lo, s13, v28, vcc_lo
	global_load_b64 v[11:12], v[11:12], off
.LBB195_15:                             ;   in Loop: Header=BB195_9 Depth=1
	s_or_b32 exec_lo, exec_lo, s0
	v_add_co_u32 v23, vcc_lo, v2, s6
	v_add_co_ci_u32_e32 v24, vcc_lo, s7, v25, vcc_lo
	s_delay_alu instid0(VALU_DEP_1) | instskip(SKIP_1) | instid1(VALU_DEP_1)
	v_cmp_gt_i64_e32 vcc_lo, s[4:5], v[23:24]
	v_cmp_gt_u64_e64 s0, 0x10000, v[23:24]
	s_and_b32 s14, vcc_lo, s0
	s_delay_alu instid0(SALU_CYCLE_1)
	s_and_saveexec_b32 s0, s14
	s_cbranch_execnz .LBB195_20
; %bb.16:                               ;   in Loop: Header=BB195_9 Depth=1
	s_or_b32 exec_lo, exec_lo, s0
	s_delay_alu instid0(SALU_CYCLE_1)
	s_mov_b32 s0, exec_lo
	v_cmpx_gt_u64_e64 s[2:3], v[17:18]
	s_cbranch_execnz .LBB195_21
.LBB195_17:                             ;   in Loop: Header=BB195_9 Depth=1
	s_or_b32 exec_lo, exec_lo, s0
	s_delay_alu instid0(SALU_CYCLE_1)
	s_mov_b32 s0, exec_lo
	v_cmpx_gt_u64_e64 s[2:3], v[19:20]
	s_cbranch_execnz .LBB195_22
.LBB195_18:                             ;   in Loop: Header=BB195_9 Depth=1
	s_or_b32 exec_lo, exec_lo, s0
	s_delay_alu instid0(SALU_CYCLE_1)
	s_mov_b32 s0, exec_lo
	v_cmpx_gt_u64_e64 s[2:3], v[21:22]
	s_cbranch_execnz .LBB195_23
.LBB195_19:                             ;   in Loop: Header=BB195_9 Depth=1
	s_or_b32 exec_lo, exec_lo, s0
	s_delay_alu instid0(SALU_CYCLE_1)
	s_mov_b32 s0, exec_lo
	v_cmpx_gt_u64_e64 s[2:3], v[23:24]
	s_cbranch_execz .LBB195_8
	s_branch .LBB195_24
.LBB195_20:                             ;   in Loop: Header=BB195_9 Depth=1
	s_waitcnt vmcnt(0)
	v_add_co_u32 v9, vcc_lo, s12, v3
	v_add_co_ci_u32_e32 v10, vcc_lo, s13, v4, vcc_lo
	global_load_b64 v[9:10], v[9:10], off
	s_or_b32 exec_lo, exec_lo, s0
	s_delay_alu instid0(SALU_CYCLE_1)
	s_mov_b32 s0, exec_lo
	v_cmpx_gt_u64_e64 s[2:3], v[17:18]
	s_cbranch_execz .LBB195_17
.LBB195_21:                             ;   in Loop: Header=BB195_9 Depth=1
	s_waitcnt vmcnt(0)
	v_cvt_i32_f64_e32 v17, v[15:16]
	global_store_b32 v[5:6], v17, off
	s_or_b32 exec_lo, exec_lo, s0
	s_delay_alu instid0(SALU_CYCLE_1)
	s_mov_b32 s0, exec_lo
	v_cmpx_gt_u64_e64 s[2:3], v[19:20]
	s_cbranch_execz .LBB195_18
.LBB195_22:                             ;   in Loop: Header=BB195_9 Depth=1
	s_waitcnt vmcnt(0)
	v_cvt_i32_f64_e32 v17, v[13:14]
	global_store_b32 v[7:8], v17, off
	s_or_b32 exec_lo, exec_lo, s0
	s_delay_alu instid0(SALU_CYCLE_1)
	s_mov_b32 s0, exec_lo
	v_cmpx_gt_u64_e64 s[2:3], v[21:22]
	s_cbranch_execz .LBB195_19
.LBB195_23:                             ;   in Loop: Header=BB195_9 Depth=1
	s_waitcnt vmcnt(0)
	v_cvt_i32_f64_e32 v19, v[11:12]
	v_add_co_u32 v17, vcc_lo, v5, s11
	v_add_co_ci_u32_e32 v18, vcc_lo, 0, v6, vcc_lo
	global_store_b32 v[17:18], v19, off
	s_or_b32 exec_lo, exec_lo, s0
	s_delay_alu instid0(SALU_CYCLE_1)
	s_mov_b32 s0, exec_lo
	v_cmpx_gt_u64_e64 s[2:3], v[23:24]
	s_cbranch_execz .LBB195_8
.LBB195_24:                             ;   in Loop: Header=BB195_9 Depth=1
	s_waitcnt vmcnt(0)
	v_cvt_i32_f64_e32 v19, v[9:10]
	v_add_co_u32 v17, vcc_lo, v5, s9
	v_add_co_ci_u32_e32 v18, vcc_lo, 0, v6, vcc_lo
	global_store_b32 v[17:18], v19, off
	s_branch .LBB195_8
.LBB195_25:
	s_nop 0
	s_sendmsg sendmsg(MSG_DEALLOC_VGPRS)
	s_endpgm
	.section	.rodata,"a",@progbits
	.p2align	6, 0x0
	.amdhsa_kernel _ZN2at6native12_GLOBAL__N_125multi_tensor_apply_kernelINS1_18TensorListMetadataILi2EEENS1_11CopyFunctorIiN3c107complexIdEELi2ELi1ELi1EEEJNS0_4CopyIiS8_EEEEEvT_T0_DpT1_
		.amdhsa_group_segment_fixed_size 0
		.amdhsa_private_segment_fixed_size 0
		.amdhsa_kernarg_size 3408
		.amdhsa_user_sgpr_count 15
		.amdhsa_user_sgpr_dispatch_ptr 0
		.amdhsa_user_sgpr_queue_ptr 0
		.amdhsa_user_sgpr_kernarg_segment_ptr 1
		.amdhsa_user_sgpr_dispatch_id 0
		.amdhsa_user_sgpr_private_segment_size 0
		.amdhsa_wavefront_size32 1
		.amdhsa_uses_dynamic_stack 0
		.amdhsa_enable_private_segment 0
		.amdhsa_system_sgpr_workgroup_id_x 1
		.amdhsa_system_sgpr_workgroup_id_y 0
		.amdhsa_system_sgpr_workgroup_id_z 0
		.amdhsa_system_sgpr_workgroup_info 0
		.amdhsa_system_vgpr_workitem_id 0
		.amdhsa_next_free_vgpr 33
		.amdhsa_next_free_sgpr 20
		.amdhsa_reserve_vcc 1
		.amdhsa_float_round_mode_32 0
		.amdhsa_float_round_mode_16_64 0
		.amdhsa_float_denorm_mode_32 3
		.amdhsa_float_denorm_mode_16_64 3
		.amdhsa_dx10_clamp 1
		.amdhsa_ieee_mode 1
		.amdhsa_fp16_overflow 0
		.amdhsa_workgroup_processor_mode 1
		.amdhsa_memory_ordered 1
		.amdhsa_forward_progress 0
		.amdhsa_shared_vgpr_count 0
		.amdhsa_exception_fp_ieee_invalid_op 0
		.amdhsa_exception_fp_denorm_src 0
		.amdhsa_exception_fp_ieee_div_zero 0
		.amdhsa_exception_fp_ieee_overflow 0
		.amdhsa_exception_fp_ieee_underflow 0
		.amdhsa_exception_fp_ieee_inexact 0
		.amdhsa_exception_int_div_zero 0
	.end_amdhsa_kernel
	.section	.text._ZN2at6native12_GLOBAL__N_125multi_tensor_apply_kernelINS1_18TensorListMetadataILi2EEENS1_11CopyFunctorIiN3c107complexIdEELi2ELi1ELi1EEEJNS0_4CopyIiS8_EEEEEvT_T0_DpT1_,"axG",@progbits,_ZN2at6native12_GLOBAL__N_125multi_tensor_apply_kernelINS1_18TensorListMetadataILi2EEENS1_11CopyFunctorIiN3c107complexIdEELi2ELi1ELi1EEEJNS0_4CopyIiS8_EEEEEvT_T0_DpT1_,comdat
.Lfunc_end195:
	.size	_ZN2at6native12_GLOBAL__N_125multi_tensor_apply_kernelINS1_18TensorListMetadataILi2EEENS1_11CopyFunctorIiN3c107complexIdEELi2ELi1ELi1EEEJNS0_4CopyIiS8_EEEEEvT_T0_DpT1_, .Lfunc_end195-_ZN2at6native12_GLOBAL__N_125multi_tensor_apply_kernelINS1_18TensorListMetadataILi2EEENS1_11CopyFunctorIiN3c107complexIdEELi2ELi1ELi1EEEJNS0_4CopyIiS8_EEEEEvT_T0_DpT1_
                                        ; -- End function
	.section	.AMDGPU.csdata,"",@progbits
; Kernel info:
; codeLenInByte = 1500
; NumSgprs: 22
; NumVgprs: 33
; ScratchSize: 0
; MemoryBound: 0
; FloatMode: 240
; IeeeMode: 1
; LDSByteSize: 0 bytes/workgroup (compile time only)
; SGPRBlocks: 2
; VGPRBlocks: 4
; NumSGPRsForWavesPerEU: 22
; NumVGPRsForWavesPerEU: 33
; Occupancy: 16
; WaveLimiterHint : 0
; COMPUTE_PGM_RSRC2:SCRATCH_EN: 0
; COMPUTE_PGM_RSRC2:USER_SGPR: 15
; COMPUTE_PGM_RSRC2:TRAP_HANDLER: 0
; COMPUTE_PGM_RSRC2:TGID_X_EN: 1
; COMPUTE_PGM_RSRC2:TGID_Y_EN: 0
; COMPUTE_PGM_RSRC2:TGID_Z_EN: 0
; COMPUTE_PGM_RSRC2:TIDIG_COMP_CNT: 0
	.section	.text._ZN2at6native12_GLOBAL__N_125multi_tensor_apply_kernelINS1_18TensorListMetadataILi2EEENS1_11CopyFunctorIiN3c107complexIfEELi2ELi1ELi1EEEJNS0_4CopyIiS8_EEEEEvT_T0_DpT1_,"axG",@progbits,_ZN2at6native12_GLOBAL__N_125multi_tensor_apply_kernelINS1_18TensorListMetadataILi2EEENS1_11CopyFunctorIiN3c107complexIfEELi2ELi1ELi1EEEJNS0_4CopyIiS8_EEEEEvT_T0_DpT1_,comdat
	.globl	_ZN2at6native12_GLOBAL__N_125multi_tensor_apply_kernelINS1_18TensorListMetadataILi2EEENS1_11CopyFunctorIiN3c107complexIfEELi2ELi1ELi1EEEJNS0_4CopyIiS8_EEEEEvT_T0_DpT1_ ; -- Begin function _ZN2at6native12_GLOBAL__N_125multi_tensor_apply_kernelINS1_18TensorListMetadataILi2EEENS1_11CopyFunctorIiN3c107complexIfEELi2ELi1ELi1EEEJNS0_4CopyIiS8_EEEEEvT_T0_DpT1_
	.p2align	8
	.type	_ZN2at6native12_GLOBAL__N_125multi_tensor_apply_kernelINS1_18TensorListMetadataILi2EEENS1_11CopyFunctorIiN3c107complexIfEELi2ELi1ELi1EEEJNS0_4CopyIiS8_EEEEEvT_T0_DpT1_,@function
_ZN2at6native12_GLOBAL__N_125multi_tensor_apply_kernelINS1_18TensorListMetadataILi2EEENS1_11CopyFunctorIiN3c107complexIfEELi2ELi1ELi1EEEJNS0_4CopyIiS8_EEEEEvT_T0_DpT1_: ; @_ZN2at6native12_GLOBAL__N_125multi_tensor_apply_kernelINS1_18TensorListMetadataILi2EEENS1_11CopyFunctorIiN3c107complexIfEELi2ELi1ELi1EEEJNS0_4CopyIiS8_EEEEEvT_T0_DpT1_
; %bb.0:
	v_mov_b32_e32 v1, s15
	s_add_u32 s2, s0, s15
	s_mul_hi_u32 s3, s15, 3
	s_mul_i32 s15, s15, 3
	s_addc_u32 s4, s1, 0
	global_load_u8 v1, v1, s[0:1] offset:1536
	s_add_u32 s2, s2, s15
	s_addc_u32 s3, s4, s3
	s_mov_b32 s15, 0
	s_load_b32 s8, s[2:3], 0x740
	s_waitcnt lgkmcnt(0)
	s_ashr_i32 s9, s8, 31
	s_delay_alu instid0(SALU_CYCLE_1) | instskip(SKIP_3) | instid1(VALU_DEP_1)
	s_lshl_b64 s[10:11], s[8:9], 19
	s_lshl_b64 s[16:17], s[8:9], 16
	s_waitcnt vmcnt(0)
	v_readfirstlane_b32 s5, v1
	s_lshl_b32 s4, s5, 3
	s_clause 0x2
	s_load_b64 s[2:3], s[0:1], s4 offset:0x0
	s_load_b64 s[6:7], s[0:1], s4 offset:0x200
	;; [unrolled: 1-line block ×3, first 2 shown]
	s_waitcnt lgkmcnt(0)
	s_add_u32 s12, s2, s10
	s_addc_u32 s13, s3, s11
	s_and_b32 s18, s6, 15
	s_and_b32 s19, s4, 3
	;; [unrolled: 1-line block ×3, first 2 shown]
	s_or_b32 s18, s19, s18
	s_mov_b32 s19, s15
	s_delay_alu instid0(SALU_CYCLE_1)
	s_or_b64 s[14:15], s[14:15], s[18:19]
	s_sub_u32 s4, s4, s16
	s_subb_u32 s5, s5, s17
	s_cmp_eq_u64 s[14:15], 0
	s_mov_b32 s14, -1
	s_cbranch_scc0 .LBB196_5
; %bb.1:
	v_dual_mov_b32 v2, 0 :: v_dual_lshlrev_b32 v1, 2, v0
	s_mov_b32 s14, exec_lo
	s_delay_alu instid0(VALU_DEP_1)
	v_cmpx_gt_i64_e64 s[4:5], v[1:2]
	s_cbranch_execz .LBB196_4
; %bb.2:
	s_load_b32 s15, s[0:1], 0xc5c
	v_lshlrev_b32_e32 v4, 4, v0
	v_lshlrev_b32_e32 v3, 5, v0
	s_waitcnt lgkmcnt(0)
	s_and_b32 s16, s15, 0xffff
	s_delay_alu instid0(SALU_CYCLE_1)
	s_lshl_b32 s15, s16, 2
	s_add_u32 s17, s2, s10
	s_addc_u32 s11, s3, s11
	s_lshl_b64 s[2:3], s[8:9], 18
	s_lshl_b32 s10, s16, 5
	s_add_u32 s2, s6, s2
	s_addc_u32 s3, s7, s3
	v_add_co_u32 v5, s2, s2, v4
	s_delay_alu instid0(VALU_DEP_1) | instskip(SKIP_1) | instid1(VALU_DEP_3)
	v_add_co_ci_u32_e64 v6, null, s3, 0, s2
	v_add_co_u32 v3, s2, s17, v3
	v_add_co_u32 v5, vcc_lo, v5, 8
	v_add_lshl_u32 v1, v0, s16, 2
	v_add_co_ci_u32_e64 v4, null, s11, 0, s2
	v_add_co_ci_u32_e32 v6, vcc_lo, 0, v6, vcc_lo
	s_mov_b32 s11, 0
	s_lshl_b32 s16, s16, 4
	s_set_inst_prefetch_distance 0x1
	.p2align	6
.LBB196_3:                              ; =>This Inner Loop Header: Depth=1
	s_clause 0x3
	global_load_b32 v7, v[3:4], off
	global_load_b32 v8, v[3:4], off offset:8
	global_load_b32 v9, v[3:4], off offset:16
	;; [unrolled: 1-line block ×3, first 2 shown]
	v_cmp_le_i64_e32 vcc_lo, s[4:5], v[1:2]
	v_cmp_lt_u64_e64 s2, 0xffff, v[1:2]
	v_add_co_u32 v1, s3, v1, s15
	s_delay_alu instid0(VALU_DEP_1) | instskip(SKIP_1) | instid1(VALU_DEP_4)
	v_add_co_ci_u32_e64 v2, s3, 0, v2, s3
	v_add_co_u32 v3, s3, v3, s10
	s_or_b32 s2, vcc_lo, s2
	v_add_co_ci_u32_e64 v4, s3, 0, v4, s3
	s_and_b32 s2, exec_lo, s2
	s_delay_alu instid0(SALU_CYCLE_1)
	s_or_b32 s11, s2, s11
	s_waitcnt vmcnt(3)
	v_cvt_i32_f32_e32 v7, v7
	s_waitcnt vmcnt(2)
	v_cvt_i32_f32_e32 v8, v8
	;; [unrolled: 2-line block ×4, first 2 shown]
	global_store_b128 v[5:6], v[7:10], off offset:-8
	v_add_co_u32 v5, vcc_lo, v5, s16
	v_add_co_ci_u32_e32 v6, vcc_lo, 0, v6, vcc_lo
	s_and_not1_b32 exec_lo, exec_lo, s11
	s_cbranch_execnz .LBB196_3
.LBB196_4:
	s_set_inst_prefetch_distance 0x2
	s_or_b32 exec_lo, exec_lo, s14
	s_mov_b32 s14, 0
.LBB196_5:
	s_delay_alu instid0(SALU_CYCLE_1)
	s_and_not1_b32 vcc_lo, exec_lo, s14
	s_cbranch_vccnz .LBB196_25
; %bb.6:
	v_cmp_lt_i64_e64 s2, s[4:5], 1
	s_delay_alu instid0(VALU_DEP_1)
	s_and_b32 vcc_lo, exec_lo, s2
	s_cbranch_vccnz .LBB196_25
; %bb.7:
	s_load_b32 s0, s[0:1], 0xc5c
	v_cmp_gt_u64_e64 s1, 0x10000, s[4:5]
	v_dual_mov_b32 v2, 0 :: v_dual_lshlrev_b32 v1, 3, v0
	s_delay_alu instid0(VALU_DEP_1)
	v_dual_mov_b32 v26, v2 :: v_dual_lshlrev_b32 v5, 2, v0
	v_mov_b32_e32 v27, v2
	v_mov_b32_e32 v28, v2
	s_waitcnt lgkmcnt(0)
	s_and_b32 s0, s0, 0xffff
	s_and_b32 s1, s1, exec_lo
	s_cselect_b32 s3, s5, 0
	s_cselect_b32 s2, s4, 0x10000
	s_lshl_b64 s[8:9], s[8:9], 18
	s_lshl_b32 s11, s0, 1
	s_lshl_b32 s1, s0, 2
	;; [unrolled: 1-line block ×3, first 2 shown]
	s_add_u32 s6, s6, s8
	s_addc_u32 s7, s7, s9
	v_add_co_u32 v5, s9, s6, v5
	s_delay_alu instid0(VALU_DEP_1) | instskip(SKIP_3) | instid1(VALU_DEP_2)
	v_add_co_ci_u32_e64 v6, null, s7, 0, s9
	v_add_co_u32 v19, s9, v0, s0
	s_mul_i32 s14, s0, 3
	v_mad_u64_u32 v[3:4], null, s0, 24, v[1:2]
	v_lshlrev_b32_e32 v7, 2, v19
	v_add_co_u32 v17, s8, s14, v0
	s_delay_alu instid0(VALU_DEP_1)
	v_add_co_ci_u32_e64 v18, null, 0, 0, s8
	s_lshl_b32 s8, s0, 4
	v_add_co_ci_u32_e64 v22, null, 0, 0, s9
	v_add_co_u32 v20, s14, s8, v1
	v_add_co_u32 v23, s9, s11, v0
	;; [unrolled: 1-line block ×3, first 2 shown]
	v_add_co_ci_u32_e64 v21, null, 0, 0, s14
	v_add_co_ci_u32_e64 v24, null, 0, 0, s9
	v_lshlrev_b32_e32 v25, 3, v19
	v_add_co_ci_u32_e64 v8, null, s7, 0, s6
	s_mul_i32 s9, s0, 12
	s_lshl_b32 s11, s0, 3
	s_mov_b64 s[6:7], 0
	s_branch .LBB196_9
.LBB196_8:                              ;   in Loop: Header=BB196_9 Depth=1
	s_or_b32 exec_lo, exec_lo, s0
	s_add_u32 s6, s6, s1
	s_addc_u32 s7, s7, 0
	v_add_co_u32 v5, vcc_lo, v5, s8
	v_cmp_ge_i64_e64 s0, s[6:7], s[4:5]
	v_cmp_lt_u64_e64 s14, 0xffff, s[6:7]
	v_add_co_ci_u32_e32 v6, vcc_lo, 0, v6, vcc_lo
	v_add_co_u32 v7, vcc_lo, v7, s8
	v_add_co_ci_u32_e32 v8, vcc_lo, 0, v8, vcc_lo
	s_delay_alu instid0(VALU_DEP_4)
	s_or_b32 s0, s0, s14
	s_add_u32 s12, s12, s10
	s_addc_u32 s13, s13, 0
	s_and_b32 vcc_lo, exec_lo, s0
	s_cbranch_vccnz .LBB196_25
.LBB196_9:                              ; =>This Inner Loop Header: Depth=1
	v_add_co_u32 v9, s0, v0, s6
	s_delay_alu instid0(VALU_DEP_1) | instskip(NEXT) | instid1(VALU_DEP_1)
	v_add_co_ci_u32_e64 v10, null, 0, s7, s0
	v_cmp_gt_i64_e32 vcc_lo, s[4:5], v[9:10]
	v_cmp_gt_u64_e64 s0, 0x10000, v[9:10]
	s_delay_alu instid0(VALU_DEP_1) | instskip(NEXT) | instid1(SALU_CYCLE_1)
	s_and_b32 s14, vcc_lo, s0
	s_and_saveexec_b32 s0, s14
	s_cbranch_execz .LBB196_11
; %bb.10:                               ;   in Loop: Header=BB196_9 Depth=1
	v_add_co_u32 v11, s14, s12, v1
	s_delay_alu instid0(VALU_DEP_1)
	v_add_co_ci_u32_e64 v12, null, s13, 0, s14
	global_load_b32 v28, v[11:12], off
.LBB196_11:                             ;   in Loop: Header=BB196_9 Depth=1
	s_or_b32 exec_lo, exec_lo, s0
	v_add_co_u32 v11, vcc_lo, v19, s6
	v_add_co_ci_u32_e32 v12, vcc_lo, s7, v22, vcc_lo
	s_delay_alu instid0(VALU_DEP_1) | instskip(SKIP_1) | instid1(VALU_DEP_1)
	v_cmp_gt_i64_e32 vcc_lo, s[4:5], v[11:12]
	v_cmp_gt_u64_e64 s0, 0x10000, v[11:12]
	s_and_b32 s14, vcc_lo, s0
	s_delay_alu instid0(SALU_CYCLE_1)
	s_and_saveexec_b32 s0, s14
	s_cbranch_execz .LBB196_13
; %bb.12:                               ;   in Loop: Header=BB196_9 Depth=1
	v_add_co_u32 v13, s14, s12, v25
	s_delay_alu instid0(VALU_DEP_1)
	v_add_co_ci_u32_e64 v14, null, s13, 0, s14
	global_load_b32 v27, v[13:14], off
.LBB196_13:                             ;   in Loop: Header=BB196_9 Depth=1
	s_or_b32 exec_lo, exec_lo, s0
	v_add_co_u32 v13, vcc_lo, v23, s6
	v_add_co_ci_u32_e32 v14, vcc_lo, s7, v24, vcc_lo
	s_delay_alu instid0(VALU_DEP_1) | instskip(SKIP_1) | instid1(VALU_DEP_1)
	v_cmp_gt_i64_e32 vcc_lo, s[4:5], v[13:14]
	v_cmp_gt_u64_e64 s0, 0x10000, v[13:14]
	s_and_b32 s14, vcc_lo, s0
	s_delay_alu instid0(SALU_CYCLE_1)
	s_and_saveexec_b32 s0, s14
	s_cbranch_execz .LBB196_15
; %bb.14:                               ;   in Loop: Header=BB196_9 Depth=1
	v_add_co_u32 v15, vcc_lo, s12, v20
	v_add_co_ci_u32_e32 v16, vcc_lo, s13, v21, vcc_lo
	global_load_b32 v26, v[15:16], off
.LBB196_15:                             ;   in Loop: Header=BB196_9 Depth=1
	s_or_b32 exec_lo, exec_lo, s0
	v_add_co_u32 v15, vcc_lo, v17, s6
	v_add_co_ci_u32_e32 v16, vcc_lo, s7, v18, vcc_lo
	s_delay_alu instid0(VALU_DEP_1) | instskip(SKIP_1) | instid1(VALU_DEP_1)
	v_cmp_gt_i64_e32 vcc_lo, s[4:5], v[15:16]
	v_cmp_gt_u64_e64 s0, 0x10000, v[15:16]
	s_and_b32 s14, vcc_lo, s0
	s_delay_alu instid0(SALU_CYCLE_1)
	s_and_saveexec_b32 s0, s14
	s_cbranch_execnz .LBB196_20
; %bb.16:                               ;   in Loop: Header=BB196_9 Depth=1
	s_or_b32 exec_lo, exec_lo, s0
	s_delay_alu instid0(SALU_CYCLE_1)
	s_mov_b32 s0, exec_lo
	v_cmpx_gt_u64_e64 s[2:3], v[9:10]
	s_cbranch_execnz .LBB196_21
.LBB196_17:                             ;   in Loop: Header=BB196_9 Depth=1
	s_or_b32 exec_lo, exec_lo, s0
	s_delay_alu instid0(SALU_CYCLE_1)
	s_mov_b32 s0, exec_lo
	v_cmpx_gt_u64_e64 s[2:3], v[11:12]
	s_cbranch_execnz .LBB196_22
.LBB196_18:                             ;   in Loop: Header=BB196_9 Depth=1
	s_or_b32 exec_lo, exec_lo, s0
	s_delay_alu instid0(SALU_CYCLE_1)
	s_mov_b32 s0, exec_lo
	v_cmpx_gt_u64_e64 s[2:3], v[13:14]
	s_cbranch_execnz .LBB196_23
.LBB196_19:                             ;   in Loop: Header=BB196_9 Depth=1
	s_or_b32 exec_lo, exec_lo, s0
	s_delay_alu instid0(SALU_CYCLE_1)
	s_mov_b32 s0, exec_lo
	v_cmpx_gt_u64_e64 s[2:3], v[15:16]
	s_cbranch_execz .LBB196_8
	s_branch .LBB196_24
.LBB196_20:                             ;   in Loop: Header=BB196_9 Depth=1
	v_add_co_u32 v29, vcc_lo, s12, v3
	v_add_co_ci_u32_e32 v30, vcc_lo, s13, v4, vcc_lo
	global_load_b32 v2, v[29:30], off
	s_or_b32 exec_lo, exec_lo, s0
	s_delay_alu instid0(SALU_CYCLE_1)
	s_mov_b32 s0, exec_lo
	v_cmpx_gt_u64_e64 s[2:3], v[9:10]
	s_cbranch_execz .LBB196_17
.LBB196_21:                             ;   in Loop: Header=BB196_9 Depth=1
	s_waitcnt vmcnt(0)
	v_cvt_i32_f32_e32 v9, v28
	global_store_b32 v[5:6], v9, off
	s_or_b32 exec_lo, exec_lo, s0
	s_delay_alu instid0(SALU_CYCLE_1)
	s_mov_b32 s0, exec_lo
	v_cmpx_gt_u64_e64 s[2:3], v[11:12]
	s_cbranch_execz .LBB196_18
.LBB196_22:                             ;   in Loop: Header=BB196_9 Depth=1
	s_waitcnt vmcnt(0)
	v_cvt_i32_f32_e32 v9, v27
	global_store_b32 v[7:8], v9, off
	s_or_b32 exec_lo, exec_lo, s0
	s_delay_alu instid0(SALU_CYCLE_1)
	s_mov_b32 s0, exec_lo
	v_cmpx_gt_u64_e64 s[2:3], v[13:14]
	s_cbranch_execz .LBB196_19
.LBB196_23:                             ;   in Loop: Header=BB196_9 Depth=1
	v_add_co_u32 v9, vcc_lo, v5, s11
	s_waitcnt vmcnt(0)
	v_cvt_i32_f32_e32 v11, v26
	v_add_co_ci_u32_e32 v10, vcc_lo, 0, v6, vcc_lo
	global_store_b32 v[9:10], v11, off
	s_or_b32 exec_lo, exec_lo, s0
	s_delay_alu instid0(SALU_CYCLE_1)
	s_mov_b32 s0, exec_lo
	v_cmpx_gt_u64_e64 s[2:3], v[15:16]
	s_cbranch_execz .LBB196_8
.LBB196_24:                             ;   in Loop: Header=BB196_9 Depth=1
	v_add_co_u32 v9, vcc_lo, v5, s9
	s_waitcnt vmcnt(0)
	v_cvt_i32_f32_e32 v11, v2
	v_add_co_ci_u32_e32 v10, vcc_lo, 0, v6, vcc_lo
	global_store_b32 v[9:10], v11, off
	s_branch .LBB196_8
.LBB196_25:
	s_nop 0
	s_sendmsg sendmsg(MSG_DEALLOC_VGPRS)
	s_endpgm
	.section	.rodata,"a",@progbits
	.p2align	6, 0x0
	.amdhsa_kernel _ZN2at6native12_GLOBAL__N_125multi_tensor_apply_kernelINS1_18TensorListMetadataILi2EEENS1_11CopyFunctorIiN3c107complexIfEELi2ELi1ELi1EEEJNS0_4CopyIiS8_EEEEEvT_T0_DpT1_
		.amdhsa_group_segment_fixed_size 0
		.amdhsa_private_segment_fixed_size 0
		.amdhsa_kernarg_size 3408
		.amdhsa_user_sgpr_count 15
		.amdhsa_user_sgpr_dispatch_ptr 0
		.amdhsa_user_sgpr_queue_ptr 0
		.amdhsa_user_sgpr_kernarg_segment_ptr 1
		.amdhsa_user_sgpr_dispatch_id 0
		.amdhsa_user_sgpr_private_segment_size 0
		.amdhsa_wavefront_size32 1
		.amdhsa_uses_dynamic_stack 0
		.amdhsa_enable_private_segment 0
		.amdhsa_system_sgpr_workgroup_id_x 1
		.amdhsa_system_sgpr_workgroup_id_y 0
		.amdhsa_system_sgpr_workgroup_id_z 0
		.amdhsa_system_sgpr_workgroup_info 0
		.amdhsa_system_vgpr_workitem_id 0
		.amdhsa_next_free_vgpr 31
		.amdhsa_next_free_sgpr 20
		.amdhsa_reserve_vcc 1
		.amdhsa_float_round_mode_32 0
		.amdhsa_float_round_mode_16_64 0
		.amdhsa_float_denorm_mode_32 3
		.amdhsa_float_denorm_mode_16_64 3
		.amdhsa_dx10_clamp 1
		.amdhsa_ieee_mode 1
		.amdhsa_fp16_overflow 0
		.amdhsa_workgroup_processor_mode 1
		.amdhsa_memory_ordered 1
		.amdhsa_forward_progress 0
		.amdhsa_shared_vgpr_count 0
		.amdhsa_exception_fp_ieee_invalid_op 0
		.amdhsa_exception_fp_denorm_src 0
		.amdhsa_exception_fp_ieee_div_zero 0
		.amdhsa_exception_fp_ieee_overflow 0
		.amdhsa_exception_fp_ieee_underflow 0
		.amdhsa_exception_fp_ieee_inexact 0
		.amdhsa_exception_int_div_zero 0
	.end_amdhsa_kernel
	.section	.text._ZN2at6native12_GLOBAL__N_125multi_tensor_apply_kernelINS1_18TensorListMetadataILi2EEENS1_11CopyFunctorIiN3c107complexIfEELi2ELi1ELi1EEEJNS0_4CopyIiS8_EEEEEvT_T0_DpT1_,"axG",@progbits,_ZN2at6native12_GLOBAL__N_125multi_tensor_apply_kernelINS1_18TensorListMetadataILi2EEENS1_11CopyFunctorIiN3c107complexIfEELi2ELi1ELi1EEEJNS0_4CopyIiS8_EEEEEvT_T0_DpT1_,comdat
.Lfunc_end196:
	.size	_ZN2at6native12_GLOBAL__N_125multi_tensor_apply_kernelINS1_18TensorListMetadataILi2EEENS1_11CopyFunctorIiN3c107complexIfEELi2ELi1ELi1EEEJNS0_4CopyIiS8_EEEEEvT_T0_DpT1_, .Lfunc_end196-_ZN2at6native12_GLOBAL__N_125multi_tensor_apply_kernelINS1_18TensorListMetadataILi2EEENS1_11CopyFunctorIiN3c107complexIfEELi2ELi1ELi1EEEJNS0_4CopyIiS8_EEEEEvT_T0_DpT1_
                                        ; -- End function
	.section	.AMDGPU.csdata,"",@progbits
; Kernel info:
; codeLenInByte = 1460
; NumSgprs: 22
; NumVgprs: 31
; ScratchSize: 0
; MemoryBound: 0
; FloatMode: 240
; IeeeMode: 1
; LDSByteSize: 0 bytes/workgroup (compile time only)
; SGPRBlocks: 2
; VGPRBlocks: 3
; NumSGPRsForWavesPerEU: 22
; NumVGPRsForWavesPerEU: 31
; Occupancy: 16
; WaveLimiterHint : 0
; COMPUTE_PGM_RSRC2:SCRATCH_EN: 0
; COMPUTE_PGM_RSRC2:USER_SGPR: 15
; COMPUTE_PGM_RSRC2:TRAP_HANDLER: 0
; COMPUTE_PGM_RSRC2:TGID_X_EN: 1
; COMPUTE_PGM_RSRC2:TGID_Y_EN: 0
; COMPUTE_PGM_RSRC2:TGID_Z_EN: 0
; COMPUTE_PGM_RSRC2:TIDIG_COMP_CNT: 0
	.section	.text._ZN2at6native12_GLOBAL__N_125multi_tensor_apply_kernelINS1_18TensorListMetadataILi2EEENS1_11CopyFunctorIiN3c104HalfELi2ELi1ELi1EEEJNS0_4CopyIiS7_EEEEEvT_T0_DpT1_,"axG",@progbits,_ZN2at6native12_GLOBAL__N_125multi_tensor_apply_kernelINS1_18TensorListMetadataILi2EEENS1_11CopyFunctorIiN3c104HalfELi2ELi1ELi1EEEJNS0_4CopyIiS7_EEEEEvT_T0_DpT1_,comdat
	.globl	_ZN2at6native12_GLOBAL__N_125multi_tensor_apply_kernelINS1_18TensorListMetadataILi2EEENS1_11CopyFunctorIiN3c104HalfELi2ELi1ELi1EEEJNS0_4CopyIiS7_EEEEEvT_T0_DpT1_ ; -- Begin function _ZN2at6native12_GLOBAL__N_125multi_tensor_apply_kernelINS1_18TensorListMetadataILi2EEENS1_11CopyFunctorIiN3c104HalfELi2ELi1ELi1EEEJNS0_4CopyIiS7_EEEEEvT_T0_DpT1_
	.p2align	8
	.type	_ZN2at6native12_GLOBAL__N_125multi_tensor_apply_kernelINS1_18TensorListMetadataILi2EEENS1_11CopyFunctorIiN3c104HalfELi2ELi1ELi1EEEJNS0_4CopyIiS7_EEEEEvT_T0_DpT1_,@function
_ZN2at6native12_GLOBAL__N_125multi_tensor_apply_kernelINS1_18TensorListMetadataILi2EEENS1_11CopyFunctorIiN3c104HalfELi2ELi1ELi1EEEJNS0_4CopyIiS7_EEEEEvT_T0_DpT1_: ; @_ZN2at6native12_GLOBAL__N_125multi_tensor_apply_kernelINS1_18TensorListMetadataILi2EEENS1_11CopyFunctorIiN3c104HalfELi2ELi1ELi1EEEJNS0_4CopyIiS7_EEEEEvT_T0_DpT1_
; %bb.0:
	v_mov_b32_e32 v1, s15
	s_add_u32 s2, s0, s15
	s_mul_hi_u32 s3, s15, 3
	s_mul_i32 s15, s15, 3
	s_addc_u32 s4, s1, 0
	global_load_u8 v1, v1, s[0:1] offset:1536
	s_add_u32 s2, s2, s15
	s_addc_u32 s3, s4, s3
	s_mov_b32 s15, 0
	s_load_b32 s8, s[2:3], 0x740
	s_waitcnt lgkmcnt(0)
	s_ashr_i32 s9, s8, 31
	s_delay_alu instid0(SALU_CYCLE_1) | instskip(SKIP_3) | instid1(VALU_DEP_1)
	s_lshl_b64 s[10:11], s[8:9], 17
	s_lshl_b64 s[16:17], s[8:9], 16
	s_waitcnt vmcnt(0)
	v_readfirstlane_b32 s5, v1
	s_lshl_b32 s4, s5, 3
	s_clause 0x2
	s_load_b64 s[2:3], s[0:1], s4 offset:0x0
	s_load_b64 s[6:7], s[0:1], s4 offset:0x200
	;; [unrolled: 1-line block ×3, first 2 shown]
	s_waitcnt lgkmcnt(0)
	s_add_u32 s12, s2, s10
	s_addc_u32 s13, s3, s11
	s_and_b32 s18, s6, 15
	s_and_b32 s19, s4, 3
	;; [unrolled: 1-line block ×3, first 2 shown]
	s_or_b32 s18, s19, s18
	s_mov_b32 s19, s15
	s_delay_alu instid0(SALU_CYCLE_1)
	s_or_b64 s[14:15], s[14:15], s[18:19]
	s_sub_u32 s4, s4, s16
	s_subb_u32 s5, s5, s17
	s_cmp_eq_u64 s[14:15], 0
	s_mov_b32 s14, -1
	s_cbranch_scc0 .LBB197_5
; %bb.1:
	v_dual_mov_b32 v2, 0 :: v_dual_lshlrev_b32 v1, 2, v0
	s_mov_b32 s14, exec_lo
	s_delay_alu instid0(VALU_DEP_1)
	v_cmpx_gt_i64_e64 s[4:5], v[1:2]
	s_cbranch_execz .LBB197_4
; %bb.2:
	s_load_b32 s15, s[0:1], 0xc5c
	v_lshlrev_b32_e32 v4, 4, v0
	v_lshlrev_b32_e32 v3, 3, v0
	s_waitcnt lgkmcnt(0)
	s_and_b32 s16, s15, 0xffff
	s_delay_alu instid0(SALU_CYCLE_1)
	s_lshl_b32 s15, s16, 2
	s_add_u32 s17, s2, s10
	s_addc_u32 s11, s3, s11
	s_lshl_b64 s[2:3], s[8:9], 18
	s_lshl_b32 s10, s16, 3
	s_add_u32 s2, s6, s2
	s_addc_u32 s3, s7, s3
	v_add_co_u32 v5, s2, s2, v4
	s_delay_alu instid0(VALU_DEP_1) | instskip(SKIP_1) | instid1(VALU_DEP_3)
	v_add_co_ci_u32_e64 v6, null, s3, 0, s2
	v_add_co_u32 v3, s2, s17, v3
	v_add_co_u32 v5, vcc_lo, v5, 8
	v_add_lshl_u32 v1, v0, s16, 2
	v_add_co_ci_u32_e64 v4, null, s11, 0, s2
	v_add_co_ci_u32_e32 v6, vcc_lo, 0, v6, vcc_lo
	s_mov_b32 s11, 0
	s_lshl_b32 s16, s16, 4
	s_set_inst_prefetch_distance 0x1
	.p2align	6
.LBB197_3:                              ; =>This Inner Loop Header: Depth=1
	global_load_b64 v[7:8], v[3:4], off
	v_cmp_le_i64_e32 vcc_lo, s[4:5], v[1:2]
	v_cmp_lt_u64_e64 s2, 0xffff, v[1:2]
	v_add_co_u32 v1, s3, v1, s15
	s_delay_alu instid0(VALU_DEP_1) | instskip(SKIP_1) | instid1(VALU_DEP_4)
	v_add_co_ci_u32_e64 v2, s3, 0, v2, s3
	v_add_co_u32 v3, s3, v3, s10
	s_or_b32 s2, vcc_lo, s2
	v_add_co_ci_u32_e64 v4, s3, 0, v4, s3
	s_and_b32 s2, exec_lo, s2
	s_delay_alu instid0(SALU_CYCLE_1)
	s_or_b32 s11, s2, s11
	s_waitcnt vmcnt(0)
	v_lshrrev_b32_e32 v9, 16, v7
	v_lshrrev_b32_e32 v10, 16, v8
	v_cvt_f32_f16_e32 v7, v7
	v_cvt_f32_f16_e32 v8, v8
	s_delay_alu instid0(VALU_DEP_4) | instskip(NEXT) | instid1(VALU_DEP_4)
	v_cvt_f32_f16_e32 v11, v9
	v_cvt_f32_f16_e32 v10, v10
	s_delay_alu instid0(VALU_DEP_4) | instskip(NEXT) | instid1(VALU_DEP_4)
	v_cvt_i32_f32_e32 v7, v7
	v_cvt_i32_f32_e32 v9, v8
	s_delay_alu instid0(VALU_DEP_4) | instskip(NEXT) | instid1(VALU_DEP_4)
	v_cvt_i32_f32_e32 v8, v11
	v_cvt_i32_f32_e32 v10, v10
	global_store_b128 v[5:6], v[7:10], off offset:-8
	v_add_co_u32 v5, vcc_lo, v5, s16
	v_add_co_ci_u32_e32 v6, vcc_lo, 0, v6, vcc_lo
	s_and_not1_b32 exec_lo, exec_lo, s11
	s_cbranch_execnz .LBB197_3
.LBB197_4:
	s_set_inst_prefetch_distance 0x2
	s_or_b32 exec_lo, exec_lo, s14
	s_mov_b32 s14, 0
.LBB197_5:
	s_delay_alu instid0(SALU_CYCLE_1)
	s_and_not1_b32 vcc_lo, exec_lo, s14
	s_cbranch_vccnz .LBB197_25
; %bb.6:
	v_cmp_lt_i64_e64 s2, s[4:5], 1
	s_delay_alu instid0(VALU_DEP_1)
	s_and_b32 vcc_lo, exec_lo, s2
	s_cbranch_vccnz .LBB197_25
; %bb.7:
	s_load_b32 s0, s[0:1], 0xc5c
	v_cmp_gt_u64_e64 s1, 0x10000, s[4:5]
	v_dual_mov_b32 v2, 0 :: v_dual_lshlrev_b32 v1, 1, v0
	v_lshlrev_b32_e32 v5, 2, v0
                                        ; implicit-def: $vgpr25
                                        ; implicit-def: $vgpr26
                                        ; implicit-def: $vgpr27
                                        ; implicit-def: $vgpr28
	s_waitcnt lgkmcnt(0)
	s_and_b32 s0, s0, 0xffff
	s_delay_alu instid0(VALU_DEP_3)
	s_and_b32 s1, s1, exec_lo
	v_mad_u64_u32 v[3:4], null, s0, 6, v[1:2]
	v_add_co_u32 v2, s15, v0, s0
	s_cselect_b32 s3, s5, 0
	s_cselect_b32 s2, s4, 0x10000
	s_mul_i32 s14, s0, 3
	s_lshl_b64 s[8:9], s[8:9], 18
	s_lshl_b32 s11, s0, 1
	s_lshl_b32 s1, s0, 2
	;; [unrolled: 1-line block ×3, first 2 shown]
	s_add_u32 s6, s6, s8
	v_add_co_u32 v17, s8, s14, v0
	v_lshlrev_b32_e32 v7, 2, v2
	v_add_co_ci_u32_e64 v18, null, 0, 0, s8
	s_addc_u32 s7, s7, s9
	v_add_co_u32 v5, s8, s6, v5
	s_delay_alu instid0(VALU_DEP_1) | instskip(SKIP_1) | instid1(VALU_DEP_1)
	v_add_co_ci_u32_e64 v6, null, s7, 0, s8
	v_add_co_u32 v19, s8, s1, v1
	v_add_co_ci_u32_e64 v20, null, 0, 0, s8
	v_add_co_u32 v22, s8, s11, v0
	v_add_co_u32 v7, s6, s6, v7
	v_add_co_ci_u32_e64 v21, null, 0, 0, s15
	v_add_co_ci_u32_e64 v23, null, 0, 0, s8
	v_lshlrev_b32_e32 v24, 1, v2
	v_add_co_ci_u32_e64 v8, null, s7, 0, s6
	s_lshl_b32 s8, s0, 4
	s_mul_i32 s9, s0, 12
	s_mov_b64 s[6:7], 0
	s_branch .LBB197_9
.LBB197_8:                              ;   in Loop: Header=BB197_9 Depth=1
	s_or_b32 exec_lo, exec_lo, s0
	s_add_u32 s6, s6, s1
	s_addc_u32 s7, s7, 0
	v_add_co_u32 v5, vcc_lo, v5, s8
	v_cmp_ge_i64_e64 s0, s[6:7], s[4:5]
	v_cmp_lt_u64_e64 s11, 0xffff, s[6:7]
	v_add_co_ci_u32_e32 v6, vcc_lo, 0, v6, vcc_lo
	v_add_co_u32 v7, vcc_lo, v7, s8
	v_add_co_ci_u32_e32 v8, vcc_lo, 0, v8, vcc_lo
	s_delay_alu instid0(VALU_DEP_4)
	s_or_b32 s0, s0, s11
	s_add_u32 s12, s12, s10
	s_addc_u32 s13, s13, 0
	s_and_b32 vcc_lo, exec_lo, s0
	s_cbranch_vccnz .LBB197_25
.LBB197_9:                              ; =>This Inner Loop Header: Depth=1
	v_add_co_u32 v9, s0, v0, s6
	s_delay_alu instid0(VALU_DEP_1) | instskip(NEXT) | instid1(VALU_DEP_1)
	v_add_co_ci_u32_e64 v10, null, 0, s7, s0
	v_cmp_gt_i64_e32 vcc_lo, s[4:5], v[9:10]
	v_cmp_gt_u64_e64 s0, 0x10000, v[9:10]
	s_delay_alu instid0(VALU_DEP_1) | instskip(NEXT) | instid1(SALU_CYCLE_1)
	s_and_b32 s11, vcc_lo, s0
	s_and_saveexec_b32 s0, s11
	s_cbranch_execz .LBB197_11
; %bb.10:                               ;   in Loop: Header=BB197_9 Depth=1
	v_add_co_u32 v11, s11, s12, v1
	s_delay_alu instid0(VALU_DEP_1)
	v_add_co_ci_u32_e64 v12, null, s13, 0, s11
	global_load_u16 v28, v[11:12], off
.LBB197_11:                             ;   in Loop: Header=BB197_9 Depth=1
	s_or_b32 exec_lo, exec_lo, s0
	v_add_co_u32 v11, vcc_lo, v2, s6
	v_add_co_ci_u32_e32 v12, vcc_lo, s7, v21, vcc_lo
	s_delay_alu instid0(VALU_DEP_1) | instskip(SKIP_1) | instid1(VALU_DEP_1)
	v_cmp_gt_i64_e32 vcc_lo, s[4:5], v[11:12]
	v_cmp_gt_u64_e64 s0, 0x10000, v[11:12]
	s_and_b32 s11, vcc_lo, s0
	s_delay_alu instid0(SALU_CYCLE_1)
	s_and_saveexec_b32 s0, s11
	s_cbranch_execz .LBB197_13
; %bb.12:                               ;   in Loop: Header=BB197_9 Depth=1
	v_add_co_u32 v13, s11, s12, v24
	s_delay_alu instid0(VALU_DEP_1)
	v_add_co_ci_u32_e64 v14, null, s13, 0, s11
	global_load_u16 v27, v[13:14], off
.LBB197_13:                             ;   in Loop: Header=BB197_9 Depth=1
	s_or_b32 exec_lo, exec_lo, s0
	v_add_co_u32 v13, vcc_lo, v22, s6
	v_add_co_ci_u32_e32 v14, vcc_lo, s7, v23, vcc_lo
	s_delay_alu instid0(VALU_DEP_1) | instskip(SKIP_1) | instid1(VALU_DEP_1)
	v_cmp_gt_i64_e32 vcc_lo, s[4:5], v[13:14]
	v_cmp_gt_u64_e64 s0, 0x10000, v[13:14]
	s_and_b32 s11, vcc_lo, s0
	s_delay_alu instid0(SALU_CYCLE_1)
	s_and_saveexec_b32 s0, s11
	s_cbranch_execz .LBB197_15
; %bb.14:                               ;   in Loop: Header=BB197_9 Depth=1
	v_add_co_u32 v15, vcc_lo, s12, v19
	v_add_co_ci_u32_e32 v16, vcc_lo, s13, v20, vcc_lo
	global_load_u16 v26, v[15:16], off
.LBB197_15:                             ;   in Loop: Header=BB197_9 Depth=1
	s_or_b32 exec_lo, exec_lo, s0
	v_add_co_u32 v15, vcc_lo, v17, s6
	v_add_co_ci_u32_e32 v16, vcc_lo, s7, v18, vcc_lo
	s_delay_alu instid0(VALU_DEP_1) | instskip(SKIP_1) | instid1(VALU_DEP_1)
	v_cmp_gt_i64_e32 vcc_lo, s[4:5], v[15:16]
	v_cmp_gt_u64_e64 s0, 0x10000, v[15:16]
	s_and_b32 s11, vcc_lo, s0
	s_delay_alu instid0(SALU_CYCLE_1)
	s_and_saveexec_b32 s0, s11
	s_cbranch_execnz .LBB197_20
; %bb.16:                               ;   in Loop: Header=BB197_9 Depth=1
	s_or_b32 exec_lo, exec_lo, s0
	s_delay_alu instid0(SALU_CYCLE_1)
	s_mov_b32 s0, exec_lo
	v_cmpx_gt_u64_e64 s[2:3], v[9:10]
	s_cbranch_execnz .LBB197_21
.LBB197_17:                             ;   in Loop: Header=BB197_9 Depth=1
	s_or_b32 exec_lo, exec_lo, s0
	s_delay_alu instid0(SALU_CYCLE_1)
	s_mov_b32 s0, exec_lo
	v_cmpx_gt_u64_e64 s[2:3], v[11:12]
	s_cbranch_execnz .LBB197_22
.LBB197_18:                             ;   in Loop: Header=BB197_9 Depth=1
	s_or_b32 exec_lo, exec_lo, s0
	s_delay_alu instid0(SALU_CYCLE_1)
	s_mov_b32 s0, exec_lo
	v_cmpx_gt_u64_e64 s[2:3], v[13:14]
	s_cbranch_execnz .LBB197_23
.LBB197_19:                             ;   in Loop: Header=BB197_9 Depth=1
	s_or_b32 exec_lo, exec_lo, s0
	s_delay_alu instid0(SALU_CYCLE_1)
	s_mov_b32 s0, exec_lo
	v_cmpx_gt_u64_e64 s[2:3], v[15:16]
	s_cbranch_execz .LBB197_8
	s_branch .LBB197_24
.LBB197_20:                             ;   in Loop: Header=BB197_9 Depth=1
	v_add_co_u32 v29, vcc_lo, s12, v3
	v_add_co_ci_u32_e32 v30, vcc_lo, s13, v4, vcc_lo
	global_load_u16 v25, v[29:30], off
	s_or_b32 exec_lo, exec_lo, s0
	s_delay_alu instid0(SALU_CYCLE_1)
	s_mov_b32 s0, exec_lo
	v_cmpx_gt_u64_e64 s[2:3], v[9:10]
	s_cbranch_execz .LBB197_17
.LBB197_21:                             ;   in Loop: Header=BB197_9 Depth=1
	s_waitcnt vmcnt(0)
	v_cvt_f32_f16_e32 v9, v28
	s_delay_alu instid0(VALU_DEP_1) | instskip(SKIP_2) | instid1(SALU_CYCLE_1)
	v_cvt_i32_f32_e32 v9, v9
	global_store_b32 v[5:6], v9, off
	s_or_b32 exec_lo, exec_lo, s0
	s_mov_b32 s0, exec_lo
	v_cmpx_gt_u64_e64 s[2:3], v[11:12]
	s_cbranch_execz .LBB197_18
.LBB197_22:                             ;   in Loop: Header=BB197_9 Depth=1
	s_waitcnt vmcnt(0)
	v_cvt_f32_f16_e32 v9, v27
	s_delay_alu instid0(VALU_DEP_1) | instskip(SKIP_2) | instid1(SALU_CYCLE_1)
	v_cvt_i32_f32_e32 v9, v9
	global_store_b32 v[7:8], v9, off
	s_or_b32 exec_lo, exec_lo, s0
	s_mov_b32 s0, exec_lo
	v_cmpx_gt_u64_e64 s[2:3], v[13:14]
	s_cbranch_execz .LBB197_19
.LBB197_23:                             ;   in Loop: Header=BB197_9 Depth=1
	s_waitcnt vmcnt(0)
	v_cvt_f32_f16_e32 v9, v26
	s_delay_alu instid0(VALU_DEP_1) | instskip(SKIP_4) | instid1(SALU_CYCLE_1)
	v_cvt_i32_f32_e32 v11, v9
	v_add_co_u32 v9, vcc_lo, v5, s10
	v_add_co_ci_u32_e32 v10, vcc_lo, 0, v6, vcc_lo
	global_store_b32 v[9:10], v11, off
	s_or_b32 exec_lo, exec_lo, s0
	s_mov_b32 s0, exec_lo
	v_cmpx_gt_u64_e64 s[2:3], v[15:16]
	s_cbranch_execz .LBB197_8
.LBB197_24:                             ;   in Loop: Header=BB197_9 Depth=1
	s_waitcnt vmcnt(0)
	v_cvt_f32_f16_e32 v9, v25
	s_delay_alu instid0(VALU_DEP_1)
	v_cvt_i32_f32_e32 v11, v9
	v_add_co_u32 v9, vcc_lo, v5, s9
	v_add_co_ci_u32_e32 v10, vcc_lo, 0, v6, vcc_lo
	global_store_b32 v[9:10], v11, off
	s_branch .LBB197_8
.LBB197_25:
	s_nop 0
	s_sendmsg sendmsg(MSG_DEALLOC_VGPRS)
	s_endpgm
	.section	.rodata,"a",@progbits
	.p2align	6, 0x0
	.amdhsa_kernel _ZN2at6native12_GLOBAL__N_125multi_tensor_apply_kernelINS1_18TensorListMetadataILi2EEENS1_11CopyFunctorIiN3c104HalfELi2ELi1ELi1EEEJNS0_4CopyIiS7_EEEEEvT_T0_DpT1_
		.amdhsa_group_segment_fixed_size 0
		.amdhsa_private_segment_fixed_size 0
		.amdhsa_kernarg_size 3408
		.amdhsa_user_sgpr_count 15
		.amdhsa_user_sgpr_dispatch_ptr 0
		.amdhsa_user_sgpr_queue_ptr 0
		.amdhsa_user_sgpr_kernarg_segment_ptr 1
		.amdhsa_user_sgpr_dispatch_id 0
		.amdhsa_user_sgpr_private_segment_size 0
		.amdhsa_wavefront_size32 1
		.amdhsa_uses_dynamic_stack 0
		.amdhsa_enable_private_segment 0
		.amdhsa_system_sgpr_workgroup_id_x 1
		.amdhsa_system_sgpr_workgroup_id_y 0
		.amdhsa_system_sgpr_workgroup_id_z 0
		.amdhsa_system_sgpr_workgroup_info 0
		.amdhsa_system_vgpr_workitem_id 0
		.amdhsa_next_free_vgpr 31
		.amdhsa_next_free_sgpr 20
		.amdhsa_reserve_vcc 1
		.amdhsa_float_round_mode_32 0
		.amdhsa_float_round_mode_16_64 0
		.amdhsa_float_denorm_mode_32 3
		.amdhsa_float_denorm_mode_16_64 3
		.amdhsa_dx10_clamp 1
		.amdhsa_ieee_mode 1
		.amdhsa_fp16_overflow 0
		.amdhsa_workgroup_processor_mode 1
		.amdhsa_memory_ordered 1
		.amdhsa_forward_progress 0
		.amdhsa_shared_vgpr_count 0
		.amdhsa_exception_fp_ieee_invalid_op 0
		.amdhsa_exception_fp_denorm_src 0
		.amdhsa_exception_fp_ieee_div_zero 0
		.amdhsa_exception_fp_ieee_overflow 0
		.amdhsa_exception_fp_ieee_underflow 0
		.amdhsa_exception_fp_ieee_inexact 0
		.amdhsa_exception_int_div_zero 0
	.end_amdhsa_kernel
	.section	.text._ZN2at6native12_GLOBAL__N_125multi_tensor_apply_kernelINS1_18TensorListMetadataILi2EEENS1_11CopyFunctorIiN3c104HalfELi2ELi1ELi1EEEJNS0_4CopyIiS7_EEEEEvT_T0_DpT1_,"axG",@progbits,_ZN2at6native12_GLOBAL__N_125multi_tensor_apply_kernelINS1_18TensorListMetadataILi2EEENS1_11CopyFunctorIiN3c104HalfELi2ELi1ELi1EEEJNS0_4CopyIiS7_EEEEEvT_T0_DpT1_,comdat
.Lfunc_end197:
	.size	_ZN2at6native12_GLOBAL__N_125multi_tensor_apply_kernelINS1_18TensorListMetadataILi2EEENS1_11CopyFunctorIiN3c104HalfELi2ELi1ELi1EEEJNS0_4CopyIiS7_EEEEEvT_T0_DpT1_, .Lfunc_end197-_ZN2at6native12_GLOBAL__N_125multi_tensor_apply_kernelINS1_18TensorListMetadataILi2EEENS1_11CopyFunctorIiN3c104HalfELi2ELi1ELi1EEEJNS0_4CopyIiS7_EEEEEvT_T0_DpT1_
                                        ; -- End function
	.section	.AMDGPU.csdata,"",@progbits
; Kernel info:
; codeLenInByte = 1456
; NumSgprs: 22
; NumVgprs: 31
; ScratchSize: 0
; MemoryBound: 0
; FloatMode: 240
; IeeeMode: 1
; LDSByteSize: 0 bytes/workgroup (compile time only)
; SGPRBlocks: 2
; VGPRBlocks: 3
; NumSGPRsForWavesPerEU: 22
; NumVGPRsForWavesPerEU: 31
; Occupancy: 16
; WaveLimiterHint : 0
; COMPUTE_PGM_RSRC2:SCRATCH_EN: 0
; COMPUTE_PGM_RSRC2:USER_SGPR: 15
; COMPUTE_PGM_RSRC2:TRAP_HANDLER: 0
; COMPUTE_PGM_RSRC2:TGID_X_EN: 1
; COMPUTE_PGM_RSRC2:TGID_Y_EN: 0
; COMPUTE_PGM_RSRC2:TGID_Z_EN: 0
; COMPUTE_PGM_RSRC2:TIDIG_COMP_CNT: 0
	.section	.text._ZN2at6native12_GLOBAL__N_125multi_tensor_apply_kernelINS1_18TensorListMetadataILi2EEENS1_11CopyFunctorIiN3c108BFloat16ELi2ELi1ELi1EEEJNS0_4CopyIiS7_EEEEEvT_T0_DpT1_,"axG",@progbits,_ZN2at6native12_GLOBAL__N_125multi_tensor_apply_kernelINS1_18TensorListMetadataILi2EEENS1_11CopyFunctorIiN3c108BFloat16ELi2ELi1ELi1EEEJNS0_4CopyIiS7_EEEEEvT_T0_DpT1_,comdat
	.globl	_ZN2at6native12_GLOBAL__N_125multi_tensor_apply_kernelINS1_18TensorListMetadataILi2EEENS1_11CopyFunctorIiN3c108BFloat16ELi2ELi1ELi1EEEJNS0_4CopyIiS7_EEEEEvT_T0_DpT1_ ; -- Begin function _ZN2at6native12_GLOBAL__N_125multi_tensor_apply_kernelINS1_18TensorListMetadataILi2EEENS1_11CopyFunctorIiN3c108BFloat16ELi2ELi1ELi1EEEJNS0_4CopyIiS7_EEEEEvT_T0_DpT1_
	.p2align	8
	.type	_ZN2at6native12_GLOBAL__N_125multi_tensor_apply_kernelINS1_18TensorListMetadataILi2EEENS1_11CopyFunctorIiN3c108BFloat16ELi2ELi1ELi1EEEJNS0_4CopyIiS7_EEEEEvT_T0_DpT1_,@function
_ZN2at6native12_GLOBAL__N_125multi_tensor_apply_kernelINS1_18TensorListMetadataILi2EEENS1_11CopyFunctorIiN3c108BFloat16ELi2ELi1ELi1EEEJNS0_4CopyIiS7_EEEEEvT_T0_DpT1_: ; @_ZN2at6native12_GLOBAL__N_125multi_tensor_apply_kernelINS1_18TensorListMetadataILi2EEENS1_11CopyFunctorIiN3c108BFloat16ELi2ELi1ELi1EEEJNS0_4CopyIiS7_EEEEEvT_T0_DpT1_
; %bb.0:
	v_mov_b32_e32 v1, s15
	s_add_u32 s2, s0, s15
	s_mul_hi_u32 s3, s15, 3
	s_mul_i32 s15, s15, 3
	s_addc_u32 s4, s1, 0
	global_load_u8 v1, v1, s[0:1] offset:1536
	s_add_u32 s2, s2, s15
	s_addc_u32 s3, s4, s3
	s_mov_b32 s15, 0
	s_load_b32 s8, s[2:3], 0x740
	s_waitcnt lgkmcnt(0)
	s_ashr_i32 s9, s8, 31
	s_delay_alu instid0(SALU_CYCLE_1) | instskip(SKIP_3) | instid1(VALU_DEP_1)
	s_lshl_b64 s[10:11], s[8:9], 17
	s_lshl_b64 s[16:17], s[8:9], 16
	s_waitcnt vmcnt(0)
	v_readfirstlane_b32 s5, v1
	s_lshl_b32 s4, s5, 3
	s_clause 0x2
	s_load_b64 s[2:3], s[0:1], s4 offset:0x0
	s_load_b64 s[6:7], s[0:1], s4 offset:0x200
	;; [unrolled: 1-line block ×3, first 2 shown]
	s_waitcnt lgkmcnt(0)
	s_add_u32 s12, s2, s10
	s_addc_u32 s13, s3, s11
	s_and_b32 s18, s6, 15
	s_and_b32 s19, s4, 3
	;; [unrolled: 1-line block ×3, first 2 shown]
	s_or_b32 s18, s19, s18
	s_mov_b32 s19, s15
	s_delay_alu instid0(SALU_CYCLE_1)
	s_or_b64 s[14:15], s[14:15], s[18:19]
	s_sub_u32 s4, s4, s16
	s_subb_u32 s5, s5, s17
	s_cmp_eq_u64 s[14:15], 0
	s_mov_b32 s14, -1
	s_cbranch_scc0 .LBB198_5
; %bb.1:
	v_dual_mov_b32 v2, 0 :: v_dual_lshlrev_b32 v1, 2, v0
	s_mov_b32 s14, exec_lo
	s_delay_alu instid0(VALU_DEP_1)
	v_cmpx_gt_i64_e64 s[4:5], v[1:2]
	s_cbranch_execz .LBB198_4
; %bb.2:
	s_load_b32 s15, s[0:1], 0xc5c
	v_lshlrev_b32_e32 v4, 4, v0
	v_lshlrev_b32_e32 v3, 3, v0
	s_waitcnt lgkmcnt(0)
	s_and_b32 s16, s15, 0xffff
	s_add_u32 s15, s2, s10
	s_addc_u32 s17, s3, s11
	s_lshl_b64 s[2:3], s[8:9], 18
	s_lshl_b32 s10, s16, 3
	s_lshl_b32 s11, s16, 2
	s_add_u32 s2, s6, s2
	s_addc_u32 s3, s7, s3
	v_add_co_u32 v5, s2, s2, v4
	s_delay_alu instid0(VALU_DEP_1) | instskip(SKIP_1) | instid1(VALU_DEP_3)
	v_add_co_ci_u32_e64 v6, null, s3, 0, s2
	v_add_co_u32 v3, s2, s15, v3
	v_add_co_u32 v5, vcc_lo, v5, 8
	v_add_lshl_u32 v1, v0, s16, 2
	v_add_co_ci_u32_e64 v4, null, s17, 0, s2
	v_add_co_ci_u32_e32 v6, vcc_lo, 0, v6, vcc_lo
	s_mov_b32 s15, 0
	s_lshl_b32 s16, s16, 4
	s_set_inst_prefetch_distance 0x1
	.p2align	6
.LBB198_3:                              ; =>This Inner Loop Header: Depth=1
	global_load_b64 v[7:8], v[3:4], off
	v_cmp_le_i64_e32 vcc_lo, s[4:5], v[1:2]
	v_cmp_lt_u64_e64 s2, 0xffff, v[1:2]
	v_add_co_u32 v3, s3, v3, s10
	s_delay_alu instid0(VALU_DEP_1) | instskip(SKIP_1) | instid1(VALU_DEP_4)
	v_add_co_ci_u32_e64 v4, s3, 0, v4, s3
	v_add_co_u32 v1, s3, v1, s11
	s_or_b32 s2, vcc_lo, s2
	v_add_co_ci_u32_e64 v2, s3, 0, v2, s3
	s_and_b32 s2, exec_lo, s2
	s_delay_alu instid0(SALU_CYCLE_1)
	s_or_b32 s15, s2, s15
	s_waitcnt vmcnt(0)
	v_alignbit_b32 v9, v8, v7, 16
	v_lshlrev_b32_e32 v10, 16, v7
	v_and_b32_e32 v11, 0xffff0000, v7
	v_and_b32_e32 v12, 0xffff0000, v8
	s_delay_alu instid0(VALU_DEP_4) | instskip(NEXT) | instid1(VALU_DEP_4)
	v_and_b32_e32 v9, 0xffff0000, v9
	v_cvt_i32_f32_e32 v7, v10
	s_delay_alu instid0(VALU_DEP_4) | instskip(NEXT) | instid1(VALU_DEP_4)
	v_cvt_i32_f32_e32 v8, v11
	v_cvt_i32_f32_e32 v10, v12
	s_delay_alu instid0(VALU_DEP_4)
	v_cvt_i32_f32_e32 v9, v9
	global_store_b128 v[5:6], v[7:10], off offset:-8
	v_add_co_u32 v5, vcc_lo, v5, s16
	v_add_co_ci_u32_e32 v6, vcc_lo, 0, v6, vcc_lo
	s_and_not1_b32 exec_lo, exec_lo, s15
	s_cbranch_execnz .LBB198_3
.LBB198_4:
	s_set_inst_prefetch_distance 0x2
	s_or_b32 exec_lo, exec_lo, s14
	s_mov_b32 s14, 0
.LBB198_5:
	s_delay_alu instid0(SALU_CYCLE_1)
	s_and_not1_b32 vcc_lo, exec_lo, s14
	s_cbranch_vccnz .LBB198_25
; %bb.6:
	v_cmp_lt_i64_e64 s2, s[4:5], 1
	s_delay_alu instid0(VALU_DEP_1)
	s_and_b32 vcc_lo, exec_lo, s2
	s_cbranch_vccnz .LBB198_25
; %bb.7:
	s_load_b32 s0, s[0:1], 0xc5c
	v_cmp_gt_u64_e64 s1, 0x10000, s[4:5]
	v_dual_mov_b32 v2, 0 :: v_dual_lshlrev_b32 v1, 1, v0
	v_lshlrev_b32_e32 v5, 2, v0
                                        ; implicit-def: $vgpr25
                                        ; implicit-def: $vgpr26
                                        ; implicit-def: $vgpr27
                                        ; implicit-def: $vgpr28
	s_waitcnt lgkmcnt(0)
	s_and_b32 s0, s0, 0xffff
	s_delay_alu instid0(VALU_DEP_3)
	s_and_b32 s1, s1, exec_lo
	v_mad_u64_u32 v[3:4], null, s0, 6, v[1:2]
	v_add_co_u32 v2, s15, v0, s0
	s_cselect_b32 s3, s5, 0
	s_cselect_b32 s2, s4, 0x10000
	s_mul_i32 s14, s0, 3
	s_lshl_b64 s[8:9], s[8:9], 18
	s_lshl_b32 s11, s0, 1
	s_lshl_b32 s1, s0, 2
	;; [unrolled: 1-line block ×3, first 2 shown]
	s_add_u32 s6, s6, s8
	v_add_co_u32 v17, s8, s14, v0
	v_lshlrev_b32_e32 v7, 2, v2
	v_add_co_ci_u32_e64 v18, null, 0, 0, s8
	s_addc_u32 s7, s7, s9
	v_add_co_u32 v5, s8, s6, v5
	s_delay_alu instid0(VALU_DEP_1) | instskip(SKIP_1) | instid1(VALU_DEP_1)
	v_add_co_ci_u32_e64 v6, null, s7, 0, s8
	v_add_co_u32 v19, s8, s1, v1
	v_add_co_ci_u32_e64 v20, null, 0, 0, s8
	v_add_co_u32 v22, s8, s11, v0
	v_add_co_u32 v7, s6, s6, v7
	v_add_co_ci_u32_e64 v21, null, 0, 0, s15
	v_add_co_ci_u32_e64 v23, null, 0, 0, s8
	v_lshlrev_b32_e32 v24, 1, v2
	v_add_co_ci_u32_e64 v8, null, s7, 0, s6
	s_lshl_b32 s8, s0, 4
	s_mul_i32 s9, s0, 12
	s_mov_b64 s[6:7], 0
	s_branch .LBB198_9
.LBB198_8:                              ;   in Loop: Header=BB198_9 Depth=1
	s_or_b32 exec_lo, exec_lo, s0
	s_add_u32 s6, s6, s1
	s_addc_u32 s7, s7, 0
	v_add_co_u32 v5, vcc_lo, v5, s8
	v_cmp_ge_i64_e64 s0, s[6:7], s[4:5]
	v_cmp_lt_u64_e64 s11, 0xffff, s[6:7]
	v_add_co_ci_u32_e32 v6, vcc_lo, 0, v6, vcc_lo
	v_add_co_u32 v7, vcc_lo, v7, s8
	v_add_co_ci_u32_e32 v8, vcc_lo, 0, v8, vcc_lo
	s_delay_alu instid0(VALU_DEP_4)
	s_or_b32 s0, s0, s11
	s_add_u32 s12, s12, s10
	s_addc_u32 s13, s13, 0
	s_and_b32 vcc_lo, exec_lo, s0
	s_cbranch_vccnz .LBB198_25
.LBB198_9:                              ; =>This Inner Loop Header: Depth=1
	v_add_co_u32 v9, s0, v0, s6
	s_delay_alu instid0(VALU_DEP_1) | instskip(NEXT) | instid1(VALU_DEP_1)
	v_add_co_ci_u32_e64 v10, null, 0, s7, s0
	v_cmp_gt_i64_e32 vcc_lo, s[4:5], v[9:10]
	v_cmp_gt_u64_e64 s0, 0x10000, v[9:10]
	s_delay_alu instid0(VALU_DEP_1) | instskip(NEXT) | instid1(SALU_CYCLE_1)
	s_and_b32 s11, vcc_lo, s0
	s_and_saveexec_b32 s0, s11
	s_cbranch_execz .LBB198_11
; %bb.10:                               ;   in Loop: Header=BB198_9 Depth=1
	v_add_co_u32 v11, s11, s12, v1
	s_delay_alu instid0(VALU_DEP_1)
	v_add_co_ci_u32_e64 v12, null, s13, 0, s11
	global_load_u16 v28, v[11:12], off
.LBB198_11:                             ;   in Loop: Header=BB198_9 Depth=1
	s_or_b32 exec_lo, exec_lo, s0
	v_add_co_u32 v11, vcc_lo, v2, s6
	v_add_co_ci_u32_e32 v12, vcc_lo, s7, v21, vcc_lo
	s_delay_alu instid0(VALU_DEP_1) | instskip(SKIP_1) | instid1(VALU_DEP_1)
	v_cmp_gt_i64_e32 vcc_lo, s[4:5], v[11:12]
	v_cmp_gt_u64_e64 s0, 0x10000, v[11:12]
	s_and_b32 s11, vcc_lo, s0
	s_delay_alu instid0(SALU_CYCLE_1)
	s_and_saveexec_b32 s0, s11
	s_cbranch_execz .LBB198_13
; %bb.12:                               ;   in Loop: Header=BB198_9 Depth=1
	v_add_co_u32 v13, s11, s12, v24
	s_delay_alu instid0(VALU_DEP_1)
	v_add_co_ci_u32_e64 v14, null, s13, 0, s11
	global_load_u16 v27, v[13:14], off
.LBB198_13:                             ;   in Loop: Header=BB198_9 Depth=1
	s_or_b32 exec_lo, exec_lo, s0
	v_add_co_u32 v13, vcc_lo, v22, s6
	v_add_co_ci_u32_e32 v14, vcc_lo, s7, v23, vcc_lo
	s_delay_alu instid0(VALU_DEP_1) | instskip(SKIP_1) | instid1(VALU_DEP_1)
	v_cmp_gt_i64_e32 vcc_lo, s[4:5], v[13:14]
	v_cmp_gt_u64_e64 s0, 0x10000, v[13:14]
	s_and_b32 s11, vcc_lo, s0
	s_delay_alu instid0(SALU_CYCLE_1)
	s_and_saveexec_b32 s0, s11
	s_cbranch_execz .LBB198_15
; %bb.14:                               ;   in Loop: Header=BB198_9 Depth=1
	v_add_co_u32 v15, vcc_lo, s12, v19
	v_add_co_ci_u32_e32 v16, vcc_lo, s13, v20, vcc_lo
	global_load_u16 v26, v[15:16], off
.LBB198_15:                             ;   in Loop: Header=BB198_9 Depth=1
	s_or_b32 exec_lo, exec_lo, s0
	v_add_co_u32 v15, vcc_lo, v17, s6
	v_add_co_ci_u32_e32 v16, vcc_lo, s7, v18, vcc_lo
	s_delay_alu instid0(VALU_DEP_1) | instskip(SKIP_1) | instid1(VALU_DEP_1)
	v_cmp_gt_i64_e32 vcc_lo, s[4:5], v[15:16]
	v_cmp_gt_u64_e64 s0, 0x10000, v[15:16]
	s_and_b32 s11, vcc_lo, s0
	s_delay_alu instid0(SALU_CYCLE_1)
	s_and_saveexec_b32 s0, s11
	s_cbranch_execnz .LBB198_20
; %bb.16:                               ;   in Loop: Header=BB198_9 Depth=1
	s_or_b32 exec_lo, exec_lo, s0
	s_delay_alu instid0(SALU_CYCLE_1)
	s_mov_b32 s0, exec_lo
	v_cmpx_gt_u64_e64 s[2:3], v[9:10]
	s_cbranch_execnz .LBB198_21
.LBB198_17:                             ;   in Loop: Header=BB198_9 Depth=1
	s_or_b32 exec_lo, exec_lo, s0
	s_delay_alu instid0(SALU_CYCLE_1)
	s_mov_b32 s0, exec_lo
	v_cmpx_gt_u64_e64 s[2:3], v[11:12]
	s_cbranch_execnz .LBB198_22
.LBB198_18:                             ;   in Loop: Header=BB198_9 Depth=1
	s_or_b32 exec_lo, exec_lo, s0
	s_delay_alu instid0(SALU_CYCLE_1)
	s_mov_b32 s0, exec_lo
	v_cmpx_gt_u64_e64 s[2:3], v[13:14]
	s_cbranch_execnz .LBB198_23
.LBB198_19:                             ;   in Loop: Header=BB198_9 Depth=1
	s_or_b32 exec_lo, exec_lo, s0
	s_delay_alu instid0(SALU_CYCLE_1)
	s_mov_b32 s0, exec_lo
	v_cmpx_gt_u64_e64 s[2:3], v[15:16]
	s_cbranch_execz .LBB198_8
	s_branch .LBB198_24
.LBB198_20:                             ;   in Loop: Header=BB198_9 Depth=1
	v_add_co_u32 v29, vcc_lo, s12, v3
	v_add_co_ci_u32_e32 v30, vcc_lo, s13, v4, vcc_lo
	global_load_u16 v25, v[29:30], off
	s_or_b32 exec_lo, exec_lo, s0
	s_delay_alu instid0(SALU_CYCLE_1)
	s_mov_b32 s0, exec_lo
	v_cmpx_gt_u64_e64 s[2:3], v[9:10]
	s_cbranch_execz .LBB198_17
.LBB198_21:                             ;   in Loop: Header=BB198_9 Depth=1
	s_waitcnt vmcnt(0)
	v_lshlrev_b32_e32 v9, 16, v28
	s_delay_alu instid0(VALU_DEP_1) | instskip(SKIP_2) | instid1(SALU_CYCLE_1)
	v_cvt_i32_f32_e32 v9, v9
	global_store_b32 v[5:6], v9, off
	s_or_b32 exec_lo, exec_lo, s0
	s_mov_b32 s0, exec_lo
	v_cmpx_gt_u64_e64 s[2:3], v[11:12]
	s_cbranch_execz .LBB198_18
.LBB198_22:                             ;   in Loop: Header=BB198_9 Depth=1
	s_waitcnt vmcnt(0)
	v_lshlrev_b32_e32 v9, 16, v27
	s_delay_alu instid0(VALU_DEP_1) | instskip(SKIP_2) | instid1(SALU_CYCLE_1)
	v_cvt_i32_f32_e32 v9, v9
	global_store_b32 v[7:8], v9, off
	s_or_b32 exec_lo, exec_lo, s0
	s_mov_b32 s0, exec_lo
	v_cmpx_gt_u64_e64 s[2:3], v[13:14]
	s_cbranch_execz .LBB198_19
.LBB198_23:                             ;   in Loop: Header=BB198_9 Depth=1
	s_waitcnt vmcnt(0)
	v_lshlrev_b32_e32 v9, 16, v26
	s_delay_alu instid0(VALU_DEP_1) | instskip(SKIP_4) | instid1(SALU_CYCLE_1)
	v_cvt_i32_f32_e32 v11, v9
	v_add_co_u32 v9, vcc_lo, v5, s10
	v_add_co_ci_u32_e32 v10, vcc_lo, 0, v6, vcc_lo
	global_store_b32 v[9:10], v11, off
	s_or_b32 exec_lo, exec_lo, s0
	s_mov_b32 s0, exec_lo
	v_cmpx_gt_u64_e64 s[2:3], v[15:16]
	s_cbranch_execz .LBB198_8
.LBB198_24:                             ;   in Loop: Header=BB198_9 Depth=1
	s_waitcnt vmcnt(0)
	v_lshlrev_b32_e32 v9, 16, v25
	s_delay_alu instid0(VALU_DEP_1)
	v_cvt_i32_f32_e32 v11, v9
	v_add_co_u32 v9, vcc_lo, v5, s9
	v_add_co_ci_u32_e32 v10, vcc_lo, 0, v6, vcc_lo
	global_store_b32 v[9:10], v11, off
	s_branch .LBB198_8
.LBB198_25:
	s_nop 0
	s_sendmsg sendmsg(MSG_DEALLOC_VGPRS)
	s_endpgm
	.section	.rodata,"a",@progbits
	.p2align	6, 0x0
	.amdhsa_kernel _ZN2at6native12_GLOBAL__N_125multi_tensor_apply_kernelINS1_18TensorListMetadataILi2EEENS1_11CopyFunctorIiN3c108BFloat16ELi2ELi1ELi1EEEJNS0_4CopyIiS7_EEEEEvT_T0_DpT1_
		.amdhsa_group_segment_fixed_size 0
		.amdhsa_private_segment_fixed_size 0
		.amdhsa_kernarg_size 3408
		.amdhsa_user_sgpr_count 15
		.amdhsa_user_sgpr_dispatch_ptr 0
		.amdhsa_user_sgpr_queue_ptr 0
		.amdhsa_user_sgpr_kernarg_segment_ptr 1
		.amdhsa_user_sgpr_dispatch_id 0
		.amdhsa_user_sgpr_private_segment_size 0
		.amdhsa_wavefront_size32 1
		.amdhsa_uses_dynamic_stack 0
		.amdhsa_enable_private_segment 0
		.amdhsa_system_sgpr_workgroup_id_x 1
		.amdhsa_system_sgpr_workgroup_id_y 0
		.amdhsa_system_sgpr_workgroup_id_z 0
		.amdhsa_system_sgpr_workgroup_info 0
		.amdhsa_system_vgpr_workitem_id 0
		.amdhsa_next_free_vgpr 31
		.amdhsa_next_free_sgpr 20
		.amdhsa_reserve_vcc 1
		.amdhsa_float_round_mode_32 0
		.amdhsa_float_round_mode_16_64 0
		.amdhsa_float_denorm_mode_32 3
		.amdhsa_float_denorm_mode_16_64 3
		.amdhsa_dx10_clamp 1
		.amdhsa_ieee_mode 1
		.amdhsa_fp16_overflow 0
		.amdhsa_workgroup_processor_mode 1
		.amdhsa_memory_ordered 1
		.amdhsa_forward_progress 0
		.amdhsa_shared_vgpr_count 0
		.amdhsa_exception_fp_ieee_invalid_op 0
		.amdhsa_exception_fp_denorm_src 0
		.amdhsa_exception_fp_ieee_div_zero 0
		.amdhsa_exception_fp_ieee_overflow 0
		.amdhsa_exception_fp_ieee_underflow 0
		.amdhsa_exception_fp_ieee_inexact 0
		.amdhsa_exception_int_div_zero 0
	.end_amdhsa_kernel
	.section	.text._ZN2at6native12_GLOBAL__N_125multi_tensor_apply_kernelINS1_18TensorListMetadataILi2EEENS1_11CopyFunctorIiN3c108BFloat16ELi2ELi1ELi1EEEJNS0_4CopyIiS7_EEEEEvT_T0_DpT1_,"axG",@progbits,_ZN2at6native12_GLOBAL__N_125multi_tensor_apply_kernelINS1_18TensorListMetadataILi2EEENS1_11CopyFunctorIiN3c108BFloat16ELi2ELi1ELi1EEEJNS0_4CopyIiS7_EEEEEvT_T0_DpT1_,comdat
.Lfunc_end198:
	.size	_ZN2at6native12_GLOBAL__N_125multi_tensor_apply_kernelINS1_18TensorListMetadataILi2EEENS1_11CopyFunctorIiN3c108BFloat16ELi2ELi1ELi1EEEJNS0_4CopyIiS7_EEEEEvT_T0_DpT1_, .Lfunc_end198-_ZN2at6native12_GLOBAL__N_125multi_tensor_apply_kernelINS1_18TensorListMetadataILi2EEENS1_11CopyFunctorIiN3c108BFloat16ELi2ELi1ELi1EEEJNS0_4CopyIiS7_EEEEEvT_T0_DpT1_
                                        ; -- End function
	.section	.AMDGPU.csdata,"",@progbits
; Kernel info:
; codeLenInByte = 1464
; NumSgprs: 22
; NumVgprs: 31
; ScratchSize: 0
; MemoryBound: 0
; FloatMode: 240
; IeeeMode: 1
; LDSByteSize: 0 bytes/workgroup (compile time only)
; SGPRBlocks: 2
; VGPRBlocks: 3
; NumSGPRsForWavesPerEU: 22
; NumVGPRsForWavesPerEU: 31
; Occupancy: 16
; WaveLimiterHint : 0
; COMPUTE_PGM_RSRC2:SCRATCH_EN: 0
; COMPUTE_PGM_RSRC2:USER_SGPR: 15
; COMPUTE_PGM_RSRC2:TRAP_HANDLER: 0
; COMPUTE_PGM_RSRC2:TGID_X_EN: 1
; COMPUTE_PGM_RSRC2:TGID_Y_EN: 0
; COMPUTE_PGM_RSRC2:TGID_Z_EN: 0
; COMPUTE_PGM_RSRC2:TIDIG_COMP_CNT: 0
	.section	.text._ZN2at6native12_GLOBAL__N_125multi_tensor_apply_kernelINS1_18TensorListMetadataILi2EEENS1_11CopyFunctorIibLi2ELi1ELi1EEEJNS0_4CopyIibEEEEEvT_T0_DpT1_,"axG",@progbits,_ZN2at6native12_GLOBAL__N_125multi_tensor_apply_kernelINS1_18TensorListMetadataILi2EEENS1_11CopyFunctorIibLi2ELi1ELi1EEEJNS0_4CopyIibEEEEEvT_T0_DpT1_,comdat
	.globl	_ZN2at6native12_GLOBAL__N_125multi_tensor_apply_kernelINS1_18TensorListMetadataILi2EEENS1_11CopyFunctorIibLi2ELi1ELi1EEEJNS0_4CopyIibEEEEEvT_T0_DpT1_ ; -- Begin function _ZN2at6native12_GLOBAL__N_125multi_tensor_apply_kernelINS1_18TensorListMetadataILi2EEENS1_11CopyFunctorIibLi2ELi1ELi1EEEJNS0_4CopyIibEEEEEvT_T0_DpT1_
	.p2align	8
	.type	_ZN2at6native12_GLOBAL__N_125multi_tensor_apply_kernelINS1_18TensorListMetadataILi2EEENS1_11CopyFunctorIibLi2ELi1ELi1EEEJNS0_4CopyIibEEEEEvT_T0_DpT1_,@function
_ZN2at6native12_GLOBAL__N_125multi_tensor_apply_kernelINS1_18TensorListMetadataILi2EEENS1_11CopyFunctorIibLi2ELi1ELi1EEEJNS0_4CopyIibEEEEEvT_T0_DpT1_: ; @_ZN2at6native12_GLOBAL__N_125multi_tensor_apply_kernelINS1_18TensorListMetadataILi2EEENS1_11CopyFunctorIibLi2ELi1ELi1EEEJNS0_4CopyIibEEEEEvT_T0_DpT1_
; %bb.0:
	v_mov_b32_e32 v1, s15
	s_add_u32 s2, s0, s15
	s_mul_hi_u32 s3, s15, 3
	s_mul_i32 s15, s15, 3
	s_addc_u32 s4, s1, 0
	global_load_u8 v1, v1, s[0:1] offset:1536
	s_add_u32 s2, s2, s15
	s_addc_u32 s3, s4, s3
	s_mov_b32 s15, 0
	s_load_b32 s10, s[2:3], 0x740
	s_mov_b32 s17, s15
	s_waitcnt lgkmcnt(0)
	s_ashr_i32 s11, s10, 31
	s_delay_alu instid0(SALU_CYCLE_1) | instskip(SKIP_2) | instid1(VALU_DEP_1)
	s_lshl_b64 s[8:9], s[10:11], 16
	s_waitcnt vmcnt(0)
	v_readfirstlane_b32 s5, v1
	s_lshl_b32 s2, s5, 3
	s_clause 0x2
	s_load_b64 s[6:7], s[0:1], s2 offset:0x0
	s_load_b64 s[12:13], s[0:1], s2 offset:0x200
	;; [unrolled: 1-line block ×3, first 2 shown]
	s_waitcnt lgkmcnt(0)
	s_add_u32 s3, s6, s8
	s_addc_u32 s18, s7, s9
	s_and_b32 s2, s12, 15
	s_and_b32 s16, s4, 3
	;; [unrolled: 1-line block ×3, first 2 shown]
	s_or_b32 s16, s16, s2
	s_mov_b32 s2, -1
	s_or_b64 s[14:15], s[14:15], s[16:17]
	s_sub_u32 s4, s4, s8
	s_subb_u32 s5, s5, s9
	s_cmp_eq_u64 s[14:15], 0
	s_cbranch_scc0 .LBB199_5
; %bb.1:
	v_dual_mov_b32 v2, 0 :: v_dual_lshlrev_b32 v1, 2, v0
	s_mov_b32 s19, exec_lo
	s_delay_alu instid0(VALU_DEP_1)
	v_cmpx_gt_i64_e64 s[4:5], v[1:2]
	s_cbranch_execz .LBB199_4
; %bb.2:
	s_load_b32 s2, s[0:1], 0xc5c
	v_lshlrev_b32_e32 v2, 4, v0
	s_lshl_b64 s[16:17], s[10:11], 18
	s_waitcnt lgkmcnt(0)
	s_and_b32 s2, s2, 0xffff
	s_delay_alu instid0(SALU_CYCLE_1) | instskip(SKIP_3) | instid1(VALU_DEP_1)
	s_lshl_b32 s14, s2, 2
	s_add_u32 s15, s12, s16
	s_addc_u32 s16, s13, s17
	v_add_co_u32 v2, s15, s15, v2
	v_add_co_ci_u32_e64 v3, null, s16, 0, s15
	s_mov_b32 s15, 0
	s_delay_alu instid0(VALU_DEP_2) | instskip(NEXT) | instid1(VALU_DEP_2)
	v_add_co_u32 v2, vcc_lo, v2, 8
	v_add_co_ci_u32_e32 v3, vcc_lo, 0, v3, vcc_lo
	s_lshl_b32 s20, s2, 4
	s_mov_b64 s[16:17], s[14:15]
	s_set_inst_prefetch_distance 0x1
	.p2align	6
.LBB199_3:                              ; =>This Inner Loop Header: Depth=1
	v_add_co_u32 v4, s2, s3, v1
	s_delay_alu instid0(VALU_DEP_1) | instskip(SKIP_2) | instid1(VALU_DEP_1)
	v_add_co_ci_u32_e64 v5, null, s18, 0, s2
	global_load_b32 v6, v[4:5], off
	v_add_co_u32 v4, s2, v1, s16
	v_add_co_ci_u32_e64 v5, null, 0, s17, s2
	s_delay_alu instid0(VALU_DEP_1) | instskip(SKIP_1) | instid1(VALU_DEP_1)
	v_cmp_le_i64_e32 vcc_lo, s[4:5], v[4:5]
	v_cmp_lt_u64_e64 s2, 0xffff, v[4:5]
	s_or_b32 s2, vcc_lo, s2
	s_add_u32 s16, s16, s14
	s_addc_u32 s17, s17, 0
	s_add_u32 s3, s3, s14
	s_addc_u32 s18, s18, 0
	s_and_b32 s2, exec_lo, s2
	s_delay_alu instid0(SALU_CYCLE_1)
	s_or_b32 s15, s2, s15
	s_waitcnt vmcnt(0)
	v_lshrrev_b16 v5, 8, v6
	v_lshrrev_b32_e32 v7, 24, v6
	v_and_b32_e32 v4, 0xff, v6
	v_bfe_u32 v6, v6, 16, 8
	s_delay_alu instid0(VALU_DEP_4)
	v_and_b32_e32 v5, 0xffff, v5
	global_store_b128 v[2:3], v[4:7], off offset:-8
	v_add_co_u32 v2, vcc_lo, v2, s20
	v_add_co_ci_u32_e32 v3, vcc_lo, 0, v3, vcc_lo
	s_and_not1_b32 exec_lo, exec_lo, s15
	s_cbranch_execnz .LBB199_3
.LBB199_4:
	s_set_inst_prefetch_distance 0x2
	s_or_b32 exec_lo, exec_lo, s19
	s_mov_b32 s2, 0
.LBB199_5:
	s_delay_alu instid0(SALU_CYCLE_1)
	s_and_not1_b32 vcc_lo, exec_lo, s2
	s_cbranch_vccnz .LBB199_25
; %bb.6:
	v_cmp_lt_i64_e64 s2, s[4:5], 1
	s_delay_alu instid0(VALU_DEP_1)
	s_and_b32 vcc_lo, exec_lo, s2
	s_cbranch_vccnz .LBB199_25
; %bb.7:
	s_load_b32 s0, s[0:1], 0xc5c
	v_cmp_gt_u64_e64 s1, 0x10000, s[4:5]
	v_add_co_u32 v3, s2, s8, v0
	v_lshlrev_b32_e32 v1, 2, v0
	v_add_co_ci_u32_e64 v4, null, s9, 0, s2
	s_delay_alu instid0(VALU_DEP_3) | instskip(NEXT) | instid1(VALU_DEP_2)
	v_add_co_u32 v13, vcc_lo, s6, v3
                                        ; implicit-def: $vgpr27
                                        ; implicit-def: $vgpr28
                                        ; implicit-def: $vgpr29
                                        ; implicit-def: $vgpr30
	v_add_co_ci_u32_e32 v14, vcc_lo, s7, v4, vcc_lo
	s_waitcnt lgkmcnt(0)
	s_and_b32 s0, s0, 0xffff
	s_and_b32 s1, s1, exec_lo
	s_cselect_b32 s3, s5, 0
	s_cselect_b32 s2, s4, 0x10000
	s_lshl_b64 s[10:11], s[10:11], 18
	s_lshl_b32 s14, s0, 1
	s_lshl_b32 s1, s0, 2
	s_add_u32 s12, s12, s10
	s_mul_i32 s15, s0, 3
	s_addc_u32 s11, s13, s11
	s_lshl_b32 s10, s0, 4
	v_add_co_u32 v1, s16, s12, v1
	s_add_u32 s13, s8, s15
	v_add_co_ci_u32_e64 v2, null, s11, 0, s16
	s_addc_u32 s16, s9, 0
	s_add_u32 s13, s6, s13
	s_addc_u32 s16, s7, s16
	s_add_u32 s8, s8, s14
	;; [unrolled: 2-line block ×3, first 2 shown]
	s_addc_u32 s9, s7, s9
	v_add_co_u32 v19, s8, s8, v0
	s_delay_alu instid0(VALU_DEP_1) | instskip(SKIP_1) | instid1(VALU_DEP_1)
	v_add_co_ci_u32_e64 v20, null, s9, 0, s8
	v_add_co_u32 v21, s9, s14, v0
	v_add_co_ci_u32_e64 v22, null, 0, 0, s9
	v_add_co_u32 v23, s9, v0, s0
	s_lshl_b32 s8, s0, 3
	v_add_co_u32 v15, s13, s13, v0
	s_delay_alu instid0(VALU_DEP_2)
	v_lshlrev_b32_e32 v5, 2, v23
	s_add_u32 s6, s6, s0
	v_add_co_ci_u32_e64 v16, null, s16, 0, s13
	v_add_co_u32 v17, s13, s15, v0
	s_addc_u32 s7, s7, 0
	v_add_co_u32 v25, vcc_lo, s6, v3
	v_add_co_u32 v3, s6, s12, v5
	v_add_co_ci_u32_e64 v18, null, 0, 0, s13
	v_add_co_ci_u32_e64 v24, null, 0, 0, s9
	v_add_co_ci_u32_e32 v26, vcc_lo, s7, v4, vcc_lo
	v_add_co_ci_u32_e64 v4, null, s11, 0, s6
	s_mul_i32 s9, s0, 12
	s_mov_b64 s[6:7], 0
	s_branch .LBB199_9
.LBB199_8:                              ;   in Loop: Header=BB199_9 Depth=1
	s_or_b32 exec_lo, exec_lo, s0
	s_add_u32 s6, s6, s1
	s_addc_u32 s7, s7, 0
	v_add_co_u32 v1, vcc_lo, v1, s10
	v_cmp_ge_i64_e64 s0, s[6:7], s[4:5]
	v_cmp_lt_u64_e64 s11, 0xffff, s[6:7]
	v_add_co_ci_u32_e32 v2, vcc_lo, 0, v2, vcc_lo
	v_add_co_u32 v3, vcc_lo, v3, s10
	v_add_co_ci_u32_e32 v4, vcc_lo, 0, v4, vcc_lo
	s_delay_alu instid0(VALU_DEP_4) | instskip(NEXT) | instid1(SALU_CYCLE_1)
	s_or_b32 s0, s0, s11
	s_and_b32 vcc_lo, exec_lo, s0
	s_cbranch_vccnz .LBB199_25
.LBB199_9:                              ; =>This Inner Loop Header: Depth=1
	v_add_co_u32 v5, s0, v0, s6
	s_delay_alu instid0(VALU_DEP_1) | instskip(NEXT) | instid1(VALU_DEP_1)
	v_add_co_ci_u32_e64 v6, null, 0, s7, s0
	v_cmp_gt_i64_e32 vcc_lo, s[4:5], v[5:6]
	v_cmp_gt_u64_e64 s0, 0x10000, v[5:6]
	s_delay_alu instid0(VALU_DEP_1) | instskip(NEXT) | instid1(SALU_CYCLE_1)
	s_and_b32 s11, vcc_lo, s0
	s_and_saveexec_b32 s0, s11
	s_cbranch_execz .LBB199_11
; %bb.10:                               ;   in Loop: Header=BB199_9 Depth=1
	v_add_co_u32 v7, vcc_lo, v13, s6
	v_add_co_ci_u32_e32 v8, vcc_lo, s7, v14, vcc_lo
	global_load_u8 v27, v[7:8], off
.LBB199_11:                             ;   in Loop: Header=BB199_9 Depth=1
	s_or_b32 exec_lo, exec_lo, s0
	v_add_co_u32 v7, vcc_lo, v23, s6
	v_add_co_ci_u32_e32 v8, vcc_lo, s7, v24, vcc_lo
	s_delay_alu instid0(VALU_DEP_1) | instskip(SKIP_1) | instid1(VALU_DEP_1)
	v_cmp_gt_i64_e32 vcc_lo, s[4:5], v[7:8]
	v_cmp_gt_u64_e64 s0, 0x10000, v[7:8]
	s_and_b32 s11, vcc_lo, s0
	s_delay_alu instid0(SALU_CYCLE_1)
	s_and_saveexec_b32 s0, s11
	s_cbranch_execz .LBB199_13
; %bb.12:                               ;   in Loop: Header=BB199_9 Depth=1
	v_add_co_u32 v9, vcc_lo, v25, s6
	v_add_co_ci_u32_e32 v10, vcc_lo, s7, v26, vcc_lo
	global_load_u8 v28, v[9:10], off
.LBB199_13:                             ;   in Loop: Header=BB199_9 Depth=1
	s_or_b32 exec_lo, exec_lo, s0
	v_add_co_u32 v9, vcc_lo, v21, s6
	v_add_co_ci_u32_e32 v10, vcc_lo, s7, v22, vcc_lo
	s_delay_alu instid0(VALU_DEP_1) | instskip(SKIP_1) | instid1(VALU_DEP_1)
	v_cmp_gt_i64_e32 vcc_lo, s[4:5], v[9:10]
	v_cmp_gt_u64_e64 s0, 0x10000, v[9:10]
	s_and_b32 s11, vcc_lo, s0
	s_delay_alu instid0(SALU_CYCLE_1)
	;; [unrolled: 15-line block ×3, first 2 shown]
	s_and_saveexec_b32 s0, s11
	s_cbranch_execnz .LBB199_20
; %bb.16:                               ;   in Loop: Header=BB199_9 Depth=1
	s_or_b32 exec_lo, exec_lo, s0
	s_delay_alu instid0(SALU_CYCLE_1)
	s_mov_b32 s0, exec_lo
	v_cmpx_gt_u64_e64 s[2:3], v[5:6]
	s_cbranch_execnz .LBB199_21
.LBB199_17:                             ;   in Loop: Header=BB199_9 Depth=1
	s_or_b32 exec_lo, exec_lo, s0
	s_delay_alu instid0(SALU_CYCLE_1)
	s_mov_b32 s0, exec_lo
	v_cmpx_gt_u64_e64 s[2:3], v[7:8]
	s_cbranch_execnz .LBB199_22
.LBB199_18:                             ;   in Loop: Header=BB199_9 Depth=1
	s_or_b32 exec_lo, exec_lo, s0
	s_delay_alu instid0(SALU_CYCLE_1)
	s_mov_b32 s0, exec_lo
	v_cmpx_gt_u64_e64 s[2:3], v[9:10]
	s_cbranch_execnz .LBB199_23
.LBB199_19:                             ;   in Loop: Header=BB199_9 Depth=1
	s_or_b32 exec_lo, exec_lo, s0
	s_delay_alu instid0(SALU_CYCLE_1)
	s_mov_b32 s0, exec_lo
	v_cmpx_gt_u64_e64 s[2:3], v[11:12]
	s_cbranch_execz .LBB199_8
	s_branch .LBB199_24
.LBB199_20:                             ;   in Loop: Header=BB199_9 Depth=1
	s_waitcnt vmcnt(0)
	v_add_co_u32 v30, vcc_lo, v15, s6
	v_add_co_ci_u32_e32 v31, vcc_lo, s7, v16, vcc_lo
	global_load_u8 v30, v[30:31], off
	s_or_b32 exec_lo, exec_lo, s0
	s_delay_alu instid0(SALU_CYCLE_1)
	s_mov_b32 s0, exec_lo
	v_cmpx_gt_u64_e64 s[2:3], v[5:6]
	s_cbranch_execz .LBB199_17
.LBB199_21:                             ;   in Loop: Header=BB199_9 Depth=1
	s_waitcnt vmcnt(0)
	v_and_b32_e32 v5, 0xff, v27
	global_store_b32 v[1:2], v5, off
	s_or_b32 exec_lo, exec_lo, s0
	s_delay_alu instid0(SALU_CYCLE_1)
	s_mov_b32 s0, exec_lo
	v_cmpx_gt_u64_e64 s[2:3], v[7:8]
	s_cbranch_execz .LBB199_18
.LBB199_22:                             ;   in Loop: Header=BB199_9 Depth=1
	s_waitcnt vmcnt(0)
	v_and_b32_e32 v5, 0xff, v28
	global_store_b32 v[3:4], v5, off
	s_or_b32 exec_lo, exec_lo, s0
	s_delay_alu instid0(SALU_CYCLE_1)
	s_mov_b32 s0, exec_lo
	v_cmpx_gt_u64_e64 s[2:3], v[9:10]
	s_cbranch_execz .LBB199_19
.LBB199_23:                             ;   in Loop: Header=BB199_9 Depth=1
	v_add_co_u32 v5, vcc_lo, v1, s8
	s_waitcnt vmcnt(0)
	v_and_b32_e32 v7, 0xff, v29
	v_add_co_ci_u32_e32 v6, vcc_lo, 0, v2, vcc_lo
	global_store_b32 v[5:6], v7, off
	s_or_b32 exec_lo, exec_lo, s0
	s_delay_alu instid0(SALU_CYCLE_1)
	s_mov_b32 s0, exec_lo
	v_cmpx_gt_u64_e64 s[2:3], v[11:12]
	s_cbranch_execz .LBB199_8
.LBB199_24:                             ;   in Loop: Header=BB199_9 Depth=1
	v_add_co_u32 v5, vcc_lo, v1, s9
	s_waitcnt vmcnt(0)
	v_and_b32_e32 v7, 0xff, v30
	v_add_co_ci_u32_e32 v6, vcc_lo, 0, v2, vcc_lo
	global_store_b32 v[5:6], v7, off
	s_branch .LBB199_8
.LBB199_25:
	s_nop 0
	s_sendmsg sendmsg(MSG_DEALLOC_VGPRS)
	s_endpgm
	.section	.rodata,"a",@progbits
	.p2align	6, 0x0
	.amdhsa_kernel _ZN2at6native12_GLOBAL__N_125multi_tensor_apply_kernelINS1_18TensorListMetadataILi2EEENS1_11CopyFunctorIibLi2ELi1ELi1EEEJNS0_4CopyIibEEEEEvT_T0_DpT1_
		.amdhsa_group_segment_fixed_size 0
		.amdhsa_private_segment_fixed_size 0
		.amdhsa_kernarg_size 3408
		.amdhsa_user_sgpr_count 15
		.amdhsa_user_sgpr_dispatch_ptr 0
		.amdhsa_user_sgpr_queue_ptr 0
		.amdhsa_user_sgpr_kernarg_segment_ptr 1
		.amdhsa_user_sgpr_dispatch_id 0
		.amdhsa_user_sgpr_private_segment_size 0
		.amdhsa_wavefront_size32 1
		.amdhsa_uses_dynamic_stack 0
		.amdhsa_enable_private_segment 0
		.amdhsa_system_sgpr_workgroup_id_x 1
		.amdhsa_system_sgpr_workgroup_id_y 0
		.amdhsa_system_sgpr_workgroup_id_z 0
		.amdhsa_system_sgpr_workgroup_info 0
		.amdhsa_system_vgpr_workitem_id 0
		.amdhsa_next_free_vgpr 32
		.amdhsa_next_free_sgpr 21
		.amdhsa_reserve_vcc 1
		.amdhsa_float_round_mode_32 0
		.amdhsa_float_round_mode_16_64 0
		.amdhsa_float_denorm_mode_32 3
		.amdhsa_float_denorm_mode_16_64 3
		.amdhsa_dx10_clamp 1
		.amdhsa_ieee_mode 1
		.amdhsa_fp16_overflow 0
		.amdhsa_workgroup_processor_mode 1
		.amdhsa_memory_ordered 1
		.amdhsa_forward_progress 0
		.amdhsa_shared_vgpr_count 0
		.amdhsa_exception_fp_ieee_invalid_op 0
		.amdhsa_exception_fp_denorm_src 0
		.amdhsa_exception_fp_ieee_div_zero 0
		.amdhsa_exception_fp_ieee_overflow 0
		.amdhsa_exception_fp_ieee_underflow 0
		.amdhsa_exception_fp_ieee_inexact 0
		.amdhsa_exception_int_div_zero 0
	.end_amdhsa_kernel
	.section	.text._ZN2at6native12_GLOBAL__N_125multi_tensor_apply_kernelINS1_18TensorListMetadataILi2EEENS1_11CopyFunctorIibLi2ELi1ELi1EEEJNS0_4CopyIibEEEEEvT_T0_DpT1_,"axG",@progbits,_ZN2at6native12_GLOBAL__N_125multi_tensor_apply_kernelINS1_18TensorListMetadataILi2EEENS1_11CopyFunctorIibLi2ELi1ELi1EEEJNS0_4CopyIibEEEEEvT_T0_DpT1_,comdat
.Lfunc_end199:
	.size	_ZN2at6native12_GLOBAL__N_125multi_tensor_apply_kernelINS1_18TensorListMetadataILi2EEENS1_11CopyFunctorIibLi2ELi1ELi1EEEJNS0_4CopyIibEEEEEvT_T0_DpT1_, .Lfunc_end199-_ZN2at6native12_GLOBAL__N_125multi_tensor_apply_kernelINS1_18TensorListMetadataILi2EEENS1_11CopyFunctorIibLi2ELi1ELi1EEEJNS0_4CopyIibEEEEEvT_T0_DpT1_
                                        ; -- End function
	.section	.AMDGPU.csdata,"",@progbits
; Kernel info:
; codeLenInByte = 1476
; NumSgprs: 23
; NumVgprs: 32
; ScratchSize: 0
; MemoryBound: 0
; FloatMode: 240
; IeeeMode: 1
; LDSByteSize: 0 bytes/workgroup (compile time only)
; SGPRBlocks: 2
; VGPRBlocks: 3
; NumSGPRsForWavesPerEU: 23
; NumVGPRsForWavesPerEU: 32
; Occupancy: 16
; WaveLimiterHint : 0
; COMPUTE_PGM_RSRC2:SCRATCH_EN: 0
; COMPUTE_PGM_RSRC2:USER_SGPR: 15
; COMPUTE_PGM_RSRC2:TRAP_HANDLER: 0
; COMPUTE_PGM_RSRC2:TGID_X_EN: 1
; COMPUTE_PGM_RSRC2:TGID_Y_EN: 0
; COMPUTE_PGM_RSRC2:TGID_Z_EN: 0
; COMPUTE_PGM_RSRC2:TIDIG_COMP_CNT: 0
	.section	.text._ZN2at6native12_GLOBAL__N_125multi_tensor_apply_kernelINS1_18TensorListMetadataILi2EEENS1_11CopyFunctorIiN3c1013Float8_e4m3fnELi2ELi1ELi1EEEJNS0_4CopyIiS7_EEEEEvT_T0_DpT1_,"axG",@progbits,_ZN2at6native12_GLOBAL__N_125multi_tensor_apply_kernelINS1_18TensorListMetadataILi2EEENS1_11CopyFunctorIiN3c1013Float8_e4m3fnELi2ELi1ELi1EEEJNS0_4CopyIiS7_EEEEEvT_T0_DpT1_,comdat
	.globl	_ZN2at6native12_GLOBAL__N_125multi_tensor_apply_kernelINS1_18TensorListMetadataILi2EEENS1_11CopyFunctorIiN3c1013Float8_e4m3fnELi2ELi1ELi1EEEJNS0_4CopyIiS7_EEEEEvT_T0_DpT1_ ; -- Begin function _ZN2at6native12_GLOBAL__N_125multi_tensor_apply_kernelINS1_18TensorListMetadataILi2EEENS1_11CopyFunctorIiN3c1013Float8_e4m3fnELi2ELi1ELi1EEEJNS0_4CopyIiS7_EEEEEvT_T0_DpT1_
	.p2align	8
	.type	_ZN2at6native12_GLOBAL__N_125multi_tensor_apply_kernelINS1_18TensorListMetadataILi2EEENS1_11CopyFunctorIiN3c1013Float8_e4m3fnELi2ELi1ELi1EEEJNS0_4CopyIiS7_EEEEEvT_T0_DpT1_,@function
_ZN2at6native12_GLOBAL__N_125multi_tensor_apply_kernelINS1_18TensorListMetadataILi2EEENS1_11CopyFunctorIiN3c1013Float8_e4m3fnELi2ELi1ELi1EEEJNS0_4CopyIiS7_EEEEEvT_T0_DpT1_: ; @_ZN2at6native12_GLOBAL__N_125multi_tensor_apply_kernelINS1_18TensorListMetadataILi2EEENS1_11CopyFunctorIiN3c1013Float8_e4m3fnELi2ELi1ELi1EEEJNS0_4CopyIiS7_EEEEEvT_T0_DpT1_
; %bb.0:
	v_mov_b32_e32 v1, s15
	s_add_u32 s2, s0, s15
	s_mul_hi_u32 s3, s15, 3
	s_mul_i32 s15, s15, 3
	s_addc_u32 s4, s1, 0
	global_load_u8 v1, v1, s[0:1] offset:1536
	s_add_u32 s2, s2, s15
	s_addc_u32 s3, s4, s3
	s_load_b32 s10, s[2:3], 0x740
	s_waitcnt lgkmcnt(0)
	s_ashr_i32 s11, s10, 31
	s_delay_alu instid0(SALU_CYCLE_1) | instskip(SKIP_2) | instid1(VALU_DEP_1)
	s_lshl_b64 s[8:9], s[10:11], 16
	s_waitcnt vmcnt(0)
	v_readfirstlane_b32 s5, v1
	s_lshl_b32 s2, s5, 3
	s_mov_b32 s5, 0
	s_clause 0x2
	s_load_b64 s[6:7], s[0:1], s2 offset:0x0
	s_load_b64 s[12:13], s[0:1], s2 offset:0x200
	;; [unrolled: 1-line block ×3, first 2 shown]
	s_waitcnt lgkmcnt(0)
	s_add_u32 s14, s6, s8
	s_addc_u32 s15, s7, s9
	s_and_b32 s16, s12, 15
	s_and_b32 s17, s2, 3
	;; [unrolled: 1-line block ×3, first 2 shown]
	s_or_b32 s16, s17, s16
	s_mov_b32 s17, s5
	s_delay_alu instid0(SALU_CYCLE_1)
	s_or_b64 s[16:17], s[4:5], s[16:17]
	s_sub_u32 s4, s2, s8
	s_subb_u32 s5, s3, s9
	s_cmp_eq_u64 s[16:17], 0
	s_mov_b32 s2, -1
	s_cbranch_scc0 .LBB200_5
; %bb.1:
	v_dual_mov_b32 v2, 0 :: v_dual_lshlrev_b32 v1, 2, v0
	s_mov_b32 s16, exec_lo
	s_delay_alu instid0(VALU_DEP_1)
	v_cmpx_gt_i64_e64 s[4:5], v[1:2]
	s_cbranch_execz .LBB200_4
; %bb.2:
	s_load_b32 s17, s[0:1], 0xc5c
	v_lshlrev_b32_e32 v3, 4, v0
	s_lshl_b64 s[2:3], s[10:11], 18
	s_mov_b32 s18, 0
	s_waitcnt lgkmcnt(0)
	s_and_b32 s19, s17, 0xffff
	s_delay_alu instid0(SALU_CYCLE_1) | instskip(SKIP_3) | instid1(VALU_DEP_1)
	s_lshl_b32 s17, s19, 2
	s_add_u32 s2, s12, s2
	s_addc_u32 s3, s13, s3
	v_add_co_u32 v3, s2, s2, v3
	v_add_co_ci_u32_e64 v4, null, s3, 0, s2
	s_lshl_b32 s19, s19, 4
.LBB200_3:                              ; =>This Inner Loop Header: Depth=1
	v_add_co_u32 v5, vcc_lo, s14, v1
	v_add_co_ci_u32_e32 v6, vcc_lo, s15, v2, vcc_lo
	v_add_co_u32 v1, vcc_lo, s17, v1
	v_add_co_ci_u32_e32 v2, vcc_lo, 0, v2, vcc_lo
	global_load_b32 v5, v[5:6], off
	v_cmp_le_i64_e32 vcc_lo, s[4:5], v[1:2]
	v_cmp_lt_u64_e64 s2, 0xffff, v[1:2]
	s_delay_alu instid0(VALU_DEP_1) | instskip(NEXT) | instid1(SALU_CYCLE_1)
	s_or_b32 s2, vcc_lo, s2
	s_and_b32 s20, exec_lo, s2
	s_delay_alu instid0(SALU_CYCLE_1)
	s_or_b32 s18, s20, s18
	s_waitcnt vmcnt(0)
	v_and_b32_e32 v9, 0x7f000000, v5
	v_lshlrev_b32_e32 v8, 8, v5
	v_lshlrev_b32_e32 v6, 24, v5
	v_lshlrev_b32_e32 v7, 16, v5
	s_delay_alu instid0(VALU_DEP_4) | instskip(NEXT) | instid1(VALU_DEP_4)
	v_clz_i32_u32_e32 v13, v9
	v_and_b32_e32 v12, 0x7f000000, v8
	v_add_nc_u32_e32 v14, 0x1000000, v9
	v_and_b32_e32 v10, 0x7f000000, v6
	v_cmp_ne_u32_e32 vcc_lo, 0, v9
	v_min_u32_e32 v13, 32, v13
	v_clz_i32_u32_e32 v19, v12
	v_ashrrev_i32_e32 v14, 8, v14
	v_clz_i32_u32_e32 v15, v10
	v_add_nc_u32_e32 v20, 0x1000000, v12
	v_sub_nc_u32_e64 v13, v13, 4 clamp
	v_min_u32_e32 v19, 32, v19
	v_cmp_ne_u32_e64 s3, 0, v12
	v_min_u32_e32 v15, 32, v15
	v_add_nc_u32_e32 v16, 0x1000000, v10
	v_lshlrev_b32_e32 v21, v13, v9
	v_lshlrev_b32_e32 v13, 23, v13
	v_sub_nc_u32_e64 v19, v19, 4 clamp
	v_sub_nc_u32_e64 v15, v15, 4 clamp
	v_ashrrev_i32_e32 v16, 8, v16
	v_lshrrev_b32_e32 v21, 4, v21
	v_ashrrev_i32_e32 v20, 8, v20
	v_lshlrev_b32_e32 v24, v19, v12
	v_lshlrev_b32_e32 v22, v15, v10
	;; [unrolled: 1-line block ×3, first 2 shown]
	v_sub_nc_u32_e32 v13, v21, v13
	v_lshlrev_b32_e32 v19, 23, v19
	v_lshrrev_b32_e32 v24, 4, v24
	v_lshrrev_b32_e32 v22, 4, v22
	s_delay_alu instid0(VALU_DEP_4) | instskip(NEXT) | instid1(VALU_DEP_3)
	v_add_nc_u32_e32 v13, 0x3c000000, v13
	v_sub_nc_u32_e32 v19, v24, v19
	s_delay_alu instid0(VALU_DEP_3) | instskip(NEXT) | instid1(VALU_DEP_3)
	v_sub_nc_u32_e32 v15, v22, v15
	v_and_or_b32 v13, 0x7f800000, v14, v13
	v_and_b32_e32 v11, 0x7f000000, v7
	s_delay_alu instid0(VALU_DEP_4) | instskip(NEXT) | instid1(VALU_DEP_3)
	v_add_nc_u32_e32 v19, 0x3c000000, v19
	v_dual_cndmask_b32 v12, 0, v13 :: v_dual_add_nc_u32 v15, 0x3c000000, v15
	s_delay_alu instid0(VALU_DEP_3) | instskip(SKIP_1) | instid1(VALU_DEP_3)
	v_clz_i32_u32_e32 v17, v11
	v_add_nc_u32_e32 v18, 0x1000000, v11
	v_and_or_b32 v9, 0x7f800000, v16, v15
	v_cmp_ne_u32_e64 s2, 0, v11
	v_cmp_ne_u32_e32 vcc_lo, 0, v10
	v_min_u32_e32 v17, 32, v17
	v_ashrrev_i32_e32 v18, 8, v18
	v_and_or_b32 v5, 0x80000000, v5, v12
	v_cndmask_b32_e32 v9, 0, v9, vcc_lo
	s_delay_alu instid0(VALU_DEP_4) | instskip(NEXT) | instid1(VALU_DEP_2)
	v_sub_nc_u32_e64 v17, v17, 4 clamp
	v_and_or_b32 v6, 0x80000000, v6, v9
	s_delay_alu instid0(VALU_DEP_2) | instskip(SKIP_2) | instid1(VALU_DEP_3)
	v_lshlrev_b32_e32 v23, v17, v11
	v_lshlrev_b32_e32 v17, 23, v17
	v_and_or_b32 v11, 0x7f800000, v20, v19
	v_lshrrev_b32_e32 v23, 4, v23
	s_delay_alu instid0(VALU_DEP_2) | instskip(NEXT) | instid1(VALU_DEP_2)
	v_cndmask_b32_e64 v11, 0, v11, s3
	v_sub_nc_u32_e32 v17, v23, v17
	s_delay_alu instid0(VALU_DEP_2) | instskip(SKIP_2) | instid1(VALU_DEP_4)
	v_and_or_b32 v9, 0x80000000, v8, v11
	v_cvt_i32_f32_e32 v8, v5
	v_cvt_i32_f32_e32 v5, v6
	v_add_nc_u32_e32 v17, 0x3c000000, v17
	s_delay_alu instid0(VALU_DEP_1) | instskip(NEXT) | instid1(VALU_DEP_1)
	v_and_or_b32 v14, 0x7f800000, v18, v17
	v_cndmask_b32_e64 v10, 0, v14, s2
	s_delay_alu instid0(VALU_DEP_1) | instskip(NEXT) | instid1(VALU_DEP_1)
	v_and_or_b32 v7, 0x80000000, v7, v10
	v_cvt_i32_f32_e32 v6, v7
	v_cvt_i32_f32_e32 v7, v9
	global_store_b128 v[3:4], v[5:8], off
	v_add_co_u32 v3, vcc_lo, v3, s19
	v_add_co_ci_u32_e32 v4, vcc_lo, 0, v4, vcc_lo
	s_and_not1_b32 exec_lo, exec_lo, s18
	s_cbranch_execnz .LBB200_3
.LBB200_4:
	s_or_b32 exec_lo, exec_lo, s16
	s_mov_b32 s2, 0
.LBB200_5:
	s_delay_alu instid0(SALU_CYCLE_1)
	s_and_not1_b32 vcc_lo, exec_lo, s2
	s_cbranch_vccnz .LBB200_25
; %bb.6:
	v_cmp_lt_i64_e64 s2, s[4:5], 1
	s_delay_alu instid0(VALU_DEP_1)
	s_and_b32 vcc_lo, exec_lo, s2
	s_cbranch_vccnz .LBB200_25
; %bb.7:
	s_load_b32 s0, s[0:1], 0xc5c
	v_cmp_gt_u64_e64 s1, 0x10000, s[4:5]
	v_add_co_u32 v3, s2, s8, v0
	v_lshlrev_b32_e32 v1, 2, v0
	v_add_co_ci_u32_e64 v4, null, s9, 0, s2
	s_delay_alu instid0(VALU_DEP_3) | instskip(NEXT) | instid1(VALU_DEP_2)
	v_add_co_u32 v13, vcc_lo, s6, v3
                                        ; implicit-def: $vgpr27
                                        ; implicit-def: $vgpr28
                                        ; implicit-def: $vgpr29
                                        ; implicit-def: $vgpr30
	v_add_co_ci_u32_e32 v14, vcc_lo, s7, v4, vcc_lo
	s_waitcnt lgkmcnt(0)
	s_and_b32 s0, s0, 0xffff
	s_and_b32 s1, s1, exec_lo
	s_cselect_b32 s3, s5, 0
	s_cselect_b32 s2, s4, 0x10000
	s_lshl_b64 s[10:11], s[10:11], 18
	s_lshl_b32 s14, s0, 1
	s_lshl_b32 s1, s0, 2
	s_add_u32 s12, s12, s10
	s_mul_i32 s15, s0, 3
	s_addc_u32 s11, s13, s11
	s_lshl_b32 s10, s0, 4
	v_add_co_u32 v1, s16, s12, v1
	s_add_u32 s13, s8, s15
	v_add_co_ci_u32_e64 v2, null, s11, 0, s16
	s_addc_u32 s16, s9, 0
	s_add_u32 s13, s6, s13
	s_addc_u32 s16, s7, s16
	s_add_u32 s8, s8, s14
	s_addc_u32 s9, s9, 0
	s_add_u32 s8, s6, s8
	s_addc_u32 s9, s7, s9
	v_add_co_u32 v19, s8, s8, v0
	s_delay_alu instid0(VALU_DEP_1) | instskip(SKIP_1) | instid1(VALU_DEP_1)
	v_add_co_ci_u32_e64 v20, null, s9, 0, s8
	v_add_co_u32 v21, s9, s14, v0
	v_add_co_ci_u32_e64 v22, null, 0, 0, s9
	v_add_co_u32 v23, s9, v0, s0
	s_lshl_b32 s8, s0, 3
	v_add_co_u32 v15, s13, s13, v0
	s_delay_alu instid0(VALU_DEP_2)
	v_lshlrev_b32_e32 v5, 2, v23
	s_add_u32 s6, s6, s0
	v_add_co_ci_u32_e64 v16, null, s16, 0, s13
	v_add_co_u32 v17, s13, s15, v0
	s_addc_u32 s7, s7, 0
	v_add_co_u32 v25, vcc_lo, s6, v3
	v_add_co_u32 v3, s6, s12, v5
	v_add_co_ci_u32_e64 v18, null, 0, 0, s13
	v_add_co_ci_u32_e64 v24, null, 0, 0, s9
	v_add_co_ci_u32_e32 v26, vcc_lo, s7, v4, vcc_lo
	v_add_co_ci_u32_e64 v4, null, s11, 0, s6
	s_mul_i32 s9, s0, 12
	s_mov_b64 s[6:7], 0
	s_branch .LBB200_9
.LBB200_8:                              ;   in Loop: Header=BB200_9 Depth=1
	s_or_b32 exec_lo, exec_lo, s0
	s_add_u32 s6, s6, s1
	s_addc_u32 s7, s7, 0
	v_add_co_u32 v1, vcc_lo, v1, s10
	v_cmp_ge_i64_e64 s0, s[6:7], s[4:5]
	v_cmp_lt_u64_e64 s11, 0xffff, s[6:7]
	v_add_co_ci_u32_e32 v2, vcc_lo, 0, v2, vcc_lo
	v_add_co_u32 v3, vcc_lo, v3, s10
	v_add_co_ci_u32_e32 v4, vcc_lo, 0, v4, vcc_lo
	s_delay_alu instid0(VALU_DEP_4) | instskip(NEXT) | instid1(SALU_CYCLE_1)
	s_or_b32 s0, s0, s11
	s_and_b32 vcc_lo, exec_lo, s0
	s_cbranch_vccnz .LBB200_25
.LBB200_9:                              ; =>This Inner Loop Header: Depth=1
	v_add_co_u32 v11, s0, v0, s6
	s_delay_alu instid0(VALU_DEP_1) | instskip(NEXT) | instid1(VALU_DEP_1)
	v_add_co_ci_u32_e64 v12, null, 0, s7, s0
	v_cmp_gt_i64_e32 vcc_lo, s[4:5], v[11:12]
	v_cmp_gt_u64_e64 s0, 0x10000, v[11:12]
	s_delay_alu instid0(VALU_DEP_1) | instskip(NEXT) | instid1(SALU_CYCLE_1)
	s_and_b32 s11, vcc_lo, s0
	s_and_saveexec_b32 s0, s11
	s_cbranch_execz .LBB200_11
; %bb.10:                               ;   in Loop: Header=BB200_9 Depth=1
	v_add_co_u32 v5, vcc_lo, v13, s6
	v_add_co_ci_u32_e32 v6, vcc_lo, s7, v14, vcc_lo
	global_load_u8 v30, v[5:6], off
.LBB200_11:                             ;   in Loop: Header=BB200_9 Depth=1
	s_or_b32 exec_lo, exec_lo, s0
	v_add_co_u32 v9, vcc_lo, v23, s6
	v_add_co_ci_u32_e32 v10, vcc_lo, s7, v24, vcc_lo
	s_delay_alu instid0(VALU_DEP_1) | instskip(SKIP_1) | instid1(VALU_DEP_1)
	v_cmp_gt_i64_e32 vcc_lo, s[4:5], v[9:10]
	v_cmp_gt_u64_e64 s0, 0x10000, v[9:10]
	s_and_b32 s11, vcc_lo, s0
	s_delay_alu instid0(SALU_CYCLE_1)
	s_and_saveexec_b32 s0, s11
	s_cbranch_execz .LBB200_13
; %bb.12:                               ;   in Loop: Header=BB200_9 Depth=1
	v_add_co_u32 v5, vcc_lo, v25, s6
	v_add_co_ci_u32_e32 v6, vcc_lo, s7, v26, vcc_lo
	global_load_u8 v29, v[5:6], off
.LBB200_13:                             ;   in Loop: Header=BB200_9 Depth=1
	s_or_b32 exec_lo, exec_lo, s0
	v_add_co_u32 v7, vcc_lo, v21, s6
	v_add_co_ci_u32_e32 v8, vcc_lo, s7, v22, vcc_lo
	s_delay_alu instid0(VALU_DEP_1) | instskip(SKIP_1) | instid1(VALU_DEP_1)
	v_cmp_gt_i64_e32 vcc_lo, s[4:5], v[7:8]
	v_cmp_gt_u64_e64 s0, 0x10000, v[7:8]
	s_and_b32 s11, vcc_lo, s0
	s_delay_alu instid0(SALU_CYCLE_1)
	s_and_saveexec_b32 s0, s11
	s_cbranch_execz .LBB200_15
; %bb.14:                               ;   in Loop: Header=BB200_9 Depth=1
	v_add_co_u32 v5, vcc_lo, v19, s6
	v_add_co_ci_u32_e32 v6, vcc_lo, s7, v20, vcc_lo
	global_load_u8 v28, v[5:6], off
.LBB200_15:                             ;   in Loop: Header=BB200_9 Depth=1
	s_or_b32 exec_lo, exec_lo, s0
	v_add_co_u32 v5, vcc_lo, v17, s6
	v_add_co_ci_u32_e32 v6, vcc_lo, s7, v18, vcc_lo
	s_delay_alu instid0(VALU_DEP_1) | instskip(SKIP_1) | instid1(VALU_DEP_1)
	v_cmp_gt_i64_e32 vcc_lo, s[4:5], v[5:6]
	v_cmp_gt_u64_e64 s0, 0x10000, v[5:6]
	s_and_b32 s11, vcc_lo, s0
	s_delay_alu instid0(SALU_CYCLE_1)
	s_and_saveexec_b32 s0, s11
	s_cbranch_execnz .LBB200_20
; %bb.16:                               ;   in Loop: Header=BB200_9 Depth=1
	s_or_b32 exec_lo, exec_lo, s0
	s_delay_alu instid0(SALU_CYCLE_1)
	s_mov_b32 s0, exec_lo
	v_cmpx_gt_u64_e64 s[2:3], v[11:12]
	s_cbranch_execnz .LBB200_21
.LBB200_17:                             ;   in Loop: Header=BB200_9 Depth=1
	s_or_b32 exec_lo, exec_lo, s0
	s_delay_alu instid0(SALU_CYCLE_1)
	s_mov_b32 s0, exec_lo
	v_cmpx_gt_u64_e64 s[2:3], v[9:10]
	s_cbranch_execnz .LBB200_22
.LBB200_18:                             ;   in Loop: Header=BB200_9 Depth=1
	s_or_b32 exec_lo, exec_lo, s0
	s_delay_alu instid0(SALU_CYCLE_1)
	s_mov_b32 s0, exec_lo
	v_cmpx_gt_u64_e64 s[2:3], v[7:8]
	s_cbranch_execnz .LBB200_23
.LBB200_19:                             ;   in Loop: Header=BB200_9 Depth=1
	s_or_b32 exec_lo, exec_lo, s0
	s_delay_alu instid0(SALU_CYCLE_1)
	s_mov_b32 s0, exec_lo
	v_cmpx_gt_u64_e64 s[2:3], v[5:6]
	s_cbranch_execz .LBB200_8
	s_branch .LBB200_24
.LBB200_20:                             ;   in Loop: Header=BB200_9 Depth=1
	v_add_co_u32 v31, vcc_lo, v15, s6
	v_add_co_ci_u32_e32 v32, vcc_lo, s7, v16, vcc_lo
	global_load_u8 v27, v[31:32], off
	s_or_b32 exec_lo, exec_lo, s0
	s_delay_alu instid0(SALU_CYCLE_1)
	s_mov_b32 s0, exec_lo
	v_cmpx_gt_u64_e64 s[2:3], v[11:12]
	s_cbranch_execz .LBB200_17
.LBB200_21:                             ;   in Loop: Header=BB200_9 Depth=1
	s_waitcnt vmcnt(0)
	v_lshlrev_b32_e32 v11, 24, v30
	s_delay_alu instid0(VALU_DEP_1) | instskip(NEXT) | instid1(VALU_DEP_1)
	v_and_b32_e32 v12, 0x7f000000, v11
	v_clz_i32_u32_e32 v31, v12
	v_cmp_ne_u32_e32 vcc_lo, 0, v12
	s_delay_alu instid0(VALU_DEP_2) | instskip(NEXT) | instid1(VALU_DEP_1)
	v_min_u32_e32 v31, 32, v31
	v_sub_nc_u32_e64 v31, v31, 4 clamp
	s_delay_alu instid0(VALU_DEP_1) | instskip(SKIP_1) | instid1(VALU_DEP_2)
	v_lshlrev_b32_e32 v32, v31, v12
	v_lshlrev_b32_e32 v31, 23, v31
	v_lshrrev_b32_e32 v32, 4, v32
	s_delay_alu instid0(VALU_DEP_1) | instskip(SKIP_1) | instid1(VALU_DEP_2)
	v_sub_nc_u32_e32 v31, v32, v31
	v_add_nc_u32_e32 v32, 0x1000000, v12
	v_add_nc_u32_e32 v31, 0x3c000000, v31
	s_delay_alu instid0(VALU_DEP_2) | instskip(NEXT) | instid1(VALU_DEP_1)
	v_ashrrev_i32_e32 v32, 8, v32
	v_and_or_b32 v31, 0x7f800000, v32, v31
	s_delay_alu instid0(VALU_DEP_1) | instskip(NEXT) | instid1(VALU_DEP_1)
	v_cndmask_b32_e32 v12, 0, v31, vcc_lo
	v_and_or_b32 v11, 0x80000000, v11, v12
	s_delay_alu instid0(VALU_DEP_1) | instskip(SKIP_2) | instid1(SALU_CYCLE_1)
	v_cvt_i32_f32_e32 v11, v11
	global_store_b32 v[1:2], v11, off
	s_or_b32 exec_lo, exec_lo, s0
	s_mov_b32 s0, exec_lo
	v_cmpx_gt_u64_e64 s[2:3], v[9:10]
	s_cbranch_execz .LBB200_18
.LBB200_22:                             ;   in Loop: Header=BB200_9 Depth=1
	s_waitcnt vmcnt(0)
	v_lshlrev_b32_e32 v9, 24, v29
	s_delay_alu instid0(VALU_DEP_1) | instskip(NEXT) | instid1(VALU_DEP_1)
	v_and_b32_e32 v10, 0x7f000000, v9
	v_clz_i32_u32_e32 v11, v10
	v_add_nc_u32_e32 v31, 0x1000000, v10
	v_cmp_ne_u32_e32 vcc_lo, 0, v10
	s_delay_alu instid0(VALU_DEP_3) | instskip(NEXT) | instid1(VALU_DEP_1)
	v_min_u32_e32 v11, 32, v11
	v_sub_nc_u32_e64 v11, v11, 4 clamp
	s_delay_alu instid0(VALU_DEP_1) | instskip(SKIP_1) | instid1(VALU_DEP_2)
	v_lshlrev_b32_e32 v12, v11, v10
	v_lshlrev_b32_e32 v11, 23, v11
	v_lshrrev_b32_e32 v12, 4, v12
	s_delay_alu instid0(VALU_DEP_1) | instskip(SKIP_1) | instid1(VALU_DEP_2)
	v_sub_nc_u32_e32 v11, v12, v11
	v_ashrrev_i32_e32 v12, 8, v31
	v_add_nc_u32_e32 v11, 0x3c000000, v11
	s_delay_alu instid0(VALU_DEP_1) | instskip(NEXT) | instid1(VALU_DEP_1)
	v_and_or_b32 v11, 0x7f800000, v12, v11
	v_cndmask_b32_e32 v10, 0, v11, vcc_lo
	s_delay_alu instid0(VALU_DEP_1) | instskip(NEXT) | instid1(VALU_DEP_1)
	v_and_or_b32 v9, 0x80000000, v9, v10
	v_cvt_i32_f32_e32 v9, v9
	global_store_b32 v[3:4], v9, off
	s_or_b32 exec_lo, exec_lo, s0
	s_delay_alu instid0(SALU_CYCLE_1)
	s_mov_b32 s0, exec_lo
	v_cmpx_gt_u64_e64 s[2:3], v[7:8]
	s_cbranch_execz .LBB200_19
.LBB200_23:                             ;   in Loop: Header=BB200_9 Depth=1
	s_waitcnt vmcnt(0)
	v_lshlrev_b32_e32 v7, 24, v28
	s_delay_alu instid0(VALU_DEP_1) | instskip(NEXT) | instid1(VALU_DEP_1)
	v_and_b32_e32 v8, 0x7f000000, v7
	v_clz_i32_u32_e32 v9, v8
	v_add_nc_u32_e32 v11, 0x1000000, v8
	v_cmp_ne_u32_e32 vcc_lo, 0, v8
	s_delay_alu instid0(VALU_DEP_3) | instskip(NEXT) | instid1(VALU_DEP_1)
	v_min_u32_e32 v9, 32, v9
	v_sub_nc_u32_e64 v9, v9, 4 clamp
	s_delay_alu instid0(VALU_DEP_1) | instskip(SKIP_1) | instid1(VALU_DEP_2)
	v_lshlrev_b32_e32 v10, v9, v8
	v_lshlrev_b32_e32 v9, 23, v9
	v_lshrrev_b32_e32 v10, 4, v10
	s_delay_alu instid0(VALU_DEP_1) | instskip(SKIP_1) | instid1(VALU_DEP_2)
	v_sub_nc_u32_e32 v9, v10, v9
	v_ashrrev_i32_e32 v10, 8, v11
	v_add_nc_u32_e32 v9, 0x3c000000, v9
	s_delay_alu instid0(VALU_DEP_1) | instskip(NEXT) | instid1(VALU_DEP_1)
	v_and_or_b32 v9, 0x7f800000, v10, v9
	v_cndmask_b32_e32 v8, 0, v9, vcc_lo
	s_delay_alu instid0(VALU_DEP_1) | instskip(NEXT) | instid1(VALU_DEP_1)
	v_and_or_b32 v7, 0x80000000, v7, v8
	v_cvt_i32_f32_e32 v9, v7
	v_add_co_u32 v7, vcc_lo, v1, s8
	v_add_co_ci_u32_e32 v8, vcc_lo, 0, v2, vcc_lo
	global_store_b32 v[7:8], v9, off
	s_or_b32 exec_lo, exec_lo, s0
	s_delay_alu instid0(SALU_CYCLE_1)
	s_mov_b32 s0, exec_lo
	v_cmpx_gt_u64_e64 s[2:3], v[5:6]
	s_cbranch_execz .LBB200_8
.LBB200_24:                             ;   in Loop: Header=BB200_9 Depth=1
	s_waitcnt vmcnt(0)
	v_lshlrev_b32_e32 v5, 24, v27
	s_delay_alu instid0(VALU_DEP_1) | instskip(NEXT) | instid1(VALU_DEP_1)
	v_and_b32_e32 v6, 0x7f000000, v5
	v_clz_i32_u32_e32 v7, v6
	v_cmp_ne_u32_e32 vcc_lo, 0, v6
	v_add_nc_u32_e32 v9, 0x1000000, v6
	s_delay_alu instid0(VALU_DEP_3) | instskip(NEXT) | instid1(VALU_DEP_1)
	v_min_u32_e32 v7, 32, v7
	v_sub_nc_u32_e64 v7, v7, 4 clamp
	s_delay_alu instid0(VALU_DEP_1) | instskip(SKIP_1) | instid1(VALU_DEP_2)
	v_lshlrev_b32_e32 v8, v7, v6
	v_lshlrev_b32_e32 v7, 23, v7
	v_lshrrev_b32_e32 v8, 4, v8
	s_delay_alu instid0(VALU_DEP_1) | instskip(SKIP_1) | instid1(VALU_DEP_2)
	v_sub_nc_u32_e32 v7, v8, v7
	v_ashrrev_i32_e32 v8, 8, v9
	v_add_nc_u32_e32 v7, 0x3c000000, v7
	s_delay_alu instid0(VALU_DEP_1) | instskip(NEXT) | instid1(VALU_DEP_1)
	v_and_or_b32 v7, 0x7f800000, v8, v7
	v_cndmask_b32_e32 v6, 0, v7, vcc_lo
	s_delay_alu instid0(VALU_DEP_1) | instskip(NEXT) | instid1(VALU_DEP_1)
	v_and_or_b32 v5, 0x80000000, v5, v6
	v_cvt_i32_f32_e32 v7, v5
	v_add_co_u32 v5, vcc_lo, v1, s9
	v_add_co_ci_u32_e32 v6, vcc_lo, 0, v2, vcc_lo
	global_store_b32 v[5:6], v7, off
	s_branch .LBB200_8
.LBB200_25:
	s_nop 0
	s_sendmsg sendmsg(MSG_DEALLOC_VGPRS)
	s_endpgm
	.section	.rodata,"a",@progbits
	.p2align	6, 0x0
	.amdhsa_kernel _ZN2at6native12_GLOBAL__N_125multi_tensor_apply_kernelINS1_18TensorListMetadataILi2EEENS1_11CopyFunctorIiN3c1013Float8_e4m3fnELi2ELi1ELi1EEEJNS0_4CopyIiS7_EEEEEvT_T0_DpT1_
		.amdhsa_group_segment_fixed_size 0
		.amdhsa_private_segment_fixed_size 0
		.amdhsa_kernarg_size 3408
		.amdhsa_user_sgpr_count 15
		.amdhsa_user_sgpr_dispatch_ptr 0
		.amdhsa_user_sgpr_queue_ptr 0
		.amdhsa_user_sgpr_kernarg_segment_ptr 1
		.amdhsa_user_sgpr_dispatch_id 0
		.amdhsa_user_sgpr_private_segment_size 0
		.amdhsa_wavefront_size32 1
		.amdhsa_uses_dynamic_stack 0
		.amdhsa_enable_private_segment 0
		.amdhsa_system_sgpr_workgroup_id_x 1
		.amdhsa_system_sgpr_workgroup_id_y 0
		.amdhsa_system_sgpr_workgroup_id_z 0
		.amdhsa_system_sgpr_workgroup_info 0
		.amdhsa_system_vgpr_workitem_id 0
		.amdhsa_next_free_vgpr 33
		.amdhsa_next_free_sgpr 21
		.amdhsa_reserve_vcc 1
		.amdhsa_float_round_mode_32 0
		.amdhsa_float_round_mode_16_64 0
		.amdhsa_float_denorm_mode_32 3
		.amdhsa_float_denorm_mode_16_64 3
		.amdhsa_dx10_clamp 1
		.amdhsa_ieee_mode 1
		.amdhsa_fp16_overflow 0
		.amdhsa_workgroup_processor_mode 1
		.amdhsa_memory_ordered 1
		.amdhsa_forward_progress 0
		.amdhsa_shared_vgpr_count 0
		.amdhsa_exception_fp_ieee_invalid_op 0
		.amdhsa_exception_fp_denorm_src 0
		.amdhsa_exception_fp_ieee_div_zero 0
		.amdhsa_exception_fp_ieee_overflow 0
		.amdhsa_exception_fp_ieee_underflow 0
		.amdhsa_exception_fp_ieee_inexact 0
		.amdhsa_exception_int_div_zero 0
	.end_amdhsa_kernel
	.section	.text._ZN2at6native12_GLOBAL__N_125multi_tensor_apply_kernelINS1_18TensorListMetadataILi2EEENS1_11CopyFunctorIiN3c1013Float8_e4m3fnELi2ELi1ELi1EEEJNS0_4CopyIiS7_EEEEEvT_T0_DpT1_,"axG",@progbits,_ZN2at6native12_GLOBAL__N_125multi_tensor_apply_kernelINS1_18TensorListMetadataILi2EEENS1_11CopyFunctorIiN3c1013Float8_e4m3fnELi2ELi1ELi1EEEJNS0_4CopyIiS7_EEEEEvT_T0_DpT1_,comdat
.Lfunc_end200:
	.size	_ZN2at6native12_GLOBAL__N_125multi_tensor_apply_kernelINS1_18TensorListMetadataILi2EEENS1_11CopyFunctorIiN3c1013Float8_e4m3fnELi2ELi1ELi1EEEJNS0_4CopyIiS7_EEEEEvT_T0_DpT1_, .Lfunc_end200-_ZN2at6native12_GLOBAL__N_125multi_tensor_apply_kernelINS1_18TensorListMetadataILi2EEENS1_11CopyFunctorIiN3c1013Float8_e4m3fnELi2ELi1ELi1EEEJNS0_4CopyIiS7_EEEEEvT_T0_DpT1_
                                        ; -- End function
	.section	.AMDGPU.csdata,"",@progbits
; Kernel info:
; codeLenInByte = 2300
; NumSgprs: 23
; NumVgprs: 33
; ScratchSize: 0
; MemoryBound: 0
; FloatMode: 240
; IeeeMode: 1
; LDSByteSize: 0 bytes/workgroup (compile time only)
; SGPRBlocks: 2
; VGPRBlocks: 4
; NumSGPRsForWavesPerEU: 23
; NumVGPRsForWavesPerEU: 33
; Occupancy: 16
; WaveLimiterHint : 0
; COMPUTE_PGM_RSRC2:SCRATCH_EN: 0
; COMPUTE_PGM_RSRC2:USER_SGPR: 15
; COMPUTE_PGM_RSRC2:TRAP_HANDLER: 0
; COMPUTE_PGM_RSRC2:TGID_X_EN: 1
; COMPUTE_PGM_RSRC2:TGID_Y_EN: 0
; COMPUTE_PGM_RSRC2:TGID_Z_EN: 0
; COMPUTE_PGM_RSRC2:TIDIG_COMP_CNT: 0
	.section	.text._ZN2at6native12_GLOBAL__N_125multi_tensor_apply_kernelINS1_18TensorListMetadataILi2EEENS1_11CopyFunctorIiN3c1015Float8_e4m3fnuzELi2ELi1ELi1EEEJNS0_4CopyIiS7_EEEEEvT_T0_DpT1_,"axG",@progbits,_ZN2at6native12_GLOBAL__N_125multi_tensor_apply_kernelINS1_18TensorListMetadataILi2EEENS1_11CopyFunctorIiN3c1015Float8_e4m3fnuzELi2ELi1ELi1EEEJNS0_4CopyIiS7_EEEEEvT_T0_DpT1_,comdat
	.globl	_ZN2at6native12_GLOBAL__N_125multi_tensor_apply_kernelINS1_18TensorListMetadataILi2EEENS1_11CopyFunctorIiN3c1015Float8_e4m3fnuzELi2ELi1ELi1EEEJNS0_4CopyIiS7_EEEEEvT_T0_DpT1_ ; -- Begin function _ZN2at6native12_GLOBAL__N_125multi_tensor_apply_kernelINS1_18TensorListMetadataILi2EEENS1_11CopyFunctorIiN3c1015Float8_e4m3fnuzELi2ELi1ELi1EEEJNS0_4CopyIiS7_EEEEEvT_T0_DpT1_
	.p2align	8
	.type	_ZN2at6native12_GLOBAL__N_125multi_tensor_apply_kernelINS1_18TensorListMetadataILi2EEENS1_11CopyFunctorIiN3c1015Float8_e4m3fnuzELi2ELi1ELi1EEEJNS0_4CopyIiS7_EEEEEvT_T0_DpT1_,@function
_ZN2at6native12_GLOBAL__N_125multi_tensor_apply_kernelINS1_18TensorListMetadataILi2EEENS1_11CopyFunctorIiN3c1015Float8_e4m3fnuzELi2ELi1ELi1EEEJNS0_4CopyIiS7_EEEEEvT_T0_DpT1_: ; @_ZN2at6native12_GLOBAL__N_125multi_tensor_apply_kernelINS1_18TensorListMetadataILi2EEENS1_11CopyFunctorIiN3c1015Float8_e4m3fnuzELi2ELi1ELi1EEEJNS0_4CopyIiS7_EEEEEvT_T0_DpT1_
; %bb.0:
	v_mov_b32_e32 v1, s15
	s_add_u32 s2, s0, s15
	s_mul_hi_u32 s3, s15, 3
	s_mul_i32 s15, s15, 3
	s_addc_u32 s4, s1, 0
	global_load_u8 v1, v1, s[0:1] offset:1536
	s_add_u32 s2, s2, s15
	s_addc_u32 s3, s4, s3
	s_mov_b32 s17, 0
	s_load_b32 s10, s[2:3], 0x740
	s_mov_b32 s19, s17
	s_waitcnt lgkmcnt(0)
	s_ashr_i32 s11, s10, 31
	s_delay_alu instid0(SALU_CYCLE_1) | instskip(SKIP_2) | instid1(VALU_DEP_1)
	s_lshl_b64 s[8:9], s[10:11], 16
	s_waitcnt vmcnt(0)
	v_readfirstlane_b32 s5, v1
	s_lshl_b32 s2, s5, 3
	s_clause 0x2
	s_load_b64 s[6:7], s[0:1], s2 offset:0x0
	s_load_b64 s[12:13], s[0:1], s2 offset:0x200
	s_load_b64 s[4:5], s[0:1], s2 offset:0x400
	s_waitcnt lgkmcnt(0)
	s_add_u32 s3, s6, s8
	s_addc_u32 s14, s7, s9
	s_and_b32 s2, s12, 15
	s_and_b32 s15, s4, 3
	;; [unrolled: 1-line block ×3, first 2 shown]
	s_or_b32 s18, s15, s2
	s_mov_b32 s2, -1
	s_or_b64 s[16:17], s[16:17], s[18:19]
	s_sub_u32 s4, s4, s8
	s_subb_u32 s5, s5, s9
	s_cmp_eq_u64 s[16:17], 0
	s_cbranch_scc0 .LBB201_29
; %bb.1:
	v_dual_mov_b32 v6, 0 :: v_dual_lshlrev_b32 v5, 2, v0
	s_mov_b32 s15, exec_lo
	s_delay_alu instid0(VALU_DEP_1)
	v_cmpx_gt_i64_e64 s[4:5], v[5:6]
	s_cbranch_execz .LBB201_28
; %bb.2:
	s_load_b32 s2, s[0:1], 0xc5c
	v_lshlrev_b32_e32 v1, 4, v0
	s_lshl_b64 s[18:19], s[10:11], 18
	s_waitcnt lgkmcnt(0)
	s_and_b32 s2, s2, 0xffff
	s_delay_alu instid0(SALU_CYCLE_1) | instskip(SKIP_3) | instid1(VALU_DEP_1)
	s_lshl_b32 s16, s2, 2
	s_add_u32 s17, s12, s18
	s_addc_u32 s18, s13, s19
	v_add_co_u32 v7, s17, s17, v1
	v_add_co_ci_u32_e64 v8, null, s18, 0, s17
	s_mov_b32 s17, 0
	s_lshl_b32 s18, s2, 4
	s_branch .LBB201_4
.LBB201_3:                              ;   in Loop: Header=BB201_4 Depth=1
	s_or_b32 exec_lo, exec_lo, s19
	v_add_co_u32 v5, vcc_lo, s16, v5
	v_add_co_ci_u32_e32 v6, vcc_lo, 0, v6, vcc_lo
	global_store_b128 v[7:8], v[1:4], off
	v_cmp_le_i64_e32 vcc_lo, s[4:5], v[5:6]
	v_cmp_lt_u64_e64 s2, 0xffff, v[5:6]
	s_delay_alu instid0(VALU_DEP_1) | instskip(SKIP_3) | instid1(SALU_CYCLE_1)
	s_or_b32 s2, vcc_lo, s2
	v_add_co_u32 v7, vcc_lo, v7, s18
	v_add_co_ci_u32_e32 v8, vcc_lo, 0, v8, vcc_lo
	s_and_b32 s2, exec_lo, s2
	s_or_b32 s17, s2, s17
	s_delay_alu instid0(SALU_CYCLE_1)
	s_and_not1_b32 exec_lo, exec_lo, s17
	s_cbranch_execz .LBB201_28
.LBB201_4:                              ; =>This Inner Loop Header: Depth=1
	v_add_co_u32 v1, vcc_lo, s3, v5
	v_add_co_ci_u32_e32 v2, vcc_lo, s14, v6, vcc_lo
	s_mov_b32 s2, 0
	s_mov_b32 s19, exec_lo
                                        ; implicit-def: $sgpr20
	global_load_b32 v9, v[1:2], off
	s_waitcnt vmcnt(0)
	v_and_b32_e32 v2, 0xff, v9
	s_delay_alu instid0(VALU_DEP_1)
	v_cmpx_lt_i16_e32 0x7f, v2
	s_xor_b32 s19, exec_lo, s19
	s_cbranch_execnz .LBB201_19
; %bb.5:                                ;   in Loop: Header=BB201_4 Depth=1
	s_or_saveexec_b32 s19, s19
	v_mov_b32_e32 v1, s20
	s_xor_b32 exec_lo, exec_lo, s19
	s_cbranch_execnz .LBB201_20
.LBB201_6:                              ;   in Loop: Header=BB201_4 Depth=1
	s_or_b32 exec_lo, exec_lo, s19
	s_and_saveexec_b32 s19, s2
	s_cbranch_execz .LBB201_8
.LBB201_7:                              ;   in Loop: Header=BB201_4 Depth=1
	v_bfe_u32 v4, v9, 3, 4
	s_delay_alu instid0(VALU_DEP_1) | instskip(SKIP_1) | instid1(VALU_DEP_1)
	v_cmp_eq_u32_e32 vcc_lo, 0, v4
	v_and_b32_e32 v1, 7, v9
	v_clz_i32_u32_e32 v2, v1
	s_delay_alu instid0(VALU_DEP_1) | instskip(NEXT) | instid1(VALU_DEP_1)
	v_min_u32_e32 v2, 32, v2
	v_subrev_nc_u32_e32 v3, 28, v2
	v_sub_nc_u32_e32 v2, 29, v2
	s_delay_alu instid0(VALU_DEP_1) | instskip(NEXT) | instid1(VALU_DEP_1)
	v_dual_cndmask_b32 v2, v4, v2 :: v_dual_lshlrev_b32 v3, v3, v9
	v_and_b32_e32 v3, 7, v3
	v_lshlrev_b32_e32 v10, 24, v9
	s_delay_alu instid0(VALU_DEP_3) | instskip(NEXT) | instid1(VALU_DEP_3)
	v_lshl_add_u32 v2, v2, 23, 0x3b800000
	v_cndmask_b32_e32 v1, v1, v3, vcc_lo
	s_delay_alu instid0(VALU_DEP_3) | instskip(NEXT) | instid1(VALU_DEP_2)
	v_and_b32_e32 v3, 0x80000000, v10
	v_lshlrev_b32_e32 v1, 20, v1
	s_delay_alu instid0(VALU_DEP_1) | instskip(NEXT) | instid1(VALU_DEP_1)
	v_or3_b32 v1, v3, v2, v1
	v_cvt_i32_f32_e32 v1, v1
.LBB201_8:                              ;   in Loop: Header=BB201_4 Depth=1
	s_or_b32 exec_lo, exec_lo, s19
	v_lshrrev_b32_e32 v3, 8, v9
	s_mov_b32 s2, 0
	s_mov_b32 s19, exec_lo
                                        ; implicit-def: $sgpr20
	s_delay_alu instid0(VALU_DEP_1) | instskip(NEXT) | instid1(VALU_DEP_1)
	v_and_b32_e32 v4, 0xff, v3
	v_cmpx_lt_i16_e32 0x7f, v4
	s_xor_b32 s19, exec_lo, s19
	s_cbranch_execnz .LBB201_21
; %bb.9:                                ;   in Loop: Header=BB201_4 Depth=1
	s_or_saveexec_b32 s19, s19
	v_mov_b32_e32 v2, s20
	s_xor_b32 exec_lo, exec_lo, s19
	s_cbranch_execnz .LBB201_22
.LBB201_10:                             ;   in Loop: Header=BB201_4 Depth=1
	s_or_b32 exec_lo, exec_lo, s19
	s_and_saveexec_b32 s19, s2
	s_cbranch_execz .LBB201_12
.LBB201_11:                             ;   in Loop: Header=BB201_4 Depth=1
	v_bfe_u32 v2, v9, 8, 3
	v_bfe_u32 v11, v9, 11, 4
	s_delay_alu instid0(VALU_DEP_2) | instskip(NEXT) | instid1(VALU_DEP_2)
	v_clz_i32_u32_e32 v4, v2
	v_cmp_eq_u32_e32 vcc_lo, 0, v11
	s_delay_alu instid0(VALU_DEP_2) | instskip(NEXT) | instid1(VALU_DEP_1)
	v_min_u32_e32 v4, 32, v4
	v_subrev_nc_u32_e32 v10, 28, v4
	v_sub_nc_u32_e32 v4, 29, v4
	s_delay_alu instid0(VALU_DEP_2) | instskip(NEXT) | instid1(VALU_DEP_2)
	v_lshlrev_b32_e32 v10, v10, v3
	v_dual_cndmask_b32 v4, v11, v4 :: v_dual_lshlrev_b32 v3, 24, v3
	s_delay_alu instid0(VALU_DEP_2) | instskip(NEXT) | instid1(VALU_DEP_2)
	v_and_b32_e32 v10, 7, v10
	v_and_b32_e32 v3, 0x80000000, v3
	s_delay_alu instid0(VALU_DEP_3) | instskip(NEXT) | instid1(VALU_DEP_3)
	v_lshl_add_u32 v4, v4, 23, 0x3b800000
	v_cndmask_b32_e32 v2, v2, v10, vcc_lo
	s_delay_alu instid0(VALU_DEP_1) | instskip(NEXT) | instid1(VALU_DEP_1)
	v_lshlrev_b32_e32 v2, 20, v2
	v_or3_b32 v2, v3, v4, v2
	s_delay_alu instid0(VALU_DEP_1)
	v_cvt_i32_f32_e32 v2, v2
.LBB201_12:                             ;   in Loop: Header=BB201_4 Depth=1
	s_or_b32 exec_lo, exec_lo, s19
	v_lshrrev_b32_e32 v4, 16, v9
	s_mov_b32 s2, 0
	s_mov_b32 s19, exec_lo
                                        ; implicit-def: $sgpr20
	s_delay_alu instid0(VALU_DEP_1) | instskip(NEXT) | instid1(VALU_DEP_1)
	v_and_b32_e32 v10, 0xff, v4
	v_cmpx_lt_i16_e32 0x7f, v10
	s_xor_b32 s19, exec_lo, s19
	s_cbranch_execnz .LBB201_23
; %bb.13:                               ;   in Loop: Header=BB201_4 Depth=1
	s_or_saveexec_b32 s19, s19
	v_mov_b32_e32 v3, s20
	s_xor_b32 exec_lo, exec_lo, s19
	s_cbranch_execnz .LBB201_24
.LBB201_14:                             ;   in Loop: Header=BB201_4 Depth=1
	s_or_b32 exec_lo, exec_lo, s19
	s_and_saveexec_b32 s19, s2
	s_cbranch_execz .LBB201_16
.LBB201_15:                             ;   in Loop: Header=BB201_4 Depth=1
	v_bfe_u32 v3, v9, 16, 3
	v_bfe_u32 v12, v9, 19, 4
	s_delay_alu instid0(VALU_DEP_2) | instskip(NEXT) | instid1(VALU_DEP_2)
	v_clz_i32_u32_e32 v10, v3
	v_cmp_eq_u32_e32 vcc_lo, 0, v12
	s_delay_alu instid0(VALU_DEP_2) | instskip(NEXT) | instid1(VALU_DEP_1)
	v_min_u32_e32 v10, 32, v10
	v_subrev_nc_u32_e32 v11, 28, v10
	v_sub_nc_u32_e32 v10, 29, v10
	s_delay_alu instid0(VALU_DEP_1) | instskip(NEXT) | instid1(VALU_DEP_1)
	v_dual_cndmask_b32 v10, v12, v10 :: v_dual_lshlrev_b32 v11, v11, v4
	v_and_b32_e32 v11, 7, v11
	v_lshlrev_b32_e32 v4, 24, v4
	s_delay_alu instid0(VALU_DEP_3) | instskip(NEXT) | instid1(VALU_DEP_2)
	v_lshl_add_u32 v10, v10, 23, 0x3b800000
	v_dual_cndmask_b32 v3, v3, v11 :: v_dual_and_b32 v4, 0x80000000, v4
	s_delay_alu instid0(VALU_DEP_1) | instskip(NEXT) | instid1(VALU_DEP_1)
	v_lshlrev_b32_e32 v3, 20, v3
	v_or3_b32 v3, v4, v10, v3
	s_delay_alu instid0(VALU_DEP_1)
	v_cvt_i32_f32_e32 v3, v3
.LBB201_16:                             ;   in Loop: Header=BB201_4 Depth=1
	s_or_b32 exec_lo, exec_lo, s19
	v_lshrrev_b32_e32 v10, 24, v9
	s_mov_b32 s2, 0
	s_mov_b32 s19, exec_lo
                                        ; implicit-def: $sgpr20
	s_delay_alu instid0(VALU_DEP_1)
	v_cmpx_lt_i16_e32 0x7f, v10
	s_xor_b32 s19, exec_lo, s19
	s_cbranch_execnz .LBB201_25
; %bb.17:                               ;   in Loop: Header=BB201_4 Depth=1
	s_or_saveexec_b32 s19, s19
	v_mov_b32_e32 v4, s20
	s_xor_b32 exec_lo, exec_lo, s19
	s_cbranch_execnz .LBB201_26
.LBB201_18:                             ;   in Loop: Header=BB201_4 Depth=1
	s_or_b32 exec_lo, exec_lo, s19
	s_and_saveexec_b32 s19, s2
	s_cbranch_execz .LBB201_3
	s_branch .LBB201_27
.LBB201_19:                             ;   in Loop: Header=BB201_4 Depth=1
	v_cmp_ne_u16_e32 vcc_lo, 0x80, v2
	s_mov_b32 s20, 0
                                        ; implicit-def: $vgpr2
	s_and_b32 s2, vcc_lo, exec_lo
	s_or_saveexec_b32 s19, s19
	v_mov_b32_e32 v1, s20
	s_xor_b32 exec_lo, exec_lo, s19
	s_cbranch_execz .LBB201_6
.LBB201_20:                             ;   in Loop: Header=BB201_4 Depth=1
	v_cmp_ne_u16_e32 vcc_lo, 0, v2
	v_mov_b32_e32 v1, 0
	s_and_not1_b32 s2, s2, exec_lo
	s_and_b32 s20, vcc_lo, exec_lo
	s_delay_alu instid0(SALU_CYCLE_1)
	s_or_b32 s2, s2, s20
	s_or_b32 exec_lo, exec_lo, s19
	s_and_saveexec_b32 s19, s2
	s_cbranch_execnz .LBB201_7
	s_branch .LBB201_8
.LBB201_21:                             ;   in Loop: Header=BB201_4 Depth=1
	v_cmp_ne_u16_e32 vcc_lo, 0x80, v4
	s_mov_b32 s20, 0
                                        ; implicit-def: $vgpr4
	s_and_b32 s2, vcc_lo, exec_lo
	s_or_saveexec_b32 s19, s19
	v_mov_b32_e32 v2, s20
	s_xor_b32 exec_lo, exec_lo, s19
	s_cbranch_execz .LBB201_10
.LBB201_22:                             ;   in Loop: Header=BB201_4 Depth=1
	v_cmp_ne_u16_e32 vcc_lo, 0, v4
	v_mov_b32_e32 v2, 0
	s_and_not1_b32 s2, s2, exec_lo
	s_and_b32 s20, vcc_lo, exec_lo
	s_delay_alu instid0(SALU_CYCLE_1)
	s_or_b32 s2, s2, s20
	s_or_b32 exec_lo, exec_lo, s19
	s_and_saveexec_b32 s19, s2
	s_cbranch_execnz .LBB201_11
	s_branch .LBB201_12
.LBB201_23:                             ;   in Loop: Header=BB201_4 Depth=1
	v_cmp_ne_u16_e32 vcc_lo, 0x80, v10
	s_mov_b32 s20, 0
                                        ; implicit-def: $vgpr10
	s_and_b32 s2, vcc_lo, exec_lo
	s_or_saveexec_b32 s19, s19
	v_mov_b32_e32 v3, s20
	s_xor_b32 exec_lo, exec_lo, s19
	s_cbranch_execz .LBB201_14
.LBB201_24:                             ;   in Loop: Header=BB201_4 Depth=1
	v_cmp_ne_u16_e32 vcc_lo, 0, v10
	v_mov_b32_e32 v3, 0
	s_and_not1_b32 s2, s2, exec_lo
	s_and_b32 s20, vcc_lo, exec_lo
	s_delay_alu instid0(SALU_CYCLE_1)
	s_or_b32 s2, s2, s20
	s_or_b32 exec_lo, exec_lo, s19
	s_and_saveexec_b32 s19, s2
	s_cbranch_execnz .LBB201_15
	s_branch .LBB201_16
.LBB201_25:                             ;   in Loop: Header=BB201_4 Depth=1
	v_cmp_ne_u16_e32 vcc_lo, 0x80, v10
	s_mov_b32 s20, 0
	s_and_b32 s2, vcc_lo, exec_lo
	s_or_saveexec_b32 s19, s19
	v_mov_b32_e32 v4, s20
	s_xor_b32 exec_lo, exec_lo, s19
	s_cbranch_execz .LBB201_18
.LBB201_26:                             ;   in Loop: Header=BB201_4 Depth=1
	v_cmp_ne_u16_e32 vcc_lo, 0, v10
	v_mov_b32_e32 v4, 0
	s_and_not1_b32 s2, s2, exec_lo
	s_and_b32 s20, vcc_lo, exec_lo
	s_delay_alu instid0(SALU_CYCLE_1)
	s_or_b32 s2, s2, s20
	s_or_b32 exec_lo, exec_lo, s19
	s_and_saveexec_b32 s19, s2
	s_cbranch_execz .LBB201_3
.LBB201_27:                             ;   in Loop: Header=BB201_4 Depth=1
	v_bfe_u32 v4, v9, 24, 3
	s_delay_alu instid0(VALU_DEP_1) | instskip(NEXT) | instid1(VALU_DEP_1)
	v_clz_i32_u32_e32 v11, v4
	v_min_u32_e32 v11, 32, v11
	s_delay_alu instid0(VALU_DEP_1) | instskip(SKIP_1) | instid1(VALU_DEP_2)
	v_subrev_nc_u32_e32 v12, 28, v11
	v_sub_nc_u32_e32 v11, 29, v11
	v_lshlrev_b32_e32 v10, v12, v10
	v_bfe_u32 v12, v9, 27, 4
	v_and_b32_e32 v9, 0x80000000, v9
	s_delay_alu instid0(VALU_DEP_2) | instskip(NEXT) | instid1(VALU_DEP_4)
	v_cmp_eq_u32_e32 vcc_lo, 0, v12
	v_dual_cndmask_b32 v11, v12, v11 :: v_dual_and_b32 v10, 7, v10
	s_delay_alu instid0(VALU_DEP_1) | instskip(NEXT) | instid1(VALU_DEP_2)
	v_cndmask_b32_e32 v4, v4, v10, vcc_lo
	v_lshl_add_u32 v10, v11, 23, 0x3b800000
	s_delay_alu instid0(VALU_DEP_2) | instskip(NEXT) | instid1(VALU_DEP_1)
	v_lshlrev_b32_e32 v4, 20, v4
	v_or3_b32 v4, v9, v10, v4
	s_delay_alu instid0(VALU_DEP_1)
	v_cvt_i32_f32_e32 v4, v4
	s_branch .LBB201_3
.LBB201_28:
	s_or_b32 exec_lo, exec_lo, s15
	s_mov_b32 s2, 0
.LBB201_29:
	s_delay_alu instid0(SALU_CYCLE_1)
	s_and_not1_b32 vcc_lo, exec_lo, s2
	s_cbranch_vccnz .LBB201_73
; %bb.30:
	v_cmp_lt_i64_e64 s2, s[4:5], 1
	s_delay_alu instid0(VALU_DEP_1)
	s_and_b32 vcc_lo, exec_lo, s2
	s_cbranch_vccnz .LBB201_73
; %bb.31:
	s_load_b32 s0, s[0:1], 0xc5c
	v_cmp_gt_u64_e64 s1, 0x10000, s[4:5]
	v_add_co_u32 v3, s2, s8, v0
	v_lshlrev_b32_e32 v1, 2, v0
	v_add_co_ci_u32_e64 v4, null, s9, 0, s2
	s_delay_alu instid0(VALU_DEP_3) | instskip(NEXT) | instid1(VALU_DEP_2)
	v_add_co_u32 v13, vcc_lo, s6, v3
                                        ; implicit-def: $vgpr27
                                        ; implicit-def: $vgpr28
                                        ; implicit-def: $vgpr29
                                        ; implicit-def: $vgpr30
	v_add_co_ci_u32_e32 v14, vcc_lo, s7, v4, vcc_lo
	s_waitcnt lgkmcnt(0)
	s_and_b32 s0, s0, 0xffff
	s_and_b32 s1, s1, exec_lo
	s_cselect_b32 s3, s5, 0
	s_cselect_b32 s2, s4, 0x10000
	s_lshl_b64 s[10:11], s[10:11], 18
	s_lshl_b32 s14, s0, 1
	s_lshl_b32 s1, s0, 2
	s_add_u32 s12, s12, s10
	s_mul_i32 s15, s0, 3
	s_addc_u32 s11, s13, s11
	s_lshl_b32 s10, s0, 4
	v_add_co_u32 v1, s16, s12, v1
	s_add_u32 s13, s8, s15
	v_add_co_ci_u32_e64 v2, null, s11, 0, s16
	s_addc_u32 s16, s9, 0
	s_add_u32 s13, s6, s13
	s_addc_u32 s16, s7, s16
	s_add_u32 s8, s8, s14
	;; [unrolled: 2-line block ×3, first 2 shown]
	s_addc_u32 s9, s7, s9
	v_add_co_u32 v19, s8, s8, v0
	s_delay_alu instid0(VALU_DEP_1) | instskip(SKIP_1) | instid1(VALU_DEP_1)
	v_add_co_ci_u32_e64 v20, null, s9, 0, s8
	v_add_co_u32 v21, s9, s14, v0
	v_add_co_ci_u32_e64 v22, null, 0, 0, s9
	v_add_co_u32 v23, s9, v0, s0
	s_lshl_b32 s8, s0, 3
	v_add_co_u32 v15, s13, s13, v0
	s_delay_alu instid0(VALU_DEP_2)
	v_lshlrev_b32_e32 v5, 2, v23
	s_add_u32 s6, s6, s0
	v_add_co_ci_u32_e64 v16, null, s16, 0, s13
	v_add_co_u32 v17, s13, s15, v0
	s_addc_u32 s7, s7, 0
	v_add_co_u32 v25, vcc_lo, s6, v3
	v_add_co_u32 v3, s6, s12, v5
	v_add_co_ci_u32_e64 v18, null, 0, 0, s13
	v_add_co_ci_u32_e64 v24, null, 0, 0, s9
	v_add_co_ci_u32_e32 v26, vcc_lo, s7, v4, vcc_lo
	v_add_co_ci_u32_e64 v4, null, s11, 0, s6
	s_mul_i32 s9, s0, 12
	s_mov_b64 s[6:7], 0
	s_branch .LBB201_33
.LBB201_32:                             ;   in Loop: Header=BB201_33 Depth=1
	s_or_b32 exec_lo, exec_lo, s0
	s_add_u32 s6, s6, s1
	s_addc_u32 s7, s7, 0
	v_add_co_u32 v1, vcc_lo, v1, s10
	v_cmp_ge_i64_e64 s0, s[6:7], s[4:5]
	v_cmp_lt_u64_e64 s11, 0xffff, s[6:7]
	v_add_co_ci_u32_e32 v2, vcc_lo, 0, v2, vcc_lo
	v_add_co_u32 v3, vcc_lo, v3, s10
	v_add_co_ci_u32_e32 v4, vcc_lo, 0, v4, vcc_lo
	s_delay_alu instid0(VALU_DEP_4) | instskip(NEXT) | instid1(SALU_CYCLE_1)
	s_or_b32 s0, s0, s11
	s_and_b32 vcc_lo, exec_lo, s0
	s_cbranch_vccnz .LBB201_73
.LBB201_33:                             ; =>This Inner Loop Header: Depth=1
	v_add_co_u32 v5, s0, v0, s6
	s_delay_alu instid0(VALU_DEP_1) | instskip(NEXT) | instid1(VALU_DEP_1)
	v_add_co_ci_u32_e64 v6, null, 0, s7, s0
	v_cmp_gt_i64_e32 vcc_lo, s[4:5], v[5:6]
	v_cmp_gt_u64_e64 s0, 0x10000, v[5:6]
	s_delay_alu instid0(VALU_DEP_1) | instskip(NEXT) | instid1(SALU_CYCLE_1)
	s_and_b32 s11, vcc_lo, s0
	s_and_saveexec_b32 s0, s11
	s_cbranch_execz .LBB201_35
; %bb.34:                               ;   in Loop: Header=BB201_33 Depth=1
	v_add_co_u32 v7, vcc_lo, v13, s6
	v_add_co_ci_u32_e32 v8, vcc_lo, s7, v14, vcc_lo
	global_load_u8 v30, v[7:8], off
.LBB201_35:                             ;   in Loop: Header=BB201_33 Depth=1
	s_or_b32 exec_lo, exec_lo, s0
	v_add_co_u32 v7, vcc_lo, v23, s6
	v_add_co_ci_u32_e32 v8, vcc_lo, s7, v24, vcc_lo
	s_delay_alu instid0(VALU_DEP_1) | instskip(SKIP_1) | instid1(VALU_DEP_1)
	v_cmp_gt_i64_e32 vcc_lo, s[4:5], v[7:8]
	v_cmp_gt_u64_e64 s0, 0x10000, v[7:8]
	s_and_b32 s11, vcc_lo, s0
	s_delay_alu instid0(SALU_CYCLE_1)
	s_and_saveexec_b32 s0, s11
	s_cbranch_execz .LBB201_37
; %bb.36:                               ;   in Loop: Header=BB201_33 Depth=1
	v_add_co_u32 v9, vcc_lo, v25, s6
	v_add_co_ci_u32_e32 v10, vcc_lo, s7, v26, vcc_lo
	global_load_u8 v29, v[9:10], off
.LBB201_37:                             ;   in Loop: Header=BB201_33 Depth=1
	s_or_b32 exec_lo, exec_lo, s0
	v_add_co_u32 v9, vcc_lo, v21, s6
	v_add_co_ci_u32_e32 v10, vcc_lo, s7, v22, vcc_lo
	s_delay_alu instid0(VALU_DEP_1) | instskip(SKIP_1) | instid1(VALU_DEP_1)
	v_cmp_gt_i64_e32 vcc_lo, s[4:5], v[9:10]
	v_cmp_gt_u64_e64 s0, 0x10000, v[9:10]
	s_and_b32 s11, vcc_lo, s0
	s_delay_alu instid0(SALU_CYCLE_1)
	;; [unrolled: 15-line block ×3, first 2 shown]
	s_and_saveexec_b32 s0, s11
	s_cbranch_execz .LBB201_41
; %bb.40:                               ;   in Loop: Header=BB201_33 Depth=1
	v_add_co_u32 v31, vcc_lo, v15, s6
	v_add_co_ci_u32_e32 v32, vcc_lo, s7, v16, vcc_lo
	global_load_u8 v27, v[31:32], off
.LBB201_41:                             ;   in Loop: Header=BB201_33 Depth=1
	s_or_b32 exec_lo, exec_lo, s0
	s_waitcnt vmcnt(0)
	v_and_b32_e32 v32, 0xff, v30
	s_mov_b32 s0, 0
	s_mov_b32 s11, exec_lo
                                        ; implicit-def: $sgpr12
	s_delay_alu instid0(VALU_DEP_1)
	v_cmpx_lt_i16_e32 0x7f, v32
	s_xor_b32 s11, exec_lo, s11
	s_cbranch_execnz .LBB201_61
; %bb.42:                               ;   in Loop: Header=BB201_33 Depth=1
	s_or_saveexec_b32 s11, s11
	v_mov_b32_e32 v31, s12
	s_xor_b32 exec_lo, exec_lo, s11
	s_cbranch_execnz .LBB201_62
.LBB201_43:                             ;   in Loop: Header=BB201_33 Depth=1
	s_or_b32 exec_lo, exec_lo, s11
	s_and_saveexec_b32 s11, s0
	s_cbranch_execz .LBB201_45
.LBB201_44:                             ;   in Loop: Header=BB201_33 Depth=1
	v_lshrrev_b16 v34, 3, v30
	v_lshlrev_b32_e32 v35, 24, v30
	s_delay_alu instid0(VALU_DEP_2) | instskip(NEXT) | instid1(VALU_DEP_1)
	v_and_b32_e32 v34, 15, v34
	v_cmp_eq_u32_e32 vcc_lo, 0, v34
	v_and_b32_e32 v31, 7, v30
	s_delay_alu instid0(VALU_DEP_1) | instskip(NEXT) | instid1(VALU_DEP_1)
	v_clz_i32_u32_e32 v32, v31
	v_min_u32_e32 v32, 32, v32
	s_delay_alu instid0(VALU_DEP_1) | instskip(SKIP_1) | instid1(VALU_DEP_1)
	v_subrev_nc_u32_e32 v33, 28, v32
	v_sub_nc_u32_e32 v32, 29, v32
	v_dual_cndmask_b32 v32, v34, v32 :: v_dual_lshlrev_b32 v33, v33, v30
	s_delay_alu instid0(VALU_DEP_1) | instskip(NEXT) | instid1(VALU_DEP_2)
	v_and_b32_e32 v33, 7, v33
	v_lshl_add_u32 v32, v32, 23, 0x3b800000
	s_delay_alu instid0(VALU_DEP_2) | instskip(SKIP_1) | instid1(VALU_DEP_2)
	v_cndmask_b32_e32 v31, v31, v33, vcc_lo
	v_and_b32_e32 v33, 0x80000000, v35
	v_lshlrev_b32_e32 v31, 20, v31
	s_delay_alu instid0(VALU_DEP_1) | instskip(NEXT) | instid1(VALU_DEP_1)
	v_or3_b32 v31, v33, v32, v31
	v_cvt_i32_f32_e32 v31, v31
.LBB201_45:                             ;   in Loop: Header=BB201_33 Depth=1
	s_or_b32 exec_lo, exec_lo, s11
	v_and_b32_e32 v33, 0xff, v29
	s_mov_b32 s0, 0
	s_mov_b32 s11, exec_lo
                                        ; implicit-def: $sgpr12
	s_delay_alu instid0(VALU_DEP_1)
	v_cmpx_lt_i16_e32 0x7f, v33
	s_xor_b32 s11, exec_lo, s11
	s_cbranch_execnz .LBB201_63
; %bb.46:                               ;   in Loop: Header=BB201_33 Depth=1
	s_or_saveexec_b32 s11, s11
	v_mov_b32_e32 v32, s12
	s_xor_b32 exec_lo, exec_lo, s11
	s_cbranch_execnz .LBB201_64
.LBB201_47:                             ;   in Loop: Header=BB201_33 Depth=1
	s_or_b32 exec_lo, exec_lo, s11
	s_and_saveexec_b32 s11, s0
	s_cbranch_execz .LBB201_49
.LBB201_48:                             ;   in Loop: Header=BB201_33 Depth=1
	v_and_b32_e32 v32, 7, v29
	v_lshrrev_b16 v35, 3, v29
	v_lshlrev_b32_e32 v36, 24, v29
	s_delay_alu instid0(VALU_DEP_3) | instskip(NEXT) | instid1(VALU_DEP_1)
	v_clz_i32_u32_e32 v33, v32
	v_min_u32_e32 v33, 32, v33
	s_delay_alu instid0(VALU_DEP_1) | instskip(SKIP_1) | instid1(VALU_DEP_2)
	v_subrev_nc_u32_e32 v34, 28, v33
	v_sub_nc_u32_e32 v33, 29, v33
	v_lshlrev_b32_e32 v34, v34, v29
	s_delay_alu instid0(VALU_DEP_1) | instskip(SKIP_1) | instid1(VALU_DEP_1)
	v_and_b32_e32 v34, 7, v34
	v_and_b32_e32 v35, 15, v35
	v_cmp_eq_u32_e32 vcc_lo, 0, v35
	s_delay_alu instid0(VALU_DEP_3) | instskip(SKIP_1) | instid1(VALU_DEP_2)
	v_dual_cndmask_b32 v32, v32, v34 :: v_dual_cndmask_b32 v33, v35, v33
	v_and_b32_e32 v34, 0x80000000, v36
	v_lshlrev_b32_e32 v32, 20, v32
	s_delay_alu instid0(VALU_DEP_3) | instskip(NEXT) | instid1(VALU_DEP_1)
	v_lshl_add_u32 v33, v33, 23, 0x3b800000
	v_or3_b32 v32, v34, v33, v32
	s_delay_alu instid0(VALU_DEP_1)
	v_cvt_i32_f32_e32 v32, v32
.LBB201_49:                             ;   in Loop: Header=BB201_33 Depth=1
	s_or_b32 exec_lo, exec_lo, s11
	v_and_b32_e32 v34, 0xff, v28
	s_mov_b32 s0, 0
	s_mov_b32 s11, exec_lo
                                        ; implicit-def: $sgpr12
	s_delay_alu instid0(VALU_DEP_1)
	v_cmpx_lt_i16_e32 0x7f, v34
	s_xor_b32 s11, exec_lo, s11
	s_cbranch_execnz .LBB201_65
; %bb.50:                               ;   in Loop: Header=BB201_33 Depth=1
	s_or_saveexec_b32 s11, s11
	v_mov_b32_e32 v33, s12
	s_xor_b32 exec_lo, exec_lo, s11
	s_cbranch_execnz .LBB201_66
.LBB201_51:                             ;   in Loop: Header=BB201_33 Depth=1
	s_or_b32 exec_lo, exec_lo, s11
	s_and_saveexec_b32 s11, s0
	s_cbranch_execz .LBB201_53
.LBB201_52:                             ;   in Loop: Header=BB201_33 Depth=1
	v_lshrrev_b16 v36, 3, v28
	v_lshlrev_b32_e32 v37, 24, v28
	s_delay_alu instid0(VALU_DEP_2) | instskip(NEXT) | instid1(VALU_DEP_1)
	v_and_b32_e32 v36, 15, v36
	v_cmp_eq_u32_e32 vcc_lo, 0, v36
	v_and_b32_e32 v33, 7, v28
	s_delay_alu instid0(VALU_DEP_1) | instskip(NEXT) | instid1(VALU_DEP_1)
	v_clz_i32_u32_e32 v34, v33
	v_min_u32_e32 v34, 32, v34
	s_delay_alu instid0(VALU_DEP_1) | instskip(SKIP_1) | instid1(VALU_DEP_1)
	v_subrev_nc_u32_e32 v35, 28, v34
	v_sub_nc_u32_e32 v34, 29, v34
	v_dual_cndmask_b32 v34, v36, v34 :: v_dual_lshlrev_b32 v35, v35, v28
	s_delay_alu instid0(VALU_DEP_1) | instskip(NEXT) | instid1(VALU_DEP_2)
	v_and_b32_e32 v35, 7, v35
	v_lshl_add_u32 v34, v34, 23, 0x3b800000
	s_delay_alu instid0(VALU_DEP_2) | instskip(SKIP_1) | instid1(VALU_DEP_2)
	v_cndmask_b32_e32 v33, v33, v35, vcc_lo
	v_and_b32_e32 v35, 0x80000000, v37
	v_lshlrev_b32_e32 v33, 20, v33
	s_delay_alu instid0(VALU_DEP_1) | instskip(NEXT) | instid1(VALU_DEP_1)
	v_or3_b32 v33, v35, v34, v33
	v_cvt_i32_f32_e32 v33, v33
.LBB201_53:                             ;   in Loop: Header=BB201_33 Depth=1
	s_or_b32 exec_lo, exec_lo, s11
	v_and_b32_e32 v35, 0xff, v27
	s_mov_b32 s0, 0
	s_mov_b32 s11, exec_lo
                                        ; implicit-def: $sgpr12
	s_delay_alu instid0(VALU_DEP_1)
	v_cmpx_lt_i16_e32 0x7f, v35
	s_xor_b32 s11, exec_lo, s11
	s_cbranch_execnz .LBB201_67
; %bb.54:                               ;   in Loop: Header=BB201_33 Depth=1
	s_or_saveexec_b32 s11, s11
	v_mov_b32_e32 v34, s12
	s_xor_b32 exec_lo, exec_lo, s11
	s_cbranch_execnz .LBB201_68
.LBB201_55:                             ;   in Loop: Header=BB201_33 Depth=1
	s_or_b32 exec_lo, exec_lo, s11
	s_and_saveexec_b32 s11, s0
	s_cbranch_execz .LBB201_57
.LBB201_56:                             ;   in Loop: Header=BB201_33 Depth=1
	v_and_b32_e32 v34, 7, v27
	v_lshrrev_b16 v37, 3, v27
	v_lshlrev_b32_e32 v38, 24, v27
	s_delay_alu instid0(VALU_DEP_3) | instskip(NEXT) | instid1(VALU_DEP_1)
	v_clz_i32_u32_e32 v35, v34
	v_min_u32_e32 v35, 32, v35
	s_delay_alu instid0(VALU_DEP_1) | instskip(SKIP_1) | instid1(VALU_DEP_2)
	v_subrev_nc_u32_e32 v36, 28, v35
	v_sub_nc_u32_e32 v35, 29, v35
	v_lshlrev_b32_e32 v36, v36, v27
	s_delay_alu instid0(VALU_DEP_1) | instskip(SKIP_1) | instid1(VALU_DEP_1)
	v_and_b32_e32 v36, 7, v36
	v_and_b32_e32 v37, 15, v37
	v_cmp_eq_u32_e32 vcc_lo, 0, v37
	s_delay_alu instid0(VALU_DEP_3) | instskip(SKIP_1) | instid1(VALU_DEP_2)
	v_dual_cndmask_b32 v34, v34, v36 :: v_dual_cndmask_b32 v35, v37, v35
	v_and_b32_e32 v36, 0x80000000, v38
	v_lshlrev_b32_e32 v34, 20, v34
	s_delay_alu instid0(VALU_DEP_3) | instskip(NEXT) | instid1(VALU_DEP_1)
	v_lshl_add_u32 v35, v35, 23, 0x3b800000
	v_or3_b32 v34, v36, v35, v34
	s_delay_alu instid0(VALU_DEP_1)
	v_cvt_i32_f32_e32 v34, v34
.LBB201_57:                             ;   in Loop: Header=BB201_33 Depth=1
	s_or_b32 exec_lo, exec_lo, s11
	s_delay_alu instid0(SALU_CYCLE_1)
	s_mov_b32 s0, exec_lo
	v_cmpx_gt_u64_e64 s[2:3], v[5:6]
	s_xor_b32 s0, exec_lo, s0
	s_cbranch_execnz .LBB201_69
; %bb.58:                               ;   in Loop: Header=BB201_33 Depth=1
	s_or_b32 exec_lo, exec_lo, s0
	s_delay_alu instid0(SALU_CYCLE_1)
	s_mov_b32 s0, exec_lo
	v_cmpx_gt_u64_e64 s[2:3], v[7:8]
	s_cbranch_execnz .LBB201_70
.LBB201_59:                             ;   in Loop: Header=BB201_33 Depth=1
	s_or_b32 exec_lo, exec_lo, s0
	s_delay_alu instid0(SALU_CYCLE_1)
	s_mov_b32 s0, exec_lo
	v_cmpx_gt_u64_e64 s[2:3], v[9:10]
	s_cbranch_execnz .LBB201_71
.LBB201_60:                             ;   in Loop: Header=BB201_33 Depth=1
	s_or_b32 exec_lo, exec_lo, s0
	s_delay_alu instid0(SALU_CYCLE_1)
	s_mov_b32 s0, exec_lo
	v_cmpx_gt_u64_e64 s[2:3], v[11:12]
	s_cbranch_execz .LBB201_32
	s_branch .LBB201_72
.LBB201_61:                             ;   in Loop: Header=BB201_33 Depth=1
	v_cmp_ne_u16_e32 vcc_lo, 0x80, v32
	s_mov_b32 s12, 0
                                        ; implicit-def: $vgpr32
	s_and_b32 s0, vcc_lo, exec_lo
	s_or_saveexec_b32 s11, s11
	v_mov_b32_e32 v31, s12
	s_xor_b32 exec_lo, exec_lo, s11
	s_cbranch_execz .LBB201_43
.LBB201_62:                             ;   in Loop: Header=BB201_33 Depth=1
	v_cmp_ne_u16_e32 vcc_lo, 0, v32
	v_mov_b32_e32 v31, 0
	s_and_not1_b32 s0, s0, exec_lo
	s_and_b32 s12, vcc_lo, exec_lo
	s_delay_alu instid0(SALU_CYCLE_1)
	s_or_b32 s0, s0, s12
	s_or_b32 exec_lo, exec_lo, s11
	s_and_saveexec_b32 s11, s0
	s_cbranch_execnz .LBB201_44
	s_branch .LBB201_45
.LBB201_63:                             ;   in Loop: Header=BB201_33 Depth=1
	v_cmp_ne_u16_e32 vcc_lo, 0x80, v33
	s_mov_b32 s12, 0
                                        ; implicit-def: $vgpr33
	s_and_b32 s0, vcc_lo, exec_lo
	s_or_saveexec_b32 s11, s11
	v_mov_b32_e32 v32, s12
	s_xor_b32 exec_lo, exec_lo, s11
	s_cbranch_execz .LBB201_47
.LBB201_64:                             ;   in Loop: Header=BB201_33 Depth=1
	v_cmp_ne_u16_e32 vcc_lo, 0, v33
	v_mov_b32_e32 v32, 0
	s_and_not1_b32 s0, s0, exec_lo
	s_and_b32 s12, vcc_lo, exec_lo
	s_delay_alu instid0(SALU_CYCLE_1)
	s_or_b32 s0, s0, s12
	s_or_b32 exec_lo, exec_lo, s11
	s_and_saveexec_b32 s11, s0
	s_cbranch_execnz .LBB201_48
	s_branch .LBB201_49
.LBB201_65:                             ;   in Loop: Header=BB201_33 Depth=1
	v_cmp_ne_u16_e32 vcc_lo, 0x80, v34
	s_mov_b32 s12, 0
                                        ; implicit-def: $vgpr34
	s_and_b32 s0, vcc_lo, exec_lo
	s_or_saveexec_b32 s11, s11
	v_mov_b32_e32 v33, s12
	s_xor_b32 exec_lo, exec_lo, s11
	s_cbranch_execz .LBB201_51
.LBB201_66:                             ;   in Loop: Header=BB201_33 Depth=1
	v_cmp_ne_u16_e32 vcc_lo, 0, v34
	v_mov_b32_e32 v33, 0
	s_and_not1_b32 s0, s0, exec_lo
	s_and_b32 s12, vcc_lo, exec_lo
	s_delay_alu instid0(SALU_CYCLE_1)
	s_or_b32 s0, s0, s12
	s_or_b32 exec_lo, exec_lo, s11
	s_and_saveexec_b32 s11, s0
	s_cbranch_execnz .LBB201_52
	s_branch .LBB201_53
.LBB201_67:                             ;   in Loop: Header=BB201_33 Depth=1
	v_cmp_ne_u16_e32 vcc_lo, 0x80, v35
	s_mov_b32 s12, 0
                                        ; implicit-def: $vgpr35
	s_and_b32 s0, vcc_lo, exec_lo
	s_or_saveexec_b32 s11, s11
	v_mov_b32_e32 v34, s12
	s_xor_b32 exec_lo, exec_lo, s11
	s_cbranch_execz .LBB201_55
.LBB201_68:                             ;   in Loop: Header=BB201_33 Depth=1
	v_cmp_ne_u16_e32 vcc_lo, 0, v35
	v_mov_b32_e32 v34, 0
	s_and_not1_b32 s0, s0, exec_lo
	s_and_b32 s12, vcc_lo, exec_lo
	s_delay_alu instid0(SALU_CYCLE_1)
	s_or_b32 s0, s0, s12
	s_or_b32 exec_lo, exec_lo, s11
	s_and_saveexec_b32 s11, s0
	s_cbranch_execnz .LBB201_56
	s_branch .LBB201_57
.LBB201_69:                             ;   in Loop: Header=BB201_33 Depth=1
	global_store_b32 v[1:2], v31, off
	s_or_b32 exec_lo, exec_lo, s0
	s_delay_alu instid0(SALU_CYCLE_1)
	s_mov_b32 s0, exec_lo
	v_cmpx_gt_u64_e64 s[2:3], v[7:8]
	s_cbranch_execz .LBB201_59
.LBB201_70:                             ;   in Loop: Header=BB201_33 Depth=1
	global_store_b32 v[3:4], v32, off
	s_or_b32 exec_lo, exec_lo, s0
	s_delay_alu instid0(SALU_CYCLE_1)
	s_mov_b32 s0, exec_lo
	v_cmpx_gt_u64_e64 s[2:3], v[9:10]
	s_cbranch_execz .LBB201_60
.LBB201_71:                             ;   in Loop: Header=BB201_33 Depth=1
	v_add_co_u32 v5, vcc_lo, v1, s8
	v_add_co_ci_u32_e32 v6, vcc_lo, 0, v2, vcc_lo
	global_store_b32 v[5:6], v33, off
	s_or_b32 exec_lo, exec_lo, s0
	s_delay_alu instid0(SALU_CYCLE_1)
	s_mov_b32 s0, exec_lo
	v_cmpx_gt_u64_e64 s[2:3], v[11:12]
	s_cbranch_execz .LBB201_32
.LBB201_72:                             ;   in Loop: Header=BB201_33 Depth=1
	v_add_co_u32 v5, vcc_lo, v1, s9
	v_add_co_ci_u32_e32 v6, vcc_lo, 0, v2, vcc_lo
	global_store_b32 v[5:6], v34, off
	s_branch .LBB201_32
.LBB201_73:
	s_nop 0
	s_sendmsg sendmsg(MSG_DEALLOC_VGPRS)
	s_endpgm
	.section	.rodata,"a",@progbits
	.p2align	6, 0x0
	.amdhsa_kernel _ZN2at6native12_GLOBAL__N_125multi_tensor_apply_kernelINS1_18TensorListMetadataILi2EEENS1_11CopyFunctorIiN3c1015Float8_e4m3fnuzELi2ELi1ELi1EEEJNS0_4CopyIiS7_EEEEEvT_T0_DpT1_
		.amdhsa_group_segment_fixed_size 0
		.amdhsa_private_segment_fixed_size 0
		.amdhsa_kernarg_size 3408
		.amdhsa_user_sgpr_count 15
		.amdhsa_user_sgpr_dispatch_ptr 0
		.amdhsa_user_sgpr_queue_ptr 0
		.amdhsa_user_sgpr_kernarg_segment_ptr 1
		.amdhsa_user_sgpr_dispatch_id 0
		.amdhsa_user_sgpr_private_segment_size 0
		.amdhsa_wavefront_size32 1
		.amdhsa_uses_dynamic_stack 0
		.amdhsa_enable_private_segment 0
		.amdhsa_system_sgpr_workgroup_id_x 1
		.amdhsa_system_sgpr_workgroup_id_y 0
		.amdhsa_system_sgpr_workgroup_id_z 0
		.amdhsa_system_sgpr_workgroup_info 0
		.amdhsa_system_vgpr_workitem_id 0
		.amdhsa_next_free_vgpr 39
		.amdhsa_next_free_sgpr 21
		.amdhsa_reserve_vcc 1
		.amdhsa_float_round_mode_32 0
		.amdhsa_float_round_mode_16_64 0
		.amdhsa_float_denorm_mode_32 3
		.amdhsa_float_denorm_mode_16_64 3
		.amdhsa_dx10_clamp 1
		.amdhsa_ieee_mode 1
		.amdhsa_fp16_overflow 0
		.amdhsa_workgroup_processor_mode 1
		.amdhsa_memory_ordered 1
		.amdhsa_forward_progress 0
		.amdhsa_shared_vgpr_count 0
		.amdhsa_exception_fp_ieee_invalid_op 0
		.amdhsa_exception_fp_denorm_src 0
		.amdhsa_exception_fp_ieee_div_zero 0
		.amdhsa_exception_fp_ieee_overflow 0
		.amdhsa_exception_fp_ieee_underflow 0
		.amdhsa_exception_fp_ieee_inexact 0
		.amdhsa_exception_int_div_zero 0
	.end_amdhsa_kernel
	.section	.text._ZN2at6native12_GLOBAL__N_125multi_tensor_apply_kernelINS1_18TensorListMetadataILi2EEENS1_11CopyFunctorIiN3c1015Float8_e4m3fnuzELi2ELi1ELi1EEEJNS0_4CopyIiS7_EEEEEvT_T0_DpT1_,"axG",@progbits,_ZN2at6native12_GLOBAL__N_125multi_tensor_apply_kernelINS1_18TensorListMetadataILi2EEENS1_11CopyFunctorIiN3c1015Float8_e4m3fnuzELi2ELi1ELi1EEEJNS0_4CopyIiS7_EEEEEvT_T0_DpT1_,comdat
.Lfunc_end201:
	.size	_ZN2at6native12_GLOBAL__N_125multi_tensor_apply_kernelINS1_18TensorListMetadataILi2EEENS1_11CopyFunctorIiN3c1015Float8_e4m3fnuzELi2ELi1ELi1EEEJNS0_4CopyIiS7_EEEEEvT_T0_DpT1_, .Lfunc_end201-_ZN2at6native12_GLOBAL__N_125multi_tensor_apply_kernelINS1_18TensorListMetadataILi2EEENS1_11CopyFunctorIiN3c1015Float8_e4m3fnuzELi2ELi1ELi1EEEJNS0_4CopyIiS7_EEEEEvT_T0_DpT1_
                                        ; -- End function
	.section	.AMDGPU.csdata,"",@progbits
; Kernel info:
; codeLenInByte = 3368
; NumSgprs: 23
; NumVgprs: 39
; ScratchSize: 0
; MemoryBound: 0
; FloatMode: 240
; IeeeMode: 1
; LDSByteSize: 0 bytes/workgroup (compile time only)
; SGPRBlocks: 2
; VGPRBlocks: 4
; NumSGPRsForWavesPerEU: 23
; NumVGPRsForWavesPerEU: 39
; Occupancy: 16
; WaveLimiterHint : 0
; COMPUTE_PGM_RSRC2:SCRATCH_EN: 0
; COMPUTE_PGM_RSRC2:USER_SGPR: 15
; COMPUTE_PGM_RSRC2:TRAP_HANDLER: 0
; COMPUTE_PGM_RSRC2:TGID_X_EN: 1
; COMPUTE_PGM_RSRC2:TGID_Y_EN: 0
; COMPUTE_PGM_RSRC2:TGID_Z_EN: 0
; COMPUTE_PGM_RSRC2:TIDIG_COMP_CNT: 0
	.section	.text._ZN2at6native12_GLOBAL__N_125multi_tensor_apply_kernelINS1_18TensorListMetadataILi2EEENS1_11CopyFunctorIiN3c1011Float8_e5m2ELi2ELi1ELi1EEEJNS0_4CopyIiS7_EEEEEvT_T0_DpT1_,"axG",@progbits,_ZN2at6native12_GLOBAL__N_125multi_tensor_apply_kernelINS1_18TensorListMetadataILi2EEENS1_11CopyFunctorIiN3c1011Float8_e5m2ELi2ELi1ELi1EEEJNS0_4CopyIiS7_EEEEEvT_T0_DpT1_,comdat
	.globl	_ZN2at6native12_GLOBAL__N_125multi_tensor_apply_kernelINS1_18TensorListMetadataILi2EEENS1_11CopyFunctorIiN3c1011Float8_e5m2ELi2ELi1ELi1EEEJNS0_4CopyIiS7_EEEEEvT_T0_DpT1_ ; -- Begin function _ZN2at6native12_GLOBAL__N_125multi_tensor_apply_kernelINS1_18TensorListMetadataILi2EEENS1_11CopyFunctorIiN3c1011Float8_e5m2ELi2ELi1ELi1EEEJNS0_4CopyIiS7_EEEEEvT_T0_DpT1_
	.p2align	8
	.type	_ZN2at6native12_GLOBAL__N_125multi_tensor_apply_kernelINS1_18TensorListMetadataILi2EEENS1_11CopyFunctorIiN3c1011Float8_e5m2ELi2ELi1ELi1EEEJNS0_4CopyIiS7_EEEEEvT_T0_DpT1_,@function
_ZN2at6native12_GLOBAL__N_125multi_tensor_apply_kernelINS1_18TensorListMetadataILi2EEENS1_11CopyFunctorIiN3c1011Float8_e5m2ELi2ELi1ELi1EEEJNS0_4CopyIiS7_EEEEEvT_T0_DpT1_: ; @_ZN2at6native12_GLOBAL__N_125multi_tensor_apply_kernelINS1_18TensorListMetadataILi2EEENS1_11CopyFunctorIiN3c1011Float8_e5m2ELi2ELi1ELi1EEEJNS0_4CopyIiS7_EEEEEvT_T0_DpT1_
; %bb.0:
	v_mov_b32_e32 v1, s15
	s_add_u32 s2, s0, s15
	s_mul_hi_u32 s3, s15, 3
	s_mul_i32 s15, s15, 3
	s_addc_u32 s4, s1, 0
	global_load_u8 v1, v1, s[0:1] offset:1536
	s_add_u32 s2, s2, s15
	s_addc_u32 s3, s4, s3
	s_load_b32 s10, s[2:3], 0x740
	s_waitcnt lgkmcnt(0)
	s_ashr_i32 s11, s10, 31
	s_delay_alu instid0(SALU_CYCLE_1) | instskip(SKIP_2) | instid1(VALU_DEP_1)
	s_lshl_b64 s[8:9], s[10:11], 16
	s_waitcnt vmcnt(0)
	v_readfirstlane_b32 s5, v1
	s_lshl_b32 s2, s5, 3
	s_mov_b32 s5, 0
	s_clause 0x2
	s_load_b64 s[6:7], s[0:1], s2 offset:0x0
	s_load_b64 s[12:13], s[0:1], s2 offset:0x200
	;; [unrolled: 1-line block ×3, first 2 shown]
	s_waitcnt lgkmcnt(0)
	s_add_u32 s14, s6, s8
	s_addc_u32 s15, s7, s9
	s_and_b32 s16, s12, 15
	s_and_b32 s17, s2, 3
	;; [unrolled: 1-line block ×3, first 2 shown]
	s_or_b32 s16, s17, s16
	s_mov_b32 s17, s5
	s_delay_alu instid0(SALU_CYCLE_1)
	s_or_b64 s[16:17], s[4:5], s[16:17]
	s_sub_u32 s4, s2, s8
	s_subb_u32 s5, s3, s9
	s_cmp_eq_u64 s[16:17], 0
	s_mov_b32 s2, -1
	s_cbranch_scc0 .LBB202_5
; %bb.1:
	v_dual_mov_b32 v2, 0 :: v_dual_lshlrev_b32 v1, 2, v0
	s_mov_b32 s16, exec_lo
	s_delay_alu instid0(VALU_DEP_1)
	v_cmpx_gt_i64_e64 s[4:5], v[1:2]
	s_cbranch_execz .LBB202_4
; %bb.2:
	s_load_b32 s17, s[0:1], 0xc5c
	v_lshlrev_b32_e32 v3, 4, v0
	s_lshl_b64 s[2:3], s[10:11], 18
	s_mov_b32 s18, 0
	s_mov_b32 s20, 0xfe00000
	s_waitcnt lgkmcnt(0)
	s_and_b32 s19, s17, 0xffff
	s_delay_alu instid0(SALU_CYCLE_1) | instskip(SKIP_3) | instid1(VALU_DEP_1)
	s_lshl_b32 s17, s19, 2
	s_add_u32 s2, s12, s2
	s_addc_u32 s3, s13, s3
	v_add_co_u32 v3, s2, s2, v3
	v_add_co_ci_u32_e64 v4, null, s3, 0, s2
	s_lshl_b32 s19, s19, 4
.LBB202_3:                              ; =>This Inner Loop Header: Depth=1
	v_add_co_u32 v5, vcc_lo, s14, v1
	v_add_co_ci_u32_e32 v6, vcc_lo, s15, v2, vcc_lo
	v_add_co_u32 v1, vcc_lo, s17, v1
	v_add_co_ci_u32_e32 v2, vcc_lo, 0, v2, vcc_lo
	global_load_b32 v5, v[5:6], off
	v_cmp_le_i64_e32 vcc_lo, s[4:5], v[1:2]
	v_cmp_lt_u64_e64 s2, 0xffff, v[1:2]
	s_delay_alu instid0(VALU_DEP_1) | instskip(NEXT) | instid1(SALU_CYCLE_1)
	s_or_b32 s2, vcc_lo, s2
	s_and_b32 s21, exec_lo, s2
	s_delay_alu instid0(SALU_CYCLE_1)
	s_or_b32 s18, s21, s18
	s_waitcnt vmcnt(0)
	v_lshlrev_b16 v6, 8, v5
	v_and_or_b32 v10, 0x7f00, v5, 0.5
	v_lshlrev_b32_e32 v7, 25, v5
	v_lshrrev_b32_e32 v16, 3, v5
	v_lshrrev_b32_e32 v12, 8, v5
	;; [unrolled: 1-line block ×3, first 2 shown]
	v_add_f32_e32 v10, -0.5, v10
	v_lshrrev_b32_e32 v17, 4, v7
	v_and_or_b32 v18, 0x7f00, v6, 0.5
	v_lshlrev_b32_e32 v9, 13, v5
	v_and_or_b32 v16, v16, s20, 0x70000000
	v_lshlrev_b32_e32 v13, 5, v5
	v_or_b32_e32 v17, 0x70000000, v17
	v_lshlrev_b32_e32 v19, 17, v12
	v_and_or_b32 v12, 0x7f00, v12, 0.5
	v_add_f32_e32 v18, -0.5, v18
	v_and_or_b32 v9, v9, s20, 0x70000000
	v_lshlrev_b32_e32 v20, 17, v15
	v_and_or_b32 v15, 0x7f00, v15, 0.5
	v_lshlrev_b32_e32 v8, 17, v5
	v_mul_f32_e32 v16, 0x7800000, v16
	v_and_or_b32 v13, v13, s20, 0x70000000
	v_dual_add_f32 v12, -0.5, v12 :: v_dual_lshlrev_b32 v11, 16, v5
	v_mul_f32_e32 v9, 0x7800000, v9
	v_add_f32_e32 v15, -0.5, v15
	s_delay_alu instid0(VALU_DEP_4)
	v_mul_f32_e32 v13, 0x7800000, v13
	v_cmp_gt_u32_e64 s3, 0x8000000, v8
	v_mul_f32_e32 v8, 0x7800000, v17
	v_cmp_gt_u32_e32 vcc_lo, 0x8000000, v19
	v_cmp_gt_u32_e64 s2, 0x8000000, v20
	v_bfe_i32 v6, v6, 0, 16
	v_cndmask_b32_e64 v9, v9, v10, s3
	v_cndmask_b32_e32 v10, v13, v12, vcc_lo
	v_cmp_gt_u32_e32 vcc_lo, 0x8000000, v7
	v_lshlrev_b32_e32 v14, 8, v5
	v_cndmask_b32_e64 v12, v16, v15, s2
	v_cndmask_b32_e32 v7, v8, v18, vcc_lo
	v_and_or_b32 v8, 0x80000000, v11, v9
	s_delay_alu instid0(VALU_DEP_4) | instskip(NEXT) | instid1(VALU_DEP_4)
	v_and_or_b32 v9, 0x80000000, v14, v10
	v_and_or_b32 v5, 0x80000000, v5, v12
	s_delay_alu instid0(VALU_DEP_4) | instskip(NEXT) | instid1(VALU_DEP_4)
	v_and_or_b32 v10, 0x80000000, v6, v7
	v_cvt_i32_f32_e32 v6, v8
	s_delay_alu instid0(VALU_DEP_4) | instskip(NEXT) | instid1(VALU_DEP_4)
	v_cvt_i32_f32_e32 v7, v9
	v_cvt_i32_f32_e32 v8, v5
	s_delay_alu instid0(VALU_DEP_4)
	v_cvt_i32_f32_e32 v5, v10
	global_store_b128 v[3:4], v[5:8], off
	v_add_co_u32 v3, vcc_lo, v3, s19
	v_add_co_ci_u32_e32 v4, vcc_lo, 0, v4, vcc_lo
	s_and_not1_b32 exec_lo, exec_lo, s18
	s_cbranch_execnz .LBB202_3
.LBB202_4:
	s_or_b32 exec_lo, exec_lo, s16
	s_mov_b32 s2, 0
.LBB202_5:
	s_delay_alu instid0(SALU_CYCLE_1)
	s_and_not1_b32 vcc_lo, exec_lo, s2
	s_cbranch_vccnz .LBB202_25
; %bb.6:
	v_cmp_lt_i64_e64 s2, s[4:5], 1
	s_delay_alu instid0(VALU_DEP_1)
	s_and_b32 vcc_lo, exec_lo, s2
	s_cbranch_vccnz .LBB202_25
; %bb.7:
	s_load_b32 s0, s[0:1], 0xc5c
	v_cmp_gt_u64_e64 s1, 0x10000, s[4:5]
	v_add_co_u32 v3, s2, s8, v0
	v_lshlrev_b32_e32 v1, 2, v0
	v_add_co_ci_u32_e64 v4, null, s9, 0, s2
	s_delay_alu instid0(VALU_DEP_3) | instskip(NEXT) | instid1(VALU_DEP_2)
	v_add_co_u32 v13, vcc_lo, s6, v3
                                        ; implicit-def: $vgpr27
                                        ; implicit-def: $vgpr28
                                        ; implicit-def: $vgpr29
                                        ; implicit-def: $vgpr30
	v_add_co_ci_u32_e32 v14, vcc_lo, s7, v4, vcc_lo
	s_waitcnt lgkmcnt(0)
	s_and_b32 s0, s0, 0xffff
	s_and_b32 s1, s1, exec_lo
	s_cselect_b32 s3, s5, 0
	s_cselect_b32 s2, s4, 0x10000
	s_lshl_b64 s[10:11], s[10:11], 18
	s_lshl_b32 s14, s0, 1
	s_lshl_b32 s1, s0, 2
	s_add_u32 s12, s12, s10
	s_mul_i32 s15, s0, 3
	s_addc_u32 s11, s13, s11
	s_lshl_b32 s10, s0, 4
	v_add_co_u32 v1, s16, s12, v1
	s_add_u32 s13, s8, s15
	v_add_co_ci_u32_e64 v2, null, s11, 0, s16
	s_addc_u32 s16, s9, 0
	s_add_u32 s13, s6, s13
	s_addc_u32 s16, s7, s16
	s_add_u32 s8, s8, s14
	;; [unrolled: 2-line block ×3, first 2 shown]
	s_addc_u32 s9, s7, s9
	v_add_co_u32 v19, s8, s8, v0
	s_delay_alu instid0(VALU_DEP_1) | instskip(SKIP_1) | instid1(VALU_DEP_1)
	v_add_co_ci_u32_e64 v20, null, s9, 0, s8
	v_add_co_u32 v21, s9, s14, v0
	v_add_co_ci_u32_e64 v22, null, 0, 0, s9
	v_add_co_u32 v23, s9, v0, s0
	s_lshl_b32 s8, s0, 3
	v_add_co_u32 v15, s13, s13, v0
	s_delay_alu instid0(VALU_DEP_2)
	v_lshlrev_b32_e32 v5, 2, v23
	s_add_u32 s6, s6, s0
	v_add_co_ci_u32_e64 v16, null, s16, 0, s13
	v_add_co_u32 v17, s13, s15, v0
	s_addc_u32 s7, s7, 0
	v_add_co_u32 v25, vcc_lo, s6, v3
	v_add_co_u32 v3, s6, s12, v5
	v_add_co_ci_u32_e64 v18, null, 0, 0, s13
	v_add_co_ci_u32_e64 v24, null, 0, 0, s9
	v_add_co_ci_u32_e32 v26, vcc_lo, s7, v4, vcc_lo
	v_add_co_ci_u32_e64 v4, null, s11, 0, s6
	s_mul_i32 s9, s0, 12
	s_mov_b64 s[6:7], 0
	s_branch .LBB202_9
.LBB202_8:                              ;   in Loop: Header=BB202_9 Depth=1
	s_or_b32 exec_lo, exec_lo, s0
	s_add_u32 s6, s6, s1
	s_addc_u32 s7, s7, 0
	v_add_co_u32 v1, vcc_lo, v1, s10
	v_cmp_ge_i64_e64 s0, s[6:7], s[4:5]
	v_cmp_lt_u64_e64 s11, 0xffff, s[6:7]
	v_add_co_ci_u32_e32 v2, vcc_lo, 0, v2, vcc_lo
	v_add_co_u32 v3, vcc_lo, v3, s10
	v_add_co_ci_u32_e32 v4, vcc_lo, 0, v4, vcc_lo
	s_delay_alu instid0(VALU_DEP_4) | instskip(NEXT) | instid1(SALU_CYCLE_1)
	s_or_b32 s0, s0, s11
	s_and_b32 vcc_lo, exec_lo, s0
	s_cbranch_vccnz .LBB202_25
.LBB202_9:                              ; =>This Inner Loop Header: Depth=1
	v_add_co_u32 v11, s0, v0, s6
	s_delay_alu instid0(VALU_DEP_1) | instskip(NEXT) | instid1(VALU_DEP_1)
	v_add_co_ci_u32_e64 v12, null, 0, s7, s0
	v_cmp_gt_i64_e32 vcc_lo, s[4:5], v[11:12]
	v_cmp_gt_u64_e64 s0, 0x10000, v[11:12]
	s_delay_alu instid0(VALU_DEP_1) | instskip(NEXT) | instid1(SALU_CYCLE_1)
	s_and_b32 s11, vcc_lo, s0
	s_and_saveexec_b32 s0, s11
	s_cbranch_execz .LBB202_11
; %bb.10:                               ;   in Loop: Header=BB202_9 Depth=1
	v_add_co_u32 v5, vcc_lo, v13, s6
	v_add_co_ci_u32_e32 v6, vcc_lo, s7, v14, vcc_lo
	global_load_u8 v30, v[5:6], off
.LBB202_11:                             ;   in Loop: Header=BB202_9 Depth=1
	s_or_b32 exec_lo, exec_lo, s0
	v_add_co_u32 v9, vcc_lo, v23, s6
	v_add_co_ci_u32_e32 v10, vcc_lo, s7, v24, vcc_lo
	s_delay_alu instid0(VALU_DEP_1) | instskip(SKIP_1) | instid1(VALU_DEP_1)
	v_cmp_gt_i64_e32 vcc_lo, s[4:5], v[9:10]
	v_cmp_gt_u64_e64 s0, 0x10000, v[9:10]
	s_and_b32 s11, vcc_lo, s0
	s_delay_alu instid0(SALU_CYCLE_1)
	s_and_saveexec_b32 s0, s11
	s_cbranch_execz .LBB202_13
; %bb.12:                               ;   in Loop: Header=BB202_9 Depth=1
	v_add_co_u32 v5, vcc_lo, v25, s6
	v_add_co_ci_u32_e32 v6, vcc_lo, s7, v26, vcc_lo
	global_load_u8 v29, v[5:6], off
.LBB202_13:                             ;   in Loop: Header=BB202_9 Depth=1
	s_or_b32 exec_lo, exec_lo, s0
	v_add_co_u32 v7, vcc_lo, v21, s6
	v_add_co_ci_u32_e32 v8, vcc_lo, s7, v22, vcc_lo
	s_delay_alu instid0(VALU_DEP_1) | instskip(SKIP_1) | instid1(VALU_DEP_1)
	v_cmp_gt_i64_e32 vcc_lo, s[4:5], v[7:8]
	v_cmp_gt_u64_e64 s0, 0x10000, v[7:8]
	s_and_b32 s11, vcc_lo, s0
	s_delay_alu instid0(SALU_CYCLE_1)
	;; [unrolled: 15-line block ×3, first 2 shown]
	s_and_saveexec_b32 s0, s11
	s_cbranch_execnz .LBB202_20
; %bb.16:                               ;   in Loop: Header=BB202_9 Depth=1
	s_or_b32 exec_lo, exec_lo, s0
	s_delay_alu instid0(SALU_CYCLE_1)
	s_mov_b32 s0, exec_lo
	v_cmpx_gt_u64_e64 s[2:3], v[11:12]
	s_cbranch_execnz .LBB202_21
.LBB202_17:                             ;   in Loop: Header=BB202_9 Depth=1
	s_or_b32 exec_lo, exec_lo, s0
	s_delay_alu instid0(SALU_CYCLE_1)
	s_mov_b32 s0, exec_lo
	v_cmpx_gt_u64_e64 s[2:3], v[9:10]
	s_cbranch_execnz .LBB202_22
.LBB202_18:                             ;   in Loop: Header=BB202_9 Depth=1
	s_or_b32 exec_lo, exec_lo, s0
	s_delay_alu instid0(SALU_CYCLE_1)
	s_mov_b32 s0, exec_lo
	v_cmpx_gt_u64_e64 s[2:3], v[7:8]
	s_cbranch_execnz .LBB202_23
.LBB202_19:                             ;   in Loop: Header=BB202_9 Depth=1
	s_or_b32 exec_lo, exec_lo, s0
	s_delay_alu instid0(SALU_CYCLE_1)
	s_mov_b32 s0, exec_lo
	v_cmpx_gt_u64_e64 s[2:3], v[5:6]
	s_cbranch_execz .LBB202_8
	s_branch .LBB202_24
.LBB202_20:                             ;   in Loop: Header=BB202_9 Depth=1
	v_add_co_u32 v31, vcc_lo, v15, s6
	v_add_co_ci_u32_e32 v32, vcc_lo, s7, v16, vcc_lo
	global_load_u8 v27, v[31:32], off
	s_or_b32 exec_lo, exec_lo, s0
	s_delay_alu instid0(SALU_CYCLE_1)
	s_mov_b32 s0, exec_lo
	v_cmpx_gt_u64_e64 s[2:3], v[11:12]
	s_cbranch_execz .LBB202_17
.LBB202_21:                             ;   in Loop: Header=BB202_9 Depth=1
	s_waitcnt vmcnt(0)
	v_lshlrev_b16 v12, 8, v30
	s_delay_alu instid0(VALU_DEP_1) | instskip(SKIP_2) | instid1(VALU_DEP_3)
	v_and_or_b32 v32, 0x7f00, v12, 0.5
	v_lshlrev_b32_e32 v11, 25, v30
	v_bfe_i32 v12, v12, 0, 16
	v_add_f32_e32 v32, -0.5, v32
	s_delay_alu instid0(VALU_DEP_3) | instskip(SKIP_1) | instid1(VALU_DEP_2)
	v_lshrrev_b32_e32 v31, 4, v11
	v_cmp_gt_u32_e32 vcc_lo, 0x8000000, v11
	v_or_b32_e32 v31, 0x70000000, v31
	s_delay_alu instid0(VALU_DEP_1) | instskip(NEXT) | instid1(VALU_DEP_1)
	v_mul_f32_e32 v31, 0x7800000, v31
	v_cndmask_b32_e32 v11, v31, v32, vcc_lo
	s_delay_alu instid0(VALU_DEP_1) | instskip(NEXT) | instid1(VALU_DEP_1)
	v_and_or_b32 v11, 0x80000000, v12, v11
	v_cvt_i32_f32_e32 v11, v11
	global_store_b32 v[1:2], v11, off
	s_or_b32 exec_lo, exec_lo, s0
	s_delay_alu instid0(SALU_CYCLE_1)
	s_mov_b32 s0, exec_lo
	v_cmpx_gt_u64_e64 s[2:3], v[9:10]
	s_cbranch_execz .LBB202_18
.LBB202_22:                             ;   in Loop: Header=BB202_9 Depth=1
	s_waitcnt vmcnt(0)
	v_lshlrev_b16 v10, 8, v29
	s_delay_alu instid0(VALU_DEP_1) | instskip(SKIP_2) | instid1(VALU_DEP_3)
	v_and_or_b32 v12, 0x7f00, v10, 0.5
	v_lshlrev_b32_e32 v9, 25, v29
	v_bfe_i32 v10, v10, 0, 16
	v_add_f32_e32 v12, -0.5, v12
	s_delay_alu instid0(VALU_DEP_3) | instskip(SKIP_1) | instid1(VALU_DEP_2)
	v_lshrrev_b32_e32 v11, 4, v9
	v_cmp_gt_u32_e32 vcc_lo, 0x8000000, v9
	v_or_b32_e32 v11, 0x70000000, v11
	s_delay_alu instid0(VALU_DEP_1) | instskip(NEXT) | instid1(VALU_DEP_1)
	v_mul_f32_e32 v11, 0x7800000, v11
	v_cndmask_b32_e32 v9, v11, v12, vcc_lo
	s_delay_alu instid0(VALU_DEP_1) | instskip(NEXT) | instid1(VALU_DEP_1)
	v_and_or_b32 v9, 0x80000000, v10, v9
	v_cvt_i32_f32_e32 v9, v9
	global_store_b32 v[3:4], v9, off
	s_or_b32 exec_lo, exec_lo, s0
	s_delay_alu instid0(SALU_CYCLE_1)
	s_mov_b32 s0, exec_lo
	v_cmpx_gt_u64_e64 s[2:3], v[7:8]
	s_cbranch_execz .LBB202_19
.LBB202_23:                             ;   in Loop: Header=BB202_9 Depth=1
	s_waitcnt vmcnt(0)
	v_lshlrev_b16 v8, 8, v28
	s_delay_alu instid0(VALU_DEP_1) | instskip(SKIP_2) | instid1(VALU_DEP_3)
	v_and_or_b32 v10, 0x7f00, v8, 0.5
	v_lshlrev_b32_e32 v7, 25, v28
	v_bfe_i32 v8, v8, 0, 16
	v_add_f32_e32 v10, -0.5, v10
	s_delay_alu instid0(VALU_DEP_3) | instskip(SKIP_1) | instid1(VALU_DEP_2)
	v_lshrrev_b32_e32 v9, 4, v7
	v_cmp_gt_u32_e32 vcc_lo, 0x8000000, v7
	v_or_b32_e32 v9, 0x70000000, v9
	s_delay_alu instid0(VALU_DEP_1) | instskip(NEXT) | instid1(VALU_DEP_1)
	v_mul_f32_e32 v9, 0x7800000, v9
	v_cndmask_b32_e32 v7, v9, v10, vcc_lo
	s_delay_alu instid0(VALU_DEP_1) | instskip(NEXT) | instid1(VALU_DEP_1)
	v_and_or_b32 v7, 0x80000000, v8, v7
	v_cvt_i32_f32_e32 v9, v7
	v_add_co_u32 v7, vcc_lo, v1, s8
	v_add_co_ci_u32_e32 v8, vcc_lo, 0, v2, vcc_lo
	global_store_b32 v[7:8], v9, off
	s_or_b32 exec_lo, exec_lo, s0
	s_delay_alu instid0(SALU_CYCLE_1)
	s_mov_b32 s0, exec_lo
	v_cmpx_gt_u64_e64 s[2:3], v[5:6]
	s_cbranch_execz .LBB202_8
.LBB202_24:                             ;   in Loop: Header=BB202_9 Depth=1
	s_waitcnt vmcnt(0)
	v_lshlrev_b16 v6, 8, v27
	s_delay_alu instid0(VALU_DEP_1) | instskip(SKIP_2) | instid1(VALU_DEP_3)
	v_and_or_b32 v8, 0x7f00, v6, 0.5
	v_lshlrev_b32_e32 v5, 25, v27
	v_bfe_i32 v6, v6, 0, 16
	v_add_f32_e32 v8, -0.5, v8
	s_delay_alu instid0(VALU_DEP_3) | instskip(SKIP_1) | instid1(VALU_DEP_2)
	v_lshrrev_b32_e32 v7, 4, v5
	v_cmp_gt_u32_e32 vcc_lo, 0x8000000, v5
	v_or_b32_e32 v7, 0x70000000, v7
	s_delay_alu instid0(VALU_DEP_1) | instskip(NEXT) | instid1(VALU_DEP_1)
	v_mul_f32_e32 v7, 0x7800000, v7
	v_cndmask_b32_e32 v5, v7, v8, vcc_lo
	s_delay_alu instid0(VALU_DEP_1) | instskip(NEXT) | instid1(VALU_DEP_1)
	v_and_or_b32 v5, 0x80000000, v6, v5
	v_cvt_i32_f32_e32 v7, v5
	v_add_co_u32 v5, vcc_lo, v1, s9
	v_add_co_ci_u32_e32 v6, vcc_lo, 0, v2, vcc_lo
	global_store_b32 v[5:6], v7, off
	s_branch .LBB202_8
.LBB202_25:
	s_nop 0
	s_sendmsg sendmsg(MSG_DEALLOC_VGPRS)
	s_endpgm
	.section	.rodata,"a",@progbits
	.p2align	6, 0x0
	.amdhsa_kernel _ZN2at6native12_GLOBAL__N_125multi_tensor_apply_kernelINS1_18TensorListMetadataILi2EEENS1_11CopyFunctorIiN3c1011Float8_e5m2ELi2ELi1ELi1EEEJNS0_4CopyIiS7_EEEEEvT_T0_DpT1_
		.amdhsa_group_segment_fixed_size 0
		.amdhsa_private_segment_fixed_size 0
		.amdhsa_kernarg_size 3408
		.amdhsa_user_sgpr_count 15
		.amdhsa_user_sgpr_dispatch_ptr 0
		.amdhsa_user_sgpr_queue_ptr 0
		.amdhsa_user_sgpr_kernarg_segment_ptr 1
		.amdhsa_user_sgpr_dispatch_id 0
		.amdhsa_user_sgpr_private_segment_size 0
		.amdhsa_wavefront_size32 1
		.amdhsa_uses_dynamic_stack 0
		.amdhsa_enable_private_segment 0
		.amdhsa_system_sgpr_workgroup_id_x 1
		.amdhsa_system_sgpr_workgroup_id_y 0
		.amdhsa_system_sgpr_workgroup_id_z 0
		.amdhsa_system_sgpr_workgroup_info 0
		.amdhsa_system_vgpr_workitem_id 0
		.amdhsa_next_free_vgpr 33
		.amdhsa_next_free_sgpr 22
		.amdhsa_reserve_vcc 1
		.amdhsa_float_round_mode_32 0
		.amdhsa_float_round_mode_16_64 0
		.amdhsa_float_denorm_mode_32 3
		.amdhsa_float_denorm_mode_16_64 3
		.amdhsa_dx10_clamp 1
		.amdhsa_ieee_mode 1
		.amdhsa_fp16_overflow 0
		.amdhsa_workgroup_processor_mode 1
		.amdhsa_memory_ordered 1
		.amdhsa_forward_progress 0
		.amdhsa_shared_vgpr_count 0
		.amdhsa_exception_fp_ieee_invalid_op 0
		.amdhsa_exception_fp_denorm_src 0
		.amdhsa_exception_fp_ieee_div_zero 0
		.amdhsa_exception_fp_ieee_overflow 0
		.amdhsa_exception_fp_ieee_underflow 0
		.amdhsa_exception_fp_ieee_inexact 0
		.amdhsa_exception_int_div_zero 0
	.end_amdhsa_kernel
	.section	.text._ZN2at6native12_GLOBAL__N_125multi_tensor_apply_kernelINS1_18TensorListMetadataILi2EEENS1_11CopyFunctorIiN3c1011Float8_e5m2ELi2ELi1ELi1EEEJNS0_4CopyIiS7_EEEEEvT_T0_DpT1_,"axG",@progbits,_ZN2at6native12_GLOBAL__N_125multi_tensor_apply_kernelINS1_18TensorListMetadataILi2EEENS1_11CopyFunctorIiN3c1011Float8_e5m2ELi2ELi1ELi1EEEJNS0_4CopyIiS7_EEEEEvT_T0_DpT1_,comdat
.Lfunc_end202:
	.size	_ZN2at6native12_GLOBAL__N_125multi_tensor_apply_kernelINS1_18TensorListMetadataILi2EEENS1_11CopyFunctorIiN3c1011Float8_e5m2ELi2ELi1ELi1EEEJNS0_4CopyIiS7_EEEEEvT_T0_DpT1_, .Lfunc_end202-_ZN2at6native12_GLOBAL__N_125multi_tensor_apply_kernelINS1_18TensorListMetadataILi2EEENS1_11CopyFunctorIiN3c1011Float8_e5m2ELi2ELi1ELi1EEEJNS0_4CopyIiS7_EEEEEvT_T0_DpT1_
                                        ; -- End function
	.section	.AMDGPU.csdata,"",@progbits
; Kernel info:
; codeLenInByte = 2108
; NumSgprs: 24
; NumVgprs: 33
; ScratchSize: 0
; MemoryBound: 0
; FloatMode: 240
; IeeeMode: 1
; LDSByteSize: 0 bytes/workgroup (compile time only)
; SGPRBlocks: 2
; VGPRBlocks: 4
; NumSGPRsForWavesPerEU: 24
; NumVGPRsForWavesPerEU: 33
; Occupancy: 16
; WaveLimiterHint : 0
; COMPUTE_PGM_RSRC2:SCRATCH_EN: 0
; COMPUTE_PGM_RSRC2:USER_SGPR: 15
; COMPUTE_PGM_RSRC2:TRAP_HANDLER: 0
; COMPUTE_PGM_RSRC2:TGID_X_EN: 1
; COMPUTE_PGM_RSRC2:TGID_Y_EN: 0
; COMPUTE_PGM_RSRC2:TGID_Z_EN: 0
; COMPUTE_PGM_RSRC2:TIDIG_COMP_CNT: 0
	.section	.text._ZN2at6native12_GLOBAL__N_125multi_tensor_apply_kernelINS1_18TensorListMetadataILi2EEENS1_11CopyFunctorIiN3c1015Float8_e5m2fnuzELi2ELi1ELi1EEEJNS0_4CopyIiS7_EEEEEvT_T0_DpT1_,"axG",@progbits,_ZN2at6native12_GLOBAL__N_125multi_tensor_apply_kernelINS1_18TensorListMetadataILi2EEENS1_11CopyFunctorIiN3c1015Float8_e5m2fnuzELi2ELi1ELi1EEEJNS0_4CopyIiS7_EEEEEvT_T0_DpT1_,comdat
	.globl	_ZN2at6native12_GLOBAL__N_125multi_tensor_apply_kernelINS1_18TensorListMetadataILi2EEENS1_11CopyFunctorIiN3c1015Float8_e5m2fnuzELi2ELi1ELi1EEEJNS0_4CopyIiS7_EEEEEvT_T0_DpT1_ ; -- Begin function _ZN2at6native12_GLOBAL__N_125multi_tensor_apply_kernelINS1_18TensorListMetadataILi2EEENS1_11CopyFunctorIiN3c1015Float8_e5m2fnuzELi2ELi1ELi1EEEJNS0_4CopyIiS7_EEEEEvT_T0_DpT1_
	.p2align	8
	.type	_ZN2at6native12_GLOBAL__N_125multi_tensor_apply_kernelINS1_18TensorListMetadataILi2EEENS1_11CopyFunctorIiN3c1015Float8_e5m2fnuzELi2ELi1ELi1EEEJNS0_4CopyIiS7_EEEEEvT_T0_DpT1_,@function
_ZN2at6native12_GLOBAL__N_125multi_tensor_apply_kernelINS1_18TensorListMetadataILi2EEENS1_11CopyFunctorIiN3c1015Float8_e5m2fnuzELi2ELi1ELi1EEEJNS0_4CopyIiS7_EEEEEvT_T0_DpT1_: ; @_ZN2at6native12_GLOBAL__N_125multi_tensor_apply_kernelINS1_18TensorListMetadataILi2EEENS1_11CopyFunctorIiN3c1015Float8_e5m2fnuzELi2ELi1ELi1EEEJNS0_4CopyIiS7_EEEEEvT_T0_DpT1_
; %bb.0:
	v_mov_b32_e32 v1, s15
	s_add_u32 s2, s0, s15
	s_mul_hi_u32 s3, s15, 3
	s_mul_i32 s15, s15, 3
	s_addc_u32 s4, s1, 0
	global_load_u8 v1, v1, s[0:1] offset:1536
	s_add_u32 s2, s2, s15
	s_addc_u32 s3, s4, s3
	s_mov_b32 s17, 0
	s_load_b32 s10, s[2:3], 0x740
	s_mov_b32 s19, s17
	s_waitcnt lgkmcnt(0)
	s_ashr_i32 s11, s10, 31
	s_delay_alu instid0(SALU_CYCLE_1) | instskip(SKIP_2) | instid1(VALU_DEP_1)
	s_lshl_b64 s[8:9], s[10:11], 16
	s_waitcnt vmcnt(0)
	v_readfirstlane_b32 s5, v1
	s_lshl_b32 s2, s5, 3
	s_clause 0x2
	s_load_b64 s[6:7], s[0:1], s2 offset:0x0
	s_load_b64 s[12:13], s[0:1], s2 offset:0x200
	;; [unrolled: 1-line block ×3, first 2 shown]
	s_waitcnt lgkmcnt(0)
	s_add_u32 s3, s6, s8
	s_addc_u32 s14, s7, s9
	s_and_b32 s2, s12, 15
	s_and_b32 s15, s4, 3
	;; [unrolled: 1-line block ×3, first 2 shown]
	s_or_b32 s18, s15, s2
	s_mov_b32 s2, -1
	s_or_b64 s[16:17], s[16:17], s[18:19]
	s_sub_u32 s4, s4, s8
	s_subb_u32 s5, s5, s9
	s_cmp_eq_u64 s[16:17], 0
	s_cbranch_scc0 .LBB203_29
; %bb.1:
	v_dual_mov_b32 v6, 0 :: v_dual_lshlrev_b32 v5, 2, v0
	s_mov_b32 s15, exec_lo
	s_delay_alu instid0(VALU_DEP_1)
	v_cmpx_gt_i64_e64 s[4:5], v[5:6]
	s_cbranch_execz .LBB203_28
; %bb.2:
	s_load_b32 s2, s[0:1], 0xc5c
	v_lshlrev_b32_e32 v1, 4, v0
	s_lshl_b64 s[18:19], s[10:11], 18
	s_waitcnt lgkmcnt(0)
	s_and_b32 s2, s2, 0xffff
	s_delay_alu instid0(SALU_CYCLE_1) | instskip(SKIP_3) | instid1(VALU_DEP_1)
	s_lshl_b32 s16, s2, 2
	s_add_u32 s17, s12, s18
	s_addc_u32 s18, s13, s19
	v_add_co_u32 v7, s17, s17, v1
	v_add_co_ci_u32_e64 v8, null, s18, 0, s17
	s_mov_b32 s17, 0
	s_lshl_b32 s18, s2, 4
	s_branch .LBB203_4
.LBB203_3:                              ;   in Loop: Header=BB203_4 Depth=1
	s_or_b32 exec_lo, exec_lo, s19
	v_add_co_u32 v5, vcc_lo, s16, v5
	v_add_co_ci_u32_e32 v6, vcc_lo, 0, v6, vcc_lo
	global_store_b128 v[7:8], v[1:4], off
	v_cmp_le_i64_e32 vcc_lo, s[4:5], v[5:6]
	v_cmp_lt_u64_e64 s2, 0xffff, v[5:6]
	s_delay_alu instid0(VALU_DEP_1) | instskip(SKIP_3) | instid1(SALU_CYCLE_1)
	s_or_b32 s2, vcc_lo, s2
	v_add_co_u32 v7, vcc_lo, v7, s18
	v_add_co_ci_u32_e32 v8, vcc_lo, 0, v8, vcc_lo
	s_and_b32 s2, exec_lo, s2
	s_or_b32 s17, s2, s17
	s_delay_alu instid0(SALU_CYCLE_1)
	s_and_not1_b32 exec_lo, exec_lo, s17
	s_cbranch_execz .LBB203_28
.LBB203_4:                              ; =>This Inner Loop Header: Depth=1
	v_add_co_u32 v1, vcc_lo, s3, v5
	v_add_co_ci_u32_e32 v2, vcc_lo, s14, v6, vcc_lo
	s_mov_b32 s2, 0
	s_mov_b32 s19, exec_lo
                                        ; implicit-def: $sgpr20
	global_load_b32 v9, v[1:2], off
	s_waitcnt vmcnt(0)
	v_and_b32_e32 v2, 0xff, v9
	s_delay_alu instid0(VALU_DEP_1)
	v_cmpx_lt_i16_e32 0x7f, v2
	s_xor_b32 s19, exec_lo, s19
	s_cbranch_execnz .LBB203_19
; %bb.5:                                ;   in Loop: Header=BB203_4 Depth=1
	s_or_saveexec_b32 s19, s19
	v_mov_b32_e32 v1, s20
	s_xor_b32 exec_lo, exec_lo, s19
	s_cbranch_execnz .LBB203_20
.LBB203_6:                              ;   in Loop: Header=BB203_4 Depth=1
	s_or_b32 exec_lo, exec_lo, s19
	s_and_saveexec_b32 s19, s2
	s_cbranch_execz .LBB203_8
.LBB203_7:                              ;   in Loop: Header=BB203_4 Depth=1
	v_bfe_u32 v4, v9, 2, 5
	s_delay_alu instid0(VALU_DEP_1) | instskip(SKIP_1) | instid1(VALU_DEP_1)
	v_cmp_eq_u32_e32 vcc_lo, 0, v4
	v_and_b32_e32 v1, 3, v9
	v_clz_i32_u32_e32 v2, v1
	s_delay_alu instid0(VALU_DEP_1) | instskip(NEXT) | instid1(VALU_DEP_1)
	v_min_u32_e32 v2, 32, v2
	v_subrev_nc_u32_e32 v3, 29, v2
	v_sub_nc_u32_e32 v2, 30, v2
	s_delay_alu instid0(VALU_DEP_1) | instskip(NEXT) | instid1(VALU_DEP_1)
	v_dual_cndmask_b32 v2, v4, v2 :: v_dual_lshlrev_b32 v3, v3, v9
	v_and_b32_e32 v3, 3, v3
	v_lshlrev_b32_e32 v10, 24, v9
	s_delay_alu instid0(VALU_DEP_3) | instskip(NEXT) | instid1(VALU_DEP_3)
	v_lshl_add_u32 v2, v2, 23, 0x37800000
	v_cndmask_b32_e32 v1, v1, v3, vcc_lo
	s_delay_alu instid0(VALU_DEP_3) | instskip(NEXT) | instid1(VALU_DEP_2)
	v_and_b32_e32 v3, 0x80000000, v10
	v_lshlrev_b32_e32 v1, 21, v1
	s_delay_alu instid0(VALU_DEP_1) | instskip(NEXT) | instid1(VALU_DEP_1)
	v_or3_b32 v1, v3, v2, v1
	v_cvt_i32_f32_e32 v1, v1
.LBB203_8:                              ;   in Loop: Header=BB203_4 Depth=1
	s_or_b32 exec_lo, exec_lo, s19
	v_lshrrev_b32_e32 v3, 8, v9
	s_mov_b32 s2, 0
	s_mov_b32 s19, exec_lo
                                        ; implicit-def: $sgpr20
	s_delay_alu instid0(VALU_DEP_1) | instskip(NEXT) | instid1(VALU_DEP_1)
	v_and_b32_e32 v4, 0xff, v3
	v_cmpx_lt_i16_e32 0x7f, v4
	s_xor_b32 s19, exec_lo, s19
	s_cbranch_execnz .LBB203_21
; %bb.9:                                ;   in Loop: Header=BB203_4 Depth=1
	s_or_saveexec_b32 s19, s19
	v_mov_b32_e32 v2, s20
	s_xor_b32 exec_lo, exec_lo, s19
	s_cbranch_execnz .LBB203_22
.LBB203_10:                             ;   in Loop: Header=BB203_4 Depth=1
	s_or_b32 exec_lo, exec_lo, s19
	s_and_saveexec_b32 s19, s2
	s_cbranch_execz .LBB203_12
.LBB203_11:                             ;   in Loop: Header=BB203_4 Depth=1
	v_bfe_u32 v2, v9, 8, 2
	v_bfe_u32 v11, v9, 10, 5
	s_delay_alu instid0(VALU_DEP_2) | instskip(NEXT) | instid1(VALU_DEP_2)
	v_clz_i32_u32_e32 v4, v2
	v_cmp_eq_u32_e32 vcc_lo, 0, v11
	s_delay_alu instid0(VALU_DEP_2) | instskip(NEXT) | instid1(VALU_DEP_1)
	v_min_u32_e32 v4, 32, v4
	v_subrev_nc_u32_e32 v10, 29, v4
	v_sub_nc_u32_e32 v4, 30, v4
	s_delay_alu instid0(VALU_DEP_2) | instskip(NEXT) | instid1(VALU_DEP_2)
	v_lshlrev_b32_e32 v10, v10, v3
	v_dual_cndmask_b32 v4, v11, v4 :: v_dual_lshlrev_b32 v3, 24, v3
	s_delay_alu instid0(VALU_DEP_2) | instskip(NEXT) | instid1(VALU_DEP_2)
	v_and_b32_e32 v10, 3, v10
	v_and_b32_e32 v3, 0x80000000, v3
	s_delay_alu instid0(VALU_DEP_3) | instskip(NEXT) | instid1(VALU_DEP_3)
	v_lshl_add_u32 v4, v4, 23, 0x37800000
	v_cndmask_b32_e32 v2, v2, v10, vcc_lo
	s_delay_alu instid0(VALU_DEP_1) | instskip(NEXT) | instid1(VALU_DEP_1)
	v_lshlrev_b32_e32 v2, 21, v2
	v_or3_b32 v2, v3, v4, v2
	s_delay_alu instid0(VALU_DEP_1)
	v_cvt_i32_f32_e32 v2, v2
.LBB203_12:                             ;   in Loop: Header=BB203_4 Depth=1
	s_or_b32 exec_lo, exec_lo, s19
	v_lshrrev_b32_e32 v4, 16, v9
	s_mov_b32 s2, 0
	s_mov_b32 s19, exec_lo
                                        ; implicit-def: $sgpr20
	s_delay_alu instid0(VALU_DEP_1) | instskip(NEXT) | instid1(VALU_DEP_1)
	v_and_b32_e32 v10, 0xff, v4
	v_cmpx_lt_i16_e32 0x7f, v10
	s_xor_b32 s19, exec_lo, s19
	s_cbranch_execnz .LBB203_23
; %bb.13:                               ;   in Loop: Header=BB203_4 Depth=1
	s_or_saveexec_b32 s19, s19
	v_mov_b32_e32 v3, s20
	s_xor_b32 exec_lo, exec_lo, s19
	s_cbranch_execnz .LBB203_24
.LBB203_14:                             ;   in Loop: Header=BB203_4 Depth=1
	s_or_b32 exec_lo, exec_lo, s19
	s_and_saveexec_b32 s19, s2
	s_cbranch_execz .LBB203_16
.LBB203_15:                             ;   in Loop: Header=BB203_4 Depth=1
	v_bfe_u32 v3, v9, 16, 2
	v_bfe_u32 v12, v9, 18, 5
	s_delay_alu instid0(VALU_DEP_2) | instskip(NEXT) | instid1(VALU_DEP_2)
	v_clz_i32_u32_e32 v10, v3
	v_cmp_eq_u32_e32 vcc_lo, 0, v12
	s_delay_alu instid0(VALU_DEP_2) | instskip(NEXT) | instid1(VALU_DEP_1)
	v_min_u32_e32 v10, 32, v10
	v_subrev_nc_u32_e32 v11, 29, v10
	v_sub_nc_u32_e32 v10, 30, v10
	s_delay_alu instid0(VALU_DEP_1) | instskip(NEXT) | instid1(VALU_DEP_1)
	v_dual_cndmask_b32 v10, v12, v10 :: v_dual_lshlrev_b32 v11, v11, v4
	v_and_b32_e32 v11, 3, v11
	v_lshlrev_b32_e32 v4, 24, v4
	s_delay_alu instid0(VALU_DEP_3) | instskip(NEXT) | instid1(VALU_DEP_2)
	v_lshl_add_u32 v10, v10, 23, 0x37800000
	v_dual_cndmask_b32 v3, v3, v11 :: v_dual_and_b32 v4, 0x80000000, v4
	s_delay_alu instid0(VALU_DEP_1) | instskip(NEXT) | instid1(VALU_DEP_1)
	v_lshlrev_b32_e32 v3, 21, v3
	v_or3_b32 v3, v4, v10, v3
	s_delay_alu instid0(VALU_DEP_1)
	v_cvt_i32_f32_e32 v3, v3
.LBB203_16:                             ;   in Loop: Header=BB203_4 Depth=1
	s_or_b32 exec_lo, exec_lo, s19
	v_lshrrev_b32_e32 v10, 24, v9
	s_mov_b32 s2, 0
	s_mov_b32 s19, exec_lo
                                        ; implicit-def: $sgpr20
	s_delay_alu instid0(VALU_DEP_1)
	v_cmpx_lt_i16_e32 0x7f, v10
	s_xor_b32 s19, exec_lo, s19
	s_cbranch_execnz .LBB203_25
; %bb.17:                               ;   in Loop: Header=BB203_4 Depth=1
	s_or_saveexec_b32 s19, s19
	v_mov_b32_e32 v4, s20
	s_xor_b32 exec_lo, exec_lo, s19
	s_cbranch_execnz .LBB203_26
.LBB203_18:                             ;   in Loop: Header=BB203_4 Depth=1
	s_or_b32 exec_lo, exec_lo, s19
	s_and_saveexec_b32 s19, s2
	s_cbranch_execz .LBB203_3
	s_branch .LBB203_27
.LBB203_19:                             ;   in Loop: Header=BB203_4 Depth=1
	v_cmp_ne_u16_e32 vcc_lo, 0x80, v2
	s_mov_b32 s20, 0
                                        ; implicit-def: $vgpr2
	s_and_b32 s2, vcc_lo, exec_lo
	s_or_saveexec_b32 s19, s19
	v_mov_b32_e32 v1, s20
	s_xor_b32 exec_lo, exec_lo, s19
	s_cbranch_execz .LBB203_6
.LBB203_20:                             ;   in Loop: Header=BB203_4 Depth=1
	v_cmp_ne_u16_e32 vcc_lo, 0, v2
	v_mov_b32_e32 v1, 0
	s_and_not1_b32 s2, s2, exec_lo
	s_and_b32 s20, vcc_lo, exec_lo
	s_delay_alu instid0(SALU_CYCLE_1)
	s_or_b32 s2, s2, s20
	s_or_b32 exec_lo, exec_lo, s19
	s_and_saveexec_b32 s19, s2
	s_cbranch_execnz .LBB203_7
	s_branch .LBB203_8
.LBB203_21:                             ;   in Loop: Header=BB203_4 Depth=1
	v_cmp_ne_u16_e32 vcc_lo, 0x80, v4
	s_mov_b32 s20, 0
                                        ; implicit-def: $vgpr4
	s_and_b32 s2, vcc_lo, exec_lo
	s_or_saveexec_b32 s19, s19
	v_mov_b32_e32 v2, s20
	s_xor_b32 exec_lo, exec_lo, s19
	s_cbranch_execz .LBB203_10
.LBB203_22:                             ;   in Loop: Header=BB203_4 Depth=1
	v_cmp_ne_u16_e32 vcc_lo, 0, v4
	v_mov_b32_e32 v2, 0
	s_and_not1_b32 s2, s2, exec_lo
	s_and_b32 s20, vcc_lo, exec_lo
	s_delay_alu instid0(SALU_CYCLE_1)
	s_or_b32 s2, s2, s20
	s_or_b32 exec_lo, exec_lo, s19
	s_and_saveexec_b32 s19, s2
	s_cbranch_execnz .LBB203_11
	s_branch .LBB203_12
.LBB203_23:                             ;   in Loop: Header=BB203_4 Depth=1
	v_cmp_ne_u16_e32 vcc_lo, 0x80, v10
	s_mov_b32 s20, 0
                                        ; implicit-def: $vgpr10
	s_and_b32 s2, vcc_lo, exec_lo
	s_or_saveexec_b32 s19, s19
	v_mov_b32_e32 v3, s20
	s_xor_b32 exec_lo, exec_lo, s19
	s_cbranch_execz .LBB203_14
.LBB203_24:                             ;   in Loop: Header=BB203_4 Depth=1
	v_cmp_ne_u16_e32 vcc_lo, 0, v10
	v_mov_b32_e32 v3, 0
	s_and_not1_b32 s2, s2, exec_lo
	s_and_b32 s20, vcc_lo, exec_lo
	s_delay_alu instid0(SALU_CYCLE_1)
	s_or_b32 s2, s2, s20
	s_or_b32 exec_lo, exec_lo, s19
	s_and_saveexec_b32 s19, s2
	s_cbranch_execnz .LBB203_15
	s_branch .LBB203_16
.LBB203_25:                             ;   in Loop: Header=BB203_4 Depth=1
	v_cmp_ne_u16_e32 vcc_lo, 0x80, v10
	s_mov_b32 s20, 0
	s_and_b32 s2, vcc_lo, exec_lo
	s_or_saveexec_b32 s19, s19
	v_mov_b32_e32 v4, s20
	s_xor_b32 exec_lo, exec_lo, s19
	s_cbranch_execz .LBB203_18
.LBB203_26:                             ;   in Loop: Header=BB203_4 Depth=1
	v_cmp_ne_u16_e32 vcc_lo, 0, v10
	v_mov_b32_e32 v4, 0
	s_and_not1_b32 s2, s2, exec_lo
	s_and_b32 s20, vcc_lo, exec_lo
	s_delay_alu instid0(SALU_CYCLE_1)
	s_or_b32 s2, s2, s20
	s_or_b32 exec_lo, exec_lo, s19
	s_and_saveexec_b32 s19, s2
	s_cbranch_execz .LBB203_3
.LBB203_27:                             ;   in Loop: Header=BB203_4 Depth=1
	v_bfe_u32 v4, v9, 24, 2
	s_delay_alu instid0(VALU_DEP_1) | instskip(NEXT) | instid1(VALU_DEP_1)
	v_clz_i32_u32_e32 v11, v4
	v_min_u32_e32 v11, 32, v11
	s_delay_alu instid0(VALU_DEP_1) | instskip(SKIP_1) | instid1(VALU_DEP_2)
	v_subrev_nc_u32_e32 v12, 29, v11
	v_sub_nc_u32_e32 v11, 30, v11
	v_lshlrev_b32_e32 v10, v12, v10
	v_bfe_u32 v12, v9, 26, 5
	v_and_b32_e32 v9, 0x80000000, v9
	s_delay_alu instid0(VALU_DEP_2) | instskip(NEXT) | instid1(VALU_DEP_4)
	v_cmp_eq_u32_e32 vcc_lo, 0, v12
	v_dual_cndmask_b32 v11, v12, v11 :: v_dual_and_b32 v10, 3, v10
	s_delay_alu instid0(VALU_DEP_1) | instskip(NEXT) | instid1(VALU_DEP_2)
	v_cndmask_b32_e32 v4, v4, v10, vcc_lo
	v_lshl_add_u32 v10, v11, 23, 0x37800000
	s_delay_alu instid0(VALU_DEP_2) | instskip(NEXT) | instid1(VALU_DEP_1)
	v_lshlrev_b32_e32 v4, 21, v4
	v_or3_b32 v4, v9, v10, v4
	s_delay_alu instid0(VALU_DEP_1)
	v_cvt_i32_f32_e32 v4, v4
	s_branch .LBB203_3
.LBB203_28:
	s_or_b32 exec_lo, exec_lo, s15
	s_mov_b32 s2, 0
.LBB203_29:
	s_delay_alu instid0(SALU_CYCLE_1)
	s_and_not1_b32 vcc_lo, exec_lo, s2
	s_cbranch_vccnz .LBB203_73
; %bb.30:
	v_cmp_lt_i64_e64 s2, s[4:5], 1
	s_delay_alu instid0(VALU_DEP_1)
	s_and_b32 vcc_lo, exec_lo, s2
	s_cbranch_vccnz .LBB203_73
; %bb.31:
	s_load_b32 s0, s[0:1], 0xc5c
	v_cmp_gt_u64_e64 s1, 0x10000, s[4:5]
	v_add_co_u32 v3, s2, s8, v0
	v_lshlrev_b32_e32 v1, 2, v0
	v_add_co_ci_u32_e64 v4, null, s9, 0, s2
	s_delay_alu instid0(VALU_DEP_3) | instskip(NEXT) | instid1(VALU_DEP_2)
	v_add_co_u32 v13, vcc_lo, s6, v3
                                        ; implicit-def: $vgpr27
                                        ; implicit-def: $vgpr28
                                        ; implicit-def: $vgpr29
                                        ; implicit-def: $vgpr30
	v_add_co_ci_u32_e32 v14, vcc_lo, s7, v4, vcc_lo
	s_waitcnt lgkmcnt(0)
	s_and_b32 s0, s0, 0xffff
	s_and_b32 s1, s1, exec_lo
	s_cselect_b32 s3, s5, 0
	s_cselect_b32 s2, s4, 0x10000
	s_lshl_b64 s[10:11], s[10:11], 18
	s_lshl_b32 s14, s0, 1
	s_lshl_b32 s1, s0, 2
	s_add_u32 s12, s12, s10
	s_mul_i32 s15, s0, 3
	s_addc_u32 s11, s13, s11
	s_lshl_b32 s10, s0, 4
	v_add_co_u32 v1, s16, s12, v1
	s_add_u32 s13, s8, s15
	v_add_co_ci_u32_e64 v2, null, s11, 0, s16
	s_addc_u32 s16, s9, 0
	s_add_u32 s13, s6, s13
	s_addc_u32 s16, s7, s16
	s_add_u32 s8, s8, s14
	;; [unrolled: 2-line block ×3, first 2 shown]
	s_addc_u32 s9, s7, s9
	v_add_co_u32 v19, s8, s8, v0
	s_delay_alu instid0(VALU_DEP_1) | instskip(SKIP_1) | instid1(VALU_DEP_1)
	v_add_co_ci_u32_e64 v20, null, s9, 0, s8
	v_add_co_u32 v21, s9, s14, v0
	v_add_co_ci_u32_e64 v22, null, 0, 0, s9
	v_add_co_u32 v23, s9, v0, s0
	s_lshl_b32 s8, s0, 3
	v_add_co_u32 v15, s13, s13, v0
	s_delay_alu instid0(VALU_DEP_2)
	v_lshlrev_b32_e32 v5, 2, v23
	s_add_u32 s6, s6, s0
	v_add_co_ci_u32_e64 v16, null, s16, 0, s13
	v_add_co_u32 v17, s13, s15, v0
	s_addc_u32 s7, s7, 0
	v_add_co_u32 v25, vcc_lo, s6, v3
	v_add_co_u32 v3, s6, s12, v5
	v_add_co_ci_u32_e64 v18, null, 0, 0, s13
	v_add_co_ci_u32_e64 v24, null, 0, 0, s9
	v_add_co_ci_u32_e32 v26, vcc_lo, s7, v4, vcc_lo
	v_add_co_ci_u32_e64 v4, null, s11, 0, s6
	s_mul_i32 s9, s0, 12
	s_mov_b64 s[6:7], 0
	s_branch .LBB203_33
.LBB203_32:                             ;   in Loop: Header=BB203_33 Depth=1
	s_or_b32 exec_lo, exec_lo, s0
	s_add_u32 s6, s6, s1
	s_addc_u32 s7, s7, 0
	v_add_co_u32 v1, vcc_lo, v1, s10
	v_cmp_ge_i64_e64 s0, s[6:7], s[4:5]
	v_cmp_lt_u64_e64 s11, 0xffff, s[6:7]
	v_add_co_ci_u32_e32 v2, vcc_lo, 0, v2, vcc_lo
	v_add_co_u32 v3, vcc_lo, v3, s10
	v_add_co_ci_u32_e32 v4, vcc_lo, 0, v4, vcc_lo
	s_delay_alu instid0(VALU_DEP_4) | instskip(NEXT) | instid1(SALU_CYCLE_1)
	s_or_b32 s0, s0, s11
	s_and_b32 vcc_lo, exec_lo, s0
	s_cbranch_vccnz .LBB203_73
.LBB203_33:                             ; =>This Inner Loop Header: Depth=1
	v_add_co_u32 v5, s0, v0, s6
	s_delay_alu instid0(VALU_DEP_1) | instskip(NEXT) | instid1(VALU_DEP_1)
	v_add_co_ci_u32_e64 v6, null, 0, s7, s0
	v_cmp_gt_i64_e32 vcc_lo, s[4:5], v[5:6]
	v_cmp_gt_u64_e64 s0, 0x10000, v[5:6]
	s_delay_alu instid0(VALU_DEP_1) | instskip(NEXT) | instid1(SALU_CYCLE_1)
	s_and_b32 s11, vcc_lo, s0
	s_and_saveexec_b32 s0, s11
	s_cbranch_execz .LBB203_35
; %bb.34:                               ;   in Loop: Header=BB203_33 Depth=1
	v_add_co_u32 v7, vcc_lo, v13, s6
	v_add_co_ci_u32_e32 v8, vcc_lo, s7, v14, vcc_lo
	global_load_u8 v30, v[7:8], off
.LBB203_35:                             ;   in Loop: Header=BB203_33 Depth=1
	s_or_b32 exec_lo, exec_lo, s0
	v_add_co_u32 v7, vcc_lo, v23, s6
	v_add_co_ci_u32_e32 v8, vcc_lo, s7, v24, vcc_lo
	s_delay_alu instid0(VALU_DEP_1) | instskip(SKIP_1) | instid1(VALU_DEP_1)
	v_cmp_gt_i64_e32 vcc_lo, s[4:5], v[7:8]
	v_cmp_gt_u64_e64 s0, 0x10000, v[7:8]
	s_and_b32 s11, vcc_lo, s0
	s_delay_alu instid0(SALU_CYCLE_1)
	s_and_saveexec_b32 s0, s11
	s_cbranch_execz .LBB203_37
; %bb.36:                               ;   in Loop: Header=BB203_33 Depth=1
	v_add_co_u32 v9, vcc_lo, v25, s6
	v_add_co_ci_u32_e32 v10, vcc_lo, s7, v26, vcc_lo
	global_load_u8 v29, v[9:10], off
.LBB203_37:                             ;   in Loop: Header=BB203_33 Depth=1
	s_or_b32 exec_lo, exec_lo, s0
	v_add_co_u32 v9, vcc_lo, v21, s6
	v_add_co_ci_u32_e32 v10, vcc_lo, s7, v22, vcc_lo
	s_delay_alu instid0(VALU_DEP_1) | instskip(SKIP_1) | instid1(VALU_DEP_1)
	v_cmp_gt_i64_e32 vcc_lo, s[4:5], v[9:10]
	v_cmp_gt_u64_e64 s0, 0x10000, v[9:10]
	s_and_b32 s11, vcc_lo, s0
	s_delay_alu instid0(SALU_CYCLE_1)
	;; [unrolled: 15-line block ×3, first 2 shown]
	s_and_saveexec_b32 s0, s11
	s_cbranch_execz .LBB203_41
; %bb.40:                               ;   in Loop: Header=BB203_33 Depth=1
	v_add_co_u32 v31, vcc_lo, v15, s6
	v_add_co_ci_u32_e32 v32, vcc_lo, s7, v16, vcc_lo
	global_load_u8 v27, v[31:32], off
.LBB203_41:                             ;   in Loop: Header=BB203_33 Depth=1
	s_or_b32 exec_lo, exec_lo, s0
	s_waitcnt vmcnt(0)
	v_and_b32_e32 v32, 0xff, v30
	s_mov_b32 s0, 0
	s_mov_b32 s11, exec_lo
                                        ; implicit-def: $sgpr12
	s_delay_alu instid0(VALU_DEP_1)
	v_cmpx_lt_i16_e32 0x7f, v32
	s_xor_b32 s11, exec_lo, s11
	s_cbranch_execnz .LBB203_61
; %bb.42:                               ;   in Loop: Header=BB203_33 Depth=1
	s_or_saveexec_b32 s11, s11
	v_mov_b32_e32 v31, s12
	s_xor_b32 exec_lo, exec_lo, s11
	s_cbranch_execnz .LBB203_62
.LBB203_43:                             ;   in Loop: Header=BB203_33 Depth=1
	s_or_b32 exec_lo, exec_lo, s11
	s_and_saveexec_b32 s11, s0
	s_cbranch_execz .LBB203_45
.LBB203_44:                             ;   in Loop: Header=BB203_33 Depth=1
	v_lshrrev_b16 v34, 2, v30
	v_lshlrev_b32_e32 v35, 24, v30
	s_delay_alu instid0(VALU_DEP_2) | instskip(NEXT) | instid1(VALU_DEP_1)
	v_and_b32_e32 v34, 31, v34
	v_cmp_eq_u32_e32 vcc_lo, 0, v34
	v_and_b32_e32 v31, 3, v30
	s_delay_alu instid0(VALU_DEP_1) | instskip(NEXT) | instid1(VALU_DEP_1)
	v_clz_i32_u32_e32 v32, v31
	v_min_u32_e32 v32, 32, v32
	s_delay_alu instid0(VALU_DEP_1) | instskip(SKIP_1) | instid1(VALU_DEP_1)
	v_subrev_nc_u32_e32 v33, 29, v32
	v_sub_nc_u32_e32 v32, 30, v32
	v_dual_cndmask_b32 v32, v34, v32 :: v_dual_lshlrev_b32 v33, v33, v30
	s_delay_alu instid0(VALU_DEP_1) | instskip(NEXT) | instid1(VALU_DEP_2)
	v_and_b32_e32 v33, 3, v33
	v_lshl_add_u32 v32, v32, 23, 0x37800000
	s_delay_alu instid0(VALU_DEP_2) | instskip(SKIP_1) | instid1(VALU_DEP_2)
	v_cndmask_b32_e32 v31, v31, v33, vcc_lo
	v_and_b32_e32 v33, 0x80000000, v35
	v_lshlrev_b32_e32 v31, 21, v31
	s_delay_alu instid0(VALU_DEP_1) | instskip(NEXT) | instid1(VALU_DEP_1)
	v_or3_b32 v31, v33, v32, v31
	v_cvt_i32_f32_e32 v31, v31
.LBB203_45:                             ;   in Loop: Header=BB203_33 Depth=1
	s_or_b32 exec_lo, exec_lo, s11
	v_and_b32_e32 v33, 0xff, v29
	s_mov_b32 s0, 0
	s_mov_b32 s11, exec_lo
                                        ; implicit-def: $sgpr12
	s_delay_alu instid0(VALU_DEP_1)
	v_cmpx_lt_i16_e32 0x7f, v33
	s_xor_b32 s11, exec_lo, s11
	s_cbranch_execnz .LBB203_63
; %bb.46:                               ;   in Loop: Header=BB203_33 Depth=1
	s_or_saveexec_b32 s11, s11
	v_mov_b32_e32 v32, s12
	s_xor_b32 exec_lo, exec_lo, s11
	s_cbranch_execnz .LBB203_64
.LBB203_47:                             ;   in Loop: Header=BB203_33 Depth=1
	s_or_b32 exec_lo, exec_lo, s11
	s_and_saveexec_b32 s11, s0
	s_cbranch_execz .LBB203_49
.LBB203_48:                             ;   in Loop: Header=BB203_33 Depth=1
	v_and_b32_e32 v32, 3, v29
	v_lshrrev_b16 v35, 2, v29
	v_lshlrev_b32_e32 v36, 24, v29
	s_delay_alu instid0(VALU_DEP_3) | instskip(NEXT) | instid1(VALU_DEP_1)
	v_clz_i32_u32_e32 v33, v32
	v_min_u32_e32 v33, 32, v33
	s_delay_alu instid0(VALU_DEP_1) | instskip(SKIP_1) | instid1(VALU_DEP_2)
	v_subrev_nc_u32_e32 v34, 29, v33
	v_sub_nc_u32_e32 v33, 30, v33
	v_lshlrev_b32_e32 v34, v34, v29
	s_delay_alu instid0(VALU_DEP_1) | instskip(SKIP_1) | instid1(VALU_DEP_1)
	v_and_b32_e32 v34, 3, v34
	v_and_b32_e32 v35, 31, v35
	v_cmp_eq_u32_e32 vcc_lo, 0, v35
	s_delay_alu instid0(VALU_DEP_3) | instskip(SKIP_1) | instid1(VALU_DEP_2)
	v_dual_cndmask_b32 v32, v32, v34 :: v_dual_cndmask_b32 v33, v35, v33
	v_and_b32_e32 v34, 0x80000000, v36
	v_lshlrev_b32_e32 v32, 21, v32
	s_delay_alu instid0(VALU_DEP_3) | instskip(NEXT) | instid1(VALU_DEP_1)
	v_lshl_add_u32 v33, v33, 23, 0x37800000
	v_or3_b32 v32, v34, v33, v32
	s_delay_alu instid0(VALU_DEP_1)
	v_cvt_i32_f32_e32 v32, v32
.LBB203_49:                             ;   in Loop: Header=BB203_33 Depth=1
	s_or_b32 exec_lo, exec_lo, s11
	v_and_b32_e32 v34, 0xff, v28
	s_mov_b32 s0, 0
	s_mov_b32 s11, exec_lo
                                        ; implicit-def: $sgpr12
	s_delay_alu instid0(VALU_DEP_1)
	v_cmpx_lt_i16_e32 0x7f, v34
	s_xor_b32 s11, exec_lo, s11
	s_cbranch_execnz .LBB203_65
; %bb.50:                               ;   in Loop: Header=BB203_33 Depth=1
	s_or_saveexec_b32 s11, s11
	v_mov_b32_e32 v33, s12
	s_xor_b32 exec_lo, exec_lo, s11
	s_cbranch_execnz .LBB203_66
.LBB203_51:                             ;   in Loop: Header=BB203_33 Depth=1
	s_or_b32 exec_lo, exec_lo, s11
	s_and_saveexec_b32 s11, s0
	s_cbranch_execz .LBB203_53
.LBB203_52:                             ;   in Loop: Header=BB203_33 Depth=1
	v_lshrrev_b16 v36, 2, v28
	v_lshlrev_b32_e32 v37, 24, v28
	s_delay_alu instid0(VALU_DEP_2) | instskip(NEXT) | instid1(VALU_DEP_1)
	v_and_b32_e32 v36, 31, v36
	v_cmp_eq_u32_e32 vcc_lo, 0, v36
	v_and_b32_e32 v33, 3, v28
	s_delay_alu instid0(VALU_DEP_1) | instskip(NEXT) | instid1(VALU_DEP_1)
	v_clz_i32_u32_e32 v34, v33
	v_min_u32_e32 v34, 32, v34
	s_delay_alu instid0(VALU_DEP_1) | instskip(SKIP_1) | instid1(VALU_DEP_1)
	v_subrev_nc_u32_e32 v35, 29, v34
	v_sub_nc_u32_e32 v34, 30, v34
	v_dual_cndmask_b32 v34, v36, v34 :: v_dual_lshlrev_b32 v35, v35, v28
	s_delay_alu instid0(VALU_DEP_1) | instskip(NEXT) | instid1(VALU_DEP_2)
	v_and_b32_e32 v35, 3, v35
	v_lshl_add_u32 v34, v34, 23, 0x37800000
	s_delay_alu instid0(VALU_DEP_2) | instskip(SKIP_1) | instid1(VALU_DEP_2)
	v_cndmask_b32_e32 v33, v33, v35, vcc_lo
	v_and_b32_e32 v35, 0x80000000, v37
	v_lshlrev_b32_e32 v33, 21, v33
	s_delay_alu instid0(VALU_DEP_1) | instskip(NEXT) | instid1(VALU_DEP_1)
	v_or3_b32 v33, v35, v34, v33
	v_cvt_i32_f32_e32 v33, v33
.LBB203_53:                             ;   in Loop: Header=BB203_33 Depth=1
	s_or_b32 exec_lo, exec_lo, s11
	v_and_b32_e32 v35, 0xff, v27
	s_mov_b32 s0, 0
	s_mov_b32 s11, exec_lo
                                        ; implicit-def: $sgpr12
	s_delay_alu instid0(VALU_DEP_1)
	v_cmpx_lt_i16_e32 0x7f, v35
	s_xor_b32 s11, exec_lo, s11
	s_cbranch_execnz .LBB203_67
; %bb.54:                               ;   in Loop: Header=BB203_33 Depth=1
	s_or_saveexec_b32 s11, s11
	v_mov_b32_e32 v34, s12
	s_xor_b32 exec_lo, exec_lo, s11
	s_cbranch_execnz .LBB203_68
.LBB203_55:                             ;   in Loop: Header=BB203_33 Depth=1
	s_or_b32 exec_lo, exec_lo, s11
	s_and_saveexec_b32 s11, s0
	s_cbranch_execz .LBB203_57
.LBB203_56:                             ;   in Loop: Header=BB203_33 Depth=1
	v_and_b32_e32 v34, 3, v27
	v_lshrrev_b16 v37, 2, v27
	v_lshlrev_b32_e32 v38, 24, v27
	s_delay_alu instid0(VALU_DEP_3) | instskip(NEXT) | instid1(VALU_DEP_1)
	v_clz_i32_u32_e32 v35, v34
	v_min_u32_e32 v35, 32, v35
	s_delay_alu instid0(VALU_DEP_1) | instskip(SKIP_1) | instid1(VALU_DEP_2)
	v_subrev_nc_u32_e32 v36, 29, v35
	v_sub_nc_u32_e32 v35, 30, v35
	v_lshlrev_b32_e32 v36, v36, v27
	s_delay_alu instid0(VALU_DEP_1) | instskip(SKIP_1) | instid1(VALU_DEP_1)
	v_and_b32_e32 v36, 3, v36
	v_and_b32_e32 v37, 31, v37
	v_cmp_eq_u32_e32 vcc_lo, 0, v37
	s_delay_alu instid0(VALU_DEP_3) | instskip(SKIP_1) | instid1(VALU_DEP_2)
	v_dual_cndmask_b32 v34, v34, v36 :: v_dual_cndmask_b32 v35, v37, v35
	v_and_b32_e32 v36, 0x80000000, v38
	v_lshlrev_b32_e32 v34, 21, v34
	s_delay_alu instid0(VALU_DEP_3) | instskip(NEXT) | instid1(VALU_DEP_1)
	v_lshl_add_u32 v35, v35, 23, 0x37800000
	v_or3_b32 v34, v36, v35, v34
	s_delay_alu instid0(VALU_DEP_1)
	v_cvt_i32_f32_e32 v34, v34
.LBB203_57:                             ;   in Loop: Header=BB203_33 Depth=1
	s_or_b32 exec_lo, exec_lo, s11
	s_delay_alu instid0(SALU_CYCLE_1)
	s_mov_b32 s0, exec_lo
	v_cmpx_gt_u64_e64 s[2:3], v[5:6]
	s_xor_b32 s0, exec_lo, s0
	s_cbranch_execnz .LBB203_69
; %bb.58:                               ;   in Loop: Header=BB203_33 Depth=1
	s_or_b32 exec_lo, exec_lo, s0
	s_delay_alu instid0(SALU_CYCLE_1)
	s_mov_b32 s0, exec_lo
	v_cmpx_gt_u64_e64 s[2:3], v[7:8]
	s_cbranch_execnz .LBB203_70
.LBB203_59:                             ;   in Loop: Header=BB203_33 Depth=1
	s_or_b32 exec_lo, exec_lo, s0
	s_delay_alu instid0(SALU_CYCLE_1)
	s_mov_b32 s0, exec_lo
	v_cmpx_gt_u64_e64 s[2:3], v[9:10]
	s_cbranch_execnz .LBB203_71
.LBB203_60:                             ;   in Loop: Header=BB203_33 Depth=1
	s_or_b32 exec_lo, exec_lo, s0
	s_delay_alu instid0(SALU_CYCLE_1)
	s_mov_b32 s0, exec_lo
	v_cmpx_gt_u64_e64 s[2:3], v[11:12]
	s_cbranch_execz .LBB203_32
	s_branch .LBB203_72
.LBB203_61:                             ;   in Loop: Header=BB203_33 Depth=1
	v_cmp_ne_u16_e32 vcc_lo, 0x80, v32
	s_mov_b32 s12, 0
                                        ; implicit-def: $vgpr32
	s_and_b32 s0, vcc_lo, exec_lo
	s_or_saveexec_b32 s11, s11
	v_mov_b32_e32 v31, s12
	s_xor_b32 exec_lo, exec_lo, s11
	s_cbranch_execz .LBB203_43
.LBB203_62:                             ;   in Loop: Header=BB203_33 Depth=1
	v_cmp_ne_u16_e32 vcc_lo, 0, v32
	v_mov_b32_e32 v31, 0
	s_and_not1_b32 s0, s0, exec_lo
	s_and_b32 s12, vcc_lo, exec_lo
	s_delay_alu instid0(SALU_CYCLE_1)
	s_or_b32 s0, s0, s12
	s_or_b32 exec_lo, exec_lo, s11
	s_and_saveexec_b32 s11, s0
	s_cbranch_execnz .LBB203_44
	s_branch .LBB203_45
.LBB203_63:                             ;   in Loop: Header=BB203_33 Depth=1
	v_cmp_ne_u16_e32 vcc_lo, 0x80, v33
	s_mov_b32 s12, 0
                                        ; implicit-def: $vgpr33
	s_and_b32 s0, vcc_lo, exec_lo
	s_or_saveexec_b32 s11, s11
	v_mov_b32_e32 v32, s12
	s_xor_b32 exec_lo, exec_lo, s11
	s_cbranch_execz .LBB203_47
.LBB203_64:                             ;   in Loop: Header=BB203_33 Depth=1
	v_cmp_ne_u16_e32 vcc_lo, 0, v33
	v_mov_b32_e32 v32, 0
	s_and_not1_b32 s0, s0, exec_lo
	s_and_b32 s12, vcc_lo, exec_lo
	s_delay_alu instid0(SALU_CYCLE_1)
	s_or_b32 s0, s0, s12
	s_or_b32 exec_lo, exec_lo, s11
	s_and_saveexec_b32 s11, s0
	s_cbranch_execnz .LBB203_48
	s_branch .LBB203_49
.LBB203_65:                             ;   in Loop: Header=BB203_33 Depth=1
	v_cmp_ne_u16_e32 vcc_lo, 0x80, v34
	s_mov_b32 s12, 0
                                        ; implicit-def: $vgpr34
	s_and_b32 s0, vcc_lo, exec_lo
	s_or_saveexec_b32 s11, s11
	v_mov_b32_e32 v33, s12
	s_xor_b32 exec_lo, exec_lo, s11
	s_cbranch_execz .LBB203_51
.LBB203_66:                             ;   in Loop: Header=BB203_33 Depth=1
	v_cmp_ne_u16_e32 vcc_lo, 0, v34
	v_mov_b32_e32 v33, 0
	s_and_not1_b32 s0, s0, exec_lo
	s_and_b32 s12, vcc_lo, exec_lo
	s_delay_alu instid0(SALU_CYCLE_1)
	s_or_b32 s0, s0, s12
	s_or_b32 exec_lo, exec_lo, s11
	s_and_saveexec_b32 s11, s0
	s_cbranch_execnz .LBB203_52
	s_branch .LBB203_53
.LBB203_67:                             ;   in Loop: Header=BB203_33 Depth=1
	v_cmp_ne_u16_e32 vcc_lo, 0x80, v35
	s_mov_b32 s12, 0
                                        ; implicit-def: $vgpr35
	s_and_b32 s0, vcc_lo, exec_lo
	s_or_saveexec_b32 s11, s11
	v_mov_b32_e32 v34, s12
	s_xor_b32 exec_lo, exec_lo, s11
	s_cbranch_execz .LBB203_55
.LBB203_68:                             ;   in Loop: Header=BB203_33 Depth=1
	v_cmp_ne_u16_e32 vcc_lo, 0, v35
	v_mov_b32_e32 v34, 0
	s_and_not1_b32 s0, s0, exec_lo
	s_and_b32 s12, vcc_lo, exec_lo
	s_delay_alu instid0(SALU_CYCLE_1)
	s_or_b32 s0, s0, s12
	s_or_b32 exec_lo, exec_lo, s11
	s_and_saveexec_b32 s11, s0
	s_cbranch_execnz .LBB203_56
	s_branch .LBB203_57
.LBB203_69:                             ;   in Loop: Header=BB203_33 Depth=1
	global_store_b32 v[1:2], v31, off
	s_or_b32 exec_lo, exec_lo, s0
	s_delay_alu instid0(SALU_CYCLE_1)
	s_mov_b32 s0, exec_lo
	v_cmpx_gt_u64_e64 s[2:3], v[7:8]
	s_cbranch_execz .LBB203_59
.LBB203_70:                             ;   in Loop: Header=BB203_33 Depth=1
	global_store_b32 v[3:4], v32, off
	s_or_b32 exec_lo, exec_lo, s0
	s_delay_alu instid0(SALU_CYCLE_1)
	s_mov_b32 s0, exec_lo
	v_cmpx_gt_u64_e64 s[2:3], v[9:10]
	s_cbranch_execz .LBB203_60
.LBB203_71:                             ;   in Loop: Header=BB203_33 Depth=1
	v_add_co_u32 v5, vcc_lo, v1, s8
	v_add_co_ci_u32_e32 v6, vcc_lo, 0, v2, vcc_lo
	global_store_b32 v[5:6], v33, off
	s_or_b32 exec_lo, exec_lo, s0
	s_delay_alu instid0(SALU_CYCLE_1)
	s_mov_b32 s0, exec_lo
	v_cmpx_gt_u64_e64 s[2:3], v[11:12]
	s_cbranch_execz .LBB203_32
.LBB203_72:                             ;   in Loop: Header=BB203_33 Depth=1
	v_add_co_u32 v5, vcc_lo, v1, s9
	v_add_co_ci_u32_e32 v6, vcc_lo, 0, v2, vcc_lo
	global_store_b32 v[5:6], v34, off
	s_branch .LBB203_32
.LBB203_73:
	s_nop 0
	s_sendmsg sendmsg(MSG_DEALLOC_VGPRS)
	s_endpgm
	.section	.rodata,"a",@progbits
	.p2align	6, 0x0
	.amdhsa_kernel _ZN2at6native12_GLOBAL__N_125multi_tensor_apply_kernelINS1_18TensorListMetadataILi2EEENS1_11CopyFunctorIiN3c1015Float8_e5m2fnuzELi2ELi1ELi1EEEJNS0_4CopyIiS7_EEEEEvT_T0_DpT1_
		.amdhsa_group_segment_fixed_size 0
		.amdhsa_private_segment_fixed_size 0
		.amdhsa_kernarg_size 3408
		.amdhsa_user_sgpr_count 15
		.amdhsa_user_sgpr_dispatch_ptr 0
		.amdhsa_user_sgpr_queue_ptr 0
		.amdhsa_user_sgpr_kernarg_segment_ptr 1
		.amdhsa_user_sgpr_dispatch_id 0
		.amdhsa_user_sgpr_private_segment_size 0
		.amdhsa_wavefront_size32 1
		.amdhsa_uses_dynamic_stack 0
		.amdhsa_enable_private_segment 0
		.amdhsa_system_sgpr_workgroup_id_x 1
		.amdhsa_system_sgpr_workgroup_id_y 0
		.amdhsa_system_sgpr_workgroup_id_z 0
		.amdhsa_system_sgpr_workgroup_info 0
		.amdhsa_system_vgpr_workitem_id 0
		.amdhsa_next_free_vgpr 39
		.amdhsa_next_free_sgpr 21
		.amdhsa_reserve_vcc 1
		.amdhsa_float_round_mode_32 0
		.amdhsa_float_round_mode_16_64 0
		.amdhsa_float_denorm_mode_32 3
		.amdhsa_float_denorm_mode_16_64 3
		.amdhsa_dx10_clamp 1
		.amdhsa_ieee_mode 1
		.amdhsa_fp16_overflow 0
		.amdhsa_workgroup_processor_mode 1
		.amdhsa_memory_ordered 1
		.amdhsa_forward_progress 0
		.amdhsa_shared_vgpr_count 0
		.amdhsa_exception_fp_ieee_invalid_op 0
		.amdhsa_exception_fp_denorm_src 0
		.amdhsa_exception_fp_ieee_div_zero 0
		.amdhsa_exception_fp_ieee_overflow 0
		.amdhsa_exception_fp_ieee_underflow 0
		.amdhsa_exception_fp_ieee_inexact 0
		.amdhsa_exception_int_div_zero 0
	.end_amdhsa_kernel
	.section	.text._ZN2at6native12_GLOBAL__N_125multi_tensor_apply_kernelINS1_18TensorListMetadataILi2EEENS1_11CopyFunctorIiN3c1015Float8_e5m2fnuzELi2ELi1ELi1EEEJNS0_4CopyIiS7_EEEEEvT_T0_DpT1_,"axG",@progbits,_ZN2at6native12_GLOBAL__N_125multi_tensor_apply_kernelINS1_18TensorListMetadataILi2EEENS1_11CopyFunctorIiN3c1015Float8_e5m2fnuzELi2ELi1ELi1EEEJNS0_4CopyIiS7_EEEEEvT_T0_DpT1_,comdat
.Lfunc_end203:
	.size	_ZN2at6native12_GLOBAL__N_125multi_tensor_apply_kernelINS1_18TensorListMetadataILi2EEENS1_11CopyFunctorIiN3c1015Float8_e5m2fnuzELi2ELi1ELi1EEEJNS0_4CopyIiS7_EEEEEvT_T0_DpT1_, .Lfunc_end203-_ZN2at6native12_GLOBAL__N_125multi_tensor_apply_kernelINS1_18TensorListMetadataILi2EEENS1_11CopyFunctorIiN3c1015Float8_e5m2fnuzELi2ELi1ELi1EEEJNS0_4CopyIiS7_EEEEEvT_T0_DpT1_
                                        ; -- End function
	.section	.AMDGPU.csdata,"",@progbits
; Kernel info:
; codeLenInByte = 3368
; NumSgprs: 23
; NumVgprs: 39
; ScratchSize: 0
; MemoryBound: 0
; FloatMode: 240
; IeeeMode: 1
; LDSByteSize: 0 bytes/workgroup (compile time only)
; SGPRBlocks: 2
; VGPRBlocks: 4
; NumSGPRsForWavesPerEU: 23
; NumVGPRsForWavesPerEU: 39
; Occupancy: 16
; WaveLimiterHint : 0
; COMPUTE_PGM_RSRC2:SCRATCH_EN: 0
; COMPUTE_PGM_RSRC2:USER_SGPR: 15
; COMPUTE_PGM_RSRC2:TRAP_HANDLER: 0
; COMPUTE_PGM_RSRC2:TGID_X_EN: 1
; COMPUTE_PGM_RSRC2:TGID_Y_EN: 0
; COMPUTE_PGM_RSRC2:TGID_Z_EN: 0
; COMPUTE_PGM_RSRC2:TIDIG_COMP_CNT: 0
	.section	.text._ZN2at6native12_GLOBAL__N_125multi_tensor_apply_kernelINS1_18TensorListMetadataILi2EEENS1_11CopyFunctorIlhLi2ELi1ELi1EEEJNS0_4CopyIlhEEEEEvT_T0_DpT1_,"axG",@progbits,_ZN2at6native12_GLOBAL__N_125multi_tensor_apply_kernelINS1_18TensorListMetadataILi2EEENS1_11CopyFunctorIlhLi2ELi1ELi1EEEJNS0_4CopyIlhEEEEEvT_T0_DpT1_,comdat
	.globl	_ZN2at6native12_GLOBAL__N_125multi_tensor_apply_kernelINS1_18TensorListMetadataILi2EEENS1_11CopyFunctorIlhLi2ELi1ELi1EEEJNS0_4CopyIlhEEEEEvT_T0_DpT1_ ; -- Begin function _ZN2at6native12_GLOBAL__N_125multi_tensor_apply_kernelINS1_18TensorListMetadataILi2EEENS1_11CopyFunctorIlhLi2ELi1ELi1EEEJNS0_4CopyIlhEEEEEvT_T0_DpT1_
	.p2align	8
	.type	_ZN2at6native12_GLOBAL__N_125multi_tensor_apply_kernelINS1_18TensorListMetadataILi2EEENS1_11CopyFunctorIlhLi2ELi1ELi1EEEJNS0_4CopyIlhEEEEEvT_T0_DpT1_,@function
_ZN2at6native12_GLOBAL__N_125multi_tensor_apply_kernelINS1_18TensorListMetadataILi2EEENS1_11CopyFunctorIlhLi2ELi1ELi1EEEJNS0_4CopyIlhEEEEEvT_T0_DpT1_: ; @_ZN2at6native12_GLOBAL__N_125multi_tensor_apply_kernelINS1_18TensorListMetadataILi2EEENS1_11CopyFunctorIlhLi2ELi1ELi1EEEJNS0_4CopyIlhEEEEEvT_T0_DpT1_
; %bb.0:
	v_mov_b32_e32 v1, s15
	s_add_u32 s2, s0, s15
	s_mul_hi_u32 s3, s15, 3
	s_mul_i32 s15, s15, 3
	s_addc_u32 s4, s1, 0
	global_load_u8 v1, v1, s[0:1] offset:1536
	s_add_u32 s2, s2, s15
	s_addc_u32 s3, s4, s3
	s_mov_b32 s15, 0
	s_load_b32 s10, s[2:3], 0x740
	s_mov_b32 s17, s15
	s_waitcnt lgkmcnt(0)
	s_ashr_i32 s11, s10, 31
	s_delay_alu instid0(SALU_CYCLE_1) | instskip(SKIP_2) | instid1(VALU_DEP_1)
	s_lshl_b64 s[8:9], s[10:11], 16
	s_waitcnt vmcnt(0)
	v_readfirstlane_b32 s5, v1
	s_lshl_b32 s2, s5, 3
	s_clause 0x2
	s_load_b64 s[6:7], s[0:1], s2 offset:0x0
	s_load_b64 s[12:13], s[0:1], s2 offset:0x200
	s_load_b64 s[4:5], s[0:1], s2 offset:0x400
	s_waitcnt lgkmcnt(0)
	s_add_u32 s3, s6, s8
	s_addc_u32 s18, s7, s9
	s_and_b32 s2, s12, 31
	s_and_b32 s16, s4, 3
	s_and_b32 s14, s3, 3
	s_or_b32 s16, s16, s2
	s_mov_b32 s2, -1
	s_or_b64 s[14:15], s[14:15], s[16:17]
	s_sub_u32 s4, s4, s8
	s_subb_u32 s5, s5, s9
	s_cmp_eq_u64 s[14:15], 0
	s_cbranch_scc0 .LBB204_5
; %bb.1:
	v_dual_mov_b32 v2, 0 :: v_dual_lshlrev_b32 v5, 2, v0
	s_mov_b32 s19, exec_lo
	s_delay_alu instid0(VALU_DEP_1) | instskip(NEXT) | instid1(VALU_DEP_1)
	v_mov_b32_e32 v6, v2
	v_cmpx_gt_i64_e64 s[4:5], v[5:6]
	s_cbranch_execz .LBB204_4
; %bb.2:
	s_load_b32 s2, s[0:1], 0xc5c
	v_lshlrev_b32_e32 v1, 5, v0
	s_lshl_b64 s[16:17], s[10:11], 19
	s_waitcnt lgkmcnt(0)
	s_and_b32 s2, s2, 0xffff
	s_delay_alu instid0(SALU_CYCLE_1) | instskip(SKIP_3) | instid1(VALU_DEP_1)
	s_lshl_b32 s14, s2, 2
	s_add_u32 s15, s12, s16
	s_addc_u32 s16, s13, s17
	v_add_co_u32 v1, s15, s15, v1
	v_add_co_ci_u32_e64 v3, null, s16, 0, s15
	s_mov_b32 s15, 0
	s_delay_alu instid0(VALU_DEP_2) | instskip(NEXT) | instid1(VALU_DEP_2)
	v_add_co_u32 v6, vcc_lo, v1, 16
	v_add_co_ci_u32_e32 v7, vcc_lo, 0, v3, vcc_lo
	s_lshl_b32 s20, s2, 5
	s_mov_b64 s[16:17], s[14:15]
	s_set_inst_prefetch_distance 0x1
	.p2align	6
.LBB204_3:                              ; =>This Inner Loop Header: Depth=1
	v_add_co_u32 v3, s2, s3, v5
	s_delay_alu instid0(VALU_DEP_1) | instskip(SKIP_1) | instid1(VALU_DEP_1)
	v_add_co_ci_u32_e64 v4, null, s18, 0, s2
	v_add_co_u32 v8, s2, v5, s16
	v_add_co_ci_u32_e64 v9, null, 0, s17, s2
	global_load_b32 v10, v[3:4], off
	v_mov_b32_e32 v4, v2
	v_cmp_le_i64_e32 vcc_lo, s[4:5], v[8:9]
	v_cmp_lt_u64_e64 s2, 0xffff, v[8:9]
	s_delay_alu instid0(VALU_DEP_1)
	s_or_b32 s2, vcc_lo, s2
	s_add_u32 s16, s16, s14
	s_addc_u32 s17, s17, 0
	s_add_u32 s3, s3, s14
	s_addc_u32 s18, s18, 0
	s_and_b32 s2, exec_lo, s2
	s_delay_alu instid0(SALU_CYCLE_1)
	s_or_b32 s15, s2, s15
	s_waitcnt vmcnt(0)
	v_and_b32_e32 v1, 0xff, v10
	v_bfe_u32 v3, v10, 8, 8
	global_store_b128 v[6:7], v[1:4], off offset:-16
	v_bfe_u32 v1, v10, 16, 8
	v_lshrrev_b32_e32 v3, 24, v10
	global_store_b128 v[6:7], v[1:4], off
	v_add_co_u32 v6, vcc_lo, v6, s20
	v_add_co_ci_u32_e32 v7, vcc_lo, 0, v7, vcc_lo
	s_and_not1_b32 exec_lo, exec_lo, s15
	s_cbranch_execnz .LBB204_3
.LBB204_4:
	s_set_inst_prefetch_distance 0x2
	s_or_b32 exec_lo, exec_lo, s19
	s_mov_b32 s2, 0
.LBB204_5:
	s_delay_alu instid0(SALU_CYCLE_1)
	s_and_not1_b32 vcc_lo, exec_lo, s2
	s_cbranch_vccnz .LBB204_25
; %bb.6:
	v_cmp_lt_i64_e64 s2, s[4:5], 1
	s_delay_alu instid0(VALU_DEP_1)
	s_and_b32 vcc_lo, exec_lo, s2
	s_cbranch_vccnz .LBB204_25
; %bb.7:
	s_load_b32 s0, s[0:1], 0xc5c
	v_cmp_gt_u64_e64 s1, 0x10000, s[4:5]
	v_add_co_u32 v1, s2, s8, v0
	v_dual_mov_b32 v2, 0 :: v_dual_lshlrev_b32 v3, 3, v0
	v_add_co_ci_u32_e64 v5, null, s9, 0, s2
	s_delay_alu instid0(VALU_DEP_3) | instskip(NEXT) | instid1(VALU_DEP_2)
	v_add_co_u32 v15, vcc_lo, s6, v1
                                        ; implicit-def: $vgpr29
                                        ; implicit-def: $vgpr30
                                        ; implicit-def: $vgpr31
                                        ; implicit-def: $vgpr32
	v_add_co_ci_u32_e32 v16, vcc_lo, s7, v5, vcc_lo
	s_waitcnt lgkmcnt(0)
	s_and_b32 s0, s0, 0xffff
	s_and_b32 s1, s1, exec_lo
	s_cselect_b32 s3, s5, 0
	s_cselect_b32 s2, s4, 0x10000
	s_lshl_b64 s[10:11], s[10:11], 19
	s_lshl_b32 s14, s0, 1
	s_lshl_b32 s1, s0, 2
	s_add_u32 s12, s12, s10
	s_mul_i32 s15, s0, 3
	s_addc_u32 s11, s13, s11
	s_lshl_b32 s10, s0, 5
	v_add_co_u32 v3, s16, s12, v3
	s_add_u32 s13, s8, s15
	v_add_co_ci_u32_e64 v4, null, s11, 0, s16
	s_addc_u32 s16, s9, 0
	s_add_u32 s13, s6, s13
	s_addc_u32 s16, s7, s16
	s_add_u32 s8, s8, s14
	;; [unrolled: 2-line block ×3, first 2 shown]
	s_addc_u32 s9, s7, s9
	v_add_co_u32 v21, s8, s8, v0
	s_delay_alu instid0(VALU_DEP_1) | instskip(SKIP_1) | instid1(VALU_DEP_1)
	v_add_co_ci_u32_e64 v22, null, s9, 0, s8
	v_add_co_u32 v23, s9, s14, v0
	v_add_co_ci_u32_e64 v24, null, 0, 0, s9
	v_add_co_u32 v25, s9, v0, s0
	s_lshl_b32 s8, s0, 4
	s_add_u32 s6, s6, s0
	v_add_co_u32 v17, s13, s13, v0
	s_delay_alu instid0(VALU_DEP_2)
	v_lshlrev_b32_e32 v6, 3, v25
	s_addc_u32 s7, s7, 0
	v_add_co_u32 v27, vcc_lo, s6, v1
	v_add_co_ci_u32_e64 v18, null, s16, 0, s13
	v_add_co_u32 v19, s13, s15, v0
	v_add_co_ci_u32_e32 v28, vcc_lo, s7, v5, vcc_lo
	v_add_co_u32 v5, s6, s12, v6
	v_add_co_ci_u32_e64 v20, null, 0, 0, s13
	v_add_co_ci_u32_e64 v26, null, 0, 0, s9
	;; [unrolled: 1-line block ×3, first 2 shown]
	s_mul_i32 s9, s0, 24
	s_mov_b64 s[6:7], 0
	s_branch .LBB204_9
.LBB204_8:                              ;   in Loop: Header=BB204_9 Depth=1
	s_or_b32 exec_lo, exec_lo, s0
	s_add_u32 s6, s6, s1
	s_addc_u32 s7, s7, 0
	v_add_co_u32 v3, vcc_lo, v3, s10
	v_cmp_ge_i64_e64 s0, s[6:7], s[4:5]
	v_cmp_lt_u64_e64 s11, 0xffff, s[6:7]
	v_add_co_ci_u32_e32 v4, vcc_lo, 0, v4, vcc_lo
	v_add_co_u32 v5, vcc_lo, v5, s10
	v_add_co_ci_u32_e32 v6, vcc_lo, 0, v6, vcc_lo
	s_delay_alu instid0(VALU_DEP_4) | instskip(NEXT) | instid1(SALU_CYCLE_1)
	s_or_b32 s0, s0, s11
	s_and_b32 vcc_lo, exec_lo, s0
	s_cbranch_vccnz .LBB204_25
.LBB204_9:                              ; =>This Inner Loop Header: Depth=1
	v_add_co_u32 v7, s0, v0, s6
	s_delay_alu instid0(VALU_DEP_1) | instskip(NEXT) | instid1(VALU_DEP_1)
	v_add_co_ci_u32_e64 v8, null, 0, s7, s0
	v_cmp_gt_i64_e32 vcc_lo, s[4:5], v[7:8]
	v_cmp_gt_u64_e64 s0, 0x10000, v[7:8]
	s_delay_alu instid0(VALU_DEP_1) | instskip(NEXT) | instid1(SALU_CYCLE_1)
	s_and_b32 s11, vcc_lo, s0
	s_and_saveexec_b32 s0, s11
	s_cbranch_execz .LBB204_11
; %bb.10:                               ;   in Loop: Header=BB204_9 Depth=1
	v_add_co_u32 v9, vcc_lo, v15, s6
	v_add_co_ci_u32_e32 v10, vcc_lo, s7, v16, vcc_lo
	global_load_u8 v29, v[9:10], off
.LBB204_11:                             ;   in Loop: Header=BB204_9 Depth=1
	s_or_b32 exec_lo, exec_lo, s0
	v_add_co_u32 v9, vcc_lo, v25, s6
	v_add_co_ci_u32_e32 v10, vcc_lo, s7, v26, vcc_lo
	s_delay_alu instid0(VALU_DEP_1) | instskip(SKIP_1) | instid1(VALU_DEP_1)
	v_cmp_gt_i64_e32 vcc_lo, s[4:5], v[9:10]
	v_cmp_gt_u64_e64 s0, 0x10000, v[9:10]
	s_and_b32 s11, vcc_lo, s0
	s_delay_alu instid0(SALU_CYCLE_1)
	s_and_saveexec_b32 s0, s11
	s_cbranch_execz .LBB204_13
; %bb.12:                               ;   in Loop: Header=BB204_9 Depth=1
	v_add_co_u32 v11, vcc_lo, v27, s6
	v_add_co_ci_u32_e32 v12, vcc_lo, s7, v28, vcc_lo
	global_load_u8 v30, v[11:12], off
.LBB204_13:                             ;   in Loop: Header=BB204_9 Depth=1
	s_or_b32 exec_lo, exec_lo, s0
	v_add_co_u32 v11, vcc_lo, v23, s6
	v_add_co_ci_u32_e32 v12, vcc_lo, s7, v24, vcc_lo
	s_delay_alu instid0(VALU_DEP_1) | instskip(SKIP_1) | instid1(VALU_DEP_1)
	v_cmp_gt_i64_e32 vcc_lo, s[4:5], v[11:12]
	v_cmp_gt_u64_e64 s0, 0x10000, v[11:12]
	s_and_b32 s11, vcc_lo, s0
	s_delay_alu instid0(SALU_CYCLE_1)
	;; [unrolled: 15-line block ×3, first 2 shown]
	s_and_saveexec_b32 s0, s11
	s_cbranch_execnz .LBB204_20
; %bb.16:                               ;   in Loop: Header=BB204_9 Depth=1
	s_or_b32 exec_lo, exec_lo, s0
	s_delay_alu instid0(SALU_CYCLE_1)
	s_mov_b32 s0, exec_lo
	v_cmpx_gt_u64_e64 s[2:3], v[7:8]
	s_cbranch_execnz .LBB204_21
.LBB204_17:                             ;   in Loop: Header=BB204_9 Depth=1
	s_or_b32 exec_lo, exec_lo, s0
	s_delay_alu instid0(SALU_CYCLE_1)
	s_mov_b32 s0, exec_lo
	v_cmpx_gt_u64_e64 s[2:3], v[9:10]
	s_cbranch_execnz .LBB204_22
.LBB204_18:                             ;   in Loop: Header=BB204_9 Depth=1
	s_or_b32 exec_lo, exec_lo, s0
	s_delay_alu instid0(SALU_CYCLE_1)
	s_mov_b32 s0, exec_lo
	v_cmpx_gt_u64_e64 s[2:3], v[11:12]
	s_cbranch_execnz .LBB204_23
.LBB204_19:                             ;   in Loop: Header=BB204_9 Depth=1
	s_or_b32 exec_lo, exec_lo, s0
	s_delay_alu instid0(SALU_CYCLE_1)
	s_mov_b32 s0, exec_lo
	v_cmpx_gt_u64_e64 s[2:3], v[13:14]
	s_cbranch_execz .LBB204_8
	s_branch .LBB204_24
.LBB204_20:                             ;   in Loop: Header=BB204_9 Depth=1
	s_waitcnt vmcnt(0)
	v_add_co_u32 v32, vcc_lo, v17, s6
	v_add_co_ci_u32_e32 v33, vcc_lo, s7, v18, vcc_lo
	global_load_u8 v32, v[32:33], off
	s_or_b32 exec_lo, exec_lo, s0
	s_delay_alu instid0(SALU_CYCLE_1)
	s_mov_b32 s0, exec_lo
	v_cmpx_gt_u64_e64 s[2:3], v[7:8]
	s_cbranch_execz .LBB204_17
.LBB204_21:                             ;   in Loop: Header=BB204_9 Depth=1
	s_waitcnt vmcnt(0)
	v_and_b32_e32 v1, 0xff, v29
	global_store_b64 v[3:4], v[1:2], off
	s_or_b32 exec_lo, exec_lo, s0
	s_delay_alu instid0(SALU_CYCLE_1)
	s_mov_b32 s0, exec_lo
	v_cmpx_gt_u64_e64 s[2:3], v[9:10]
	s_cbranch_execz .LBB204_18
.LBB204_22:                             ;   in Loop: Header=BB204_9 Depth=1
	s_waitcnt vmcnt(0)
	v_and_b32_e32 v1, 0xff, v30
	global_store_b64 v[5:6], v[1:2], off
	s_or_b32 exec_lo, exec_lo, s0
	s_delay_alu instid0(SALU_CYCLE_1)
	s_mov_b32 s0, exec_lo
	v_cmpx_gt_u64_e64 s[2:3], v[11:12]
	s_cbranch_execz .LBB204_19
.LBB204_23:                             ;   in Loop: Header=BB204_9 Depth=1
	v_add_co_u32 v7, vcc_lo, v3, s8
	s_waitcnt vmcnt(0)
	v_and_b32_e32 v1, 0xff, v31
	v_add_co_ci_u32_e32 v8, vcc_lo, 0, v4, vcc_lo
	global_store_b64 v[7:8], v[1:2], off
	s_or_b32 exec_lo, exec_lo, s0
	s_delay_alu instid0(SALU_CYCLE_1)
	s_mov_b32 s0, exec_lo
	v_cmpx_gt_u64_e64 s[2:3], v[13:14]
	s_cbranch_execz .LBB204_8
.LBB204_24:                             ;   in Loop: Header=BB204_9 Depth=1
	v_add_co_u32 v7, vcc_lo, v3, s9
	s_waitcnt vmcnt(0)
	v_and_b32_e32 v1, 0xff, v32
	v_add_co_ci_u32_e32 v8, vcc_lo, 0, v4, vcc_lo
	global_store_b64 v[7:8], v[1:2], off
	s_branch .LBB204_8
.LBB204_25:
	s_nop 0
	s_sendmsg sendmsg(MSG_DEALLOC_VGPRS)
	s_endpgm
	.section	.rodata,"a",@progbits
	.p2align	6, 0x0
	.amdhsa_kernel _ZN2at6native12_GLOBAL__N_125multi_tensor_apply_kernelINS1_18TensorListMetadataILi2EEENS1_11CopyFunctorIlhLi2ELi1ELi1EEEJNS0_4CopyIlhEEEEEvT_T0_DpT1_
		.amdhsa_group_segment_fixed_size 0
		.amdhsa_private_segment_fixed_size 0
		.amdhsa_kernarg_size 3408
		.amdhsa_user_sgpr_count 15
		.amdhsa_user_sgpr_dispatch_ptr 0
		.amdhsa_user_sgpr_queue_ptr 0
		.amdhsa_user_sgpr_kernarg_segment_ptr 1
		.amdhsa_user_sgpr_dispatch_id 0
		.amdhsa_user_sgpr_private_segment_size 0
		.amdhsa_wavefront_size32 1
		.amdhsa_uses_dynamic_stack 0
		.amdhsa_enable_private_segment 0
		.amdhsa_system_sgpr_workgroup_id_x 1
		.amdhsa_system_sgpr_workgroup_id_y 0
		.amdhsa_system_sgpr_workgroup_id_z 0
		.amdhsa_system_sgpr_workgroup_info 0
		.amdhsa_system_vgpr_workitem_id 0
		.amdhsa_next_free_vgpr 34
		.amdhsa_next_free_sgpr 21
		.amdhsa_reserve_vcc 1
		.amdhsa_float_round_mode_32 0
		.amdhsa_float_round_mode_16_64 0
		.amdhsa_float_denorm_mode_32 3
		.amdhsa_float_denorm_mode_16_64 3
		.amdhsa_dx10_clamp 1
		.amdhsa_ieee_mode 1
		.amdhsa_fp16_overflow 0
		.amdhsa_workgroup_processor_mode 1
		.amdhsa_memory_ordered 1
		.amdhsa_forward_progress 0
		.amdhsa_shared_vgpr_count 0
		.amdhsa_exception_fp_ieee_invalid_op 0
		.amdhsa_exception_fp_denorm_src 0
		.amdhsa_exception_fp_ieee_div_zero 0
		.amdhsa_exception_fp_ieee_overflow 0
		.amdhsa_exception_fp_ieee_underflow 0
		.amdhsa_exception_fp_ieee_inexact 0
		.amdhsa_exception_int_div_zero 0
	.end_amdhsa_kernel
	.section	.text._ZN2at6native12_GLOBAL__N_125multi_tensor_apply_kernelINS1_18TensorListMetadataILi2EEENS1_11CopyFunctorIlhLi2ELi1ELi1EEEJNS0_4CopyIlhEEEEEvT_T0_DpT1_,"axG",@progbits,_ZN2at6native12_GLOBAL__N_125multi_tensor_apply_kernelINS1_18TensorListMetadataILi2EEENS1_11CopyFunctorIlhLi2ELi1ELi1EEEJNS0_4CopyIlhEEEEEvT_T0_DpT1_,comdat
.Lfunc_end204:
	.size	_ZN2at6native12_GLOBAL__N_125multi_tensor_apply_kernelINS1_18TensorListMetadataILi2EEENS1_11CopyFunctorIlhLi2ELi1ELi1EEEJNS0_4CopyIlhEEEEEvT_T0_DpT1_, .Lfunc_end204-_ZN2at6native12_GLOBAL__N_125multi_tensor_apply_kernelINS1_18TensorListMetadataILi2EEENS1_11CopyFunctorIlhLi2ELi1ELi1EEEJNS0_4CopyIlhEEEEEvT_T0_DpT1_
                                        ; -- End function
	.section	.AMDGPU.csdata,"",@progbits
; Kernel info:
; codeLenInByte = 1484
; NumSgprs: 23
; NumVgprs: 34
; ScratchSize: 0
; MemoryBound: 0
; FloatMode: 240
; IeeeMode: 1
; LDSByteSize: 0 bytes/workgroup (compile time only)
; SGPRBlocks: 2
; VGPRBlocks: 4
; NumSGPRsForWavesPerEU: 23
; NumVGPRsForWavesPerEU: 34
; Occupancy: 16
; WaveLimiterHint : 0
; COMPUTE_PGM_RSRC2:SCRATCH_EN: 0
; COMPUTE_PGM_RSRC2:USER_SGPR: 15
; COMPUTE_PGM_RSRC2:TRAP_HANDLER: 0
; COMPUTE_PGM_RSRC2:TGID_X_EN: 1
; COMPUTE_PGM_RSRC2:TGID_Y_EN: 0
; COMPUTE_PGM_RSRC2:TGID_Z_EN: 0
; COMPUTE_PGM_RSRC2:TIDIG_COMP_CNT: 0
	.section	.text._ZN2at6native12_GLOBAL__N_125multi_tensor_apply_kernelINS1_18TensorListMetadataILi2EEENS1_11CopyFunctorIlaLi2ELi1ELi1EEEJNS0_4CopyIlaEEEEEvT_T0_DpT1_,"axG",@progbits,_ZN2at6native12_GLOBAL__N_125multi_tensor_apply_kernelINS1_18TensorListMetadataILi2EEENS1_11CopyFunctorIlaLi2ELi1ELi1EEEJNS0_4CopyIlaEEEEEvT_T0_DpT1_,comdat
	.globl	_ZN2at6native12_GLOBAL__N_125multi_tensor_apply_kernelINS1_18TensorListMetadataILi2EEENS1_11CopyFunctorIlaLi2ELi1ELi1EEEJNS0_4CopyIlaEEEEEvT_T0_DpT1_ ; -- Begin function _ZN2at6native12_GLOBAL__N_125multi_tensor_apply_kernelINS1_18TensorListMetadataILi2EEENS1_11CopyFunctorIlaLi2ELi1ELi1EEEJNS0_4CopyIlaEEEEEvT_T0_DpT1_
	.p2align	8
	.type	_ZN2at6native12_GLOBAL__N_125multi_tensor_apply_kernelINS1_18TensorListMetadataILi2EEENS1_11CopyFunctorIlaLi2ELi1ELi1EEEJNS0_4CopyIlaEEEEEvT_T0_DpT1_,@function
_ZN2at6native12_GLOBAL__N_125multi_tensor_apply_kernelINS1_18TensorListMetadataILi2EEENS1_11CopyFunctorIlaLi2ELi1ELi1EEEJNS0_4CopyIlaEEEEEvT_T0_DpT1_: ; @_ZN2at6native12_GLOBAL__N_125multi_tensor_apply_kernelINS1_18TensorListMetadataILi2EEENS1_11CopyFunctorIlaLi2ELi1ELi1EEEJNS0_4CopyIlaEEEEEvT_T0_DpT1_
; %bb.0:
	v_mov_b32_e32 v1, s15
	s_add_u32 s2, s0, s15
	s_mul_hi_u32 s3, s15, 3
	s_mul_i32 s15, s15, 3
	s_addc_u32 s4, s1, 0
	global_load_u8 v1, v1, s[0:1] offset:1536
	s_add_u32 s2, s2, s15
	s_addc_u32 s3, s4, s3
	s_mov_b32 s15, 0
	s_load_b32 s10, s[2:3], 0x740
	s_mov_b32 s17, s15
	s_waitcnt lgkmcnt(0)
	s_ashr_i32 s11, s10, 31
	s_delay_alu instid0(SALU_CYCLE_1) | instskip(SKIP_2) | instid1(VALU_DEP_1)
	s_lshl_b64 s[8:9], s[10:11], 16
	s_waitcnt vmcnt(0)
	v_readfirstlane_b32 s5, v1
	s_lshl_b32 s2, s5, 3
	s_clause 0x2
	s_load_b64 s[6:7], s[0:1], s2 offset:0x0
	s_load_b64 s[12:13], s[0:1], s2 offset:0x200
	;; [unrolled: 1-line block ×3, first 2 shown]
	s_waitcnt lgkmcnt(0)
	s_add_u32 s3, s6, s8
	s_addc_u32 s18, s7, s9
	s_and_b32 s2, s12, 31
	s_and_b32 s16, s4, 3
	;; [unrolled: 1-line block ×3, first 2 shown]
	s_or_b32 s16, s16, s2
	s_mov_b32 s2, -1
	s_or_b64 s[14:15], s[14:15], s[16:17]
	s_sub_u32 s4, s4, s8
	s_subb_u32 s5, s5, s9
	s_cmp_eq_u64 s[14:15], 0
	s_cbranch_scc0 .LBB205_5
; %bb.1:
	v_dual_mov_b32 v2, 0 :: v_dual_lshlrev_b32 v1, 2, v0
	s_mov_b32 s19, exec_lo
	s_delay_alu instid0(VALU_DEP_1)
	v_cmpx_gt_i64_e64 s[4:5], v[1:2]
	s_cbranch_execz .LBB205_4
; %bb.2:
	s_load_b32 s2, s[0:1], 0xc5c
	v_lshlrev_b32_e32 v2, 5, v0
	s_lshl_b64 s[16:17], s[10:11], 19
	s_waitcnt lgkmcnt(0)
	s_and_b32 s2, s2, 0xffff
	s_delay_alu instid0(SALU_CYCLE_1) | instskip(SKIP_3) | instid1(VALU_DEP_1)
	s_lshl_b32 s14, s2, 2
	s_add_u32 s15, s12, s16
	s_addc_u32 s16, s13, s17
	v_add_co_u32 v2, s15, s15, v2
	v_add_co_ci_u32_e64 v3, null, s16, 0, s15
	s_mov_b32 s15, 0
	s_delay_alu instid0(VALU_DEP_2) | instskip(NEXT) | instid1(VALU_DEP_2)
	v_add_co_u32 v2, vcc_lo, v2, 16
	v_add_co_ci_u32_e32 v3, vcc_lo, 0, v3, vcc_lo
	s_lshl_b32 s20, s2, 5
	s_mov_b64 s[16:17], s[14:15]
	s_set_inst_prefetch_distance 0x1
	.p2align	6
.LBB205_3:                              ; =>This Inner Loop Header: Depth=1
	v_add_co_u32 v4, s2, s3, v1
	s_delay_alu instid0(VALU_DEP_1) | instskip(SKIP_2) | instid1(VALU_DEP_1)
	v_add_co_ci_u32_e64 v5, null, s18, 0, s2
	global_load_b32 v6, v[4:5], off
	v_add_co_u32 v4, s2, v1, s16
	v_add_co_ci_u32_e64 v5, null, 0, s17, s2
	s_delay_alu instid0(VALU_DEP_1) | instskip(SKIP_1) | instid1(VALU_DEP_1)
	v_cmp_le_i64_e32 vcc_lo, s[4:5], v[4:5]
	v_cmp_lt_u64_e64 s2, 0xffff, v[4:5]
	s_or_b32 s2, vcc_lo, s2
	s_add_u32 s16, s16, s14
	s_addc_u32 s17, s17, 0
	s_add_u32 s3, s3, s14
	s_addc_u32 s18, s18, 0
	s_and_b32 s2, exec_lo, s2
	s_delay_alu instid0(SALU_CYCLE_1)
	s_or_b32 s15, s2, s15
	s_waitcnt vmcnt(0)
	v_lshrrev_b32_e32 v5, 8, v6
	v_lshrrev_b32_e32 v7, 16, v6
	;; [unrolled: 1-line block ×3, first 2 shown]
	v_bfe_i32 v4, v6, 0, 8
	s_delay_alu instid0(VALU_DEP_4) | instskip(NEXT) | instid1(VALU_DEP_4)
	v_bfe_i32 v6, v5, 0, 8
	v_bfe_i32 v8, v7, 0, 8
	s_delay_alu instid0(VALU_DEP_4) | instskip(NEXT) | instid1(VALU_DEP_4)
	v_bfe_i32 v10, v9, 0, 8
	v_ashrrev_i32_e32 v5, 31, v4
	s_delay_alu instid0(VALU_DEP_4) | instskip(NEXT) | instid1(VALU_DEP_4)
	v_ashrrev_i32_e32 v7, 31, v6
	v_ashrrev_i32_e32 v9, 31, v8
	s_delay_alu instid0(VALU_DEP_4)
	v_ashrrev_i32_e32 v11, 31, v10
	s_clause 0x1
	global_store_b128 v[2:3], v[4:7], off offset:-16
	global_store_b128 v[2:3], v[8:11], off
	v_add_co_u32 v2, vcc_lo, v2, s20
	v_add_co_ci_u32_e32 v3, vcc_lo, 0, v3, vcc_lo
	s_and_not1_b32 exec_lo, exec_lo, s15
	s_cbranch_execnz .LBB205_3
.LBB205_4:
	s_set_inst_prefetch_distance 0x2
	s_or_b32 exec_lo, exec_lo, s19
	s_mov_b32 s2, 0
.LBB205_5:
	s_delay_alu instid0(SALU_CYCLE_1)
	s_and_not1_b32 vcc_lo, exec_lo, s2
	s_cbranch_vccnz .LBB205_25
; %bb.6:
	v_cmp_lt_i64_e64 s2, s[4:5], 1
	s_delay_alu instid0(VALU_DEP_1)
	s_and_b32 vcc_lo, exec_lo, s2
	s_cbranch_vccnz .LBB205_25
; %bb.7:
	s_load_b32 s0, s[0:1], 0xc5c
	v_cmp_gt_u64_e64 s1, 0x10000, s[4:5]
	v_add_co_u32 v3, s2, s8, v0
	v_lshlrev_b32_e32 v1, 3, v0
	v_add_co_ci_u32_e64 v4, null, s9, 0, s2
	s_delay_alu instid0(VALU_DEP_3) | instskip(NEXT) | instid1(VALU_DEP_2)
	v_add_co_u32 v13, vcc_lo, s6, v3
                                        ; implicit-def: $vgpr27
                                        ; implicit-def: $vgpr28
                                        ; implicit-def: $vgpr29
                                        ; implicit-def: $vgpr30
	v_add_co_ci_u32_e32 v14, vcc_lo, s7, v4, vcc_lo
	s_waitcnt lgkmcnt(0)
	s_and_b32 s0, s0, 0xffff
	s_and_b32 s1, s1, exec_lo
	s_cselect_b32 s3, s5, 0
	s_cselect_b32 s2, s4, 0x10000
	s_lshl_b64 s[10:11], s[10:11], 19
	s_lshl_b32 s14, s0, 1
	s_lshl_b32 s1, s0, 2
	s_add_u32 s12, s12, s10
	s_mul_i32 s15, s0, 3
	s_addc_u32 s11, s13, s11
	s_lshl_b32 s10, s0, 5
	v_add_co_u32 v1, s16, s12, v1
	s_add_u32 s13, s8, s15
	v_add_co_ci_u32_e64 v2, null, s11, 0, s16
	s_addc_u32 s16, s9, 0
	s_add_u32 s13, s6, s13
	s_addc_u32 s16, s7, s16
	s_add_u32 s8, s8, s14
	;; [unrolled: 2-line block ×3, first 2 shown]
	s_addc_u32 s9, s7, s9
	v_add_co_u32 v19, s8, s8, v0
	s_delay_alu instid0(VALU_DEP_1) | instskip(SKIP_1) | instid1(VALU_DEP_1)
	v_add_co_ci_u32_e64 v20, null, s9, 0, s8
	v_add_co_u32 v21, s9, s14, v0
	v_add_co_ci_u32_e64 v22, null, 0, 0, s9
	v_add_co_u32 v23, s9, v0, s0
	s_lshl_b32 s8, s0, 4
	v_add_co_u32 v15, s13, s13, v0
	s_delay_alu instid0(VALU_DEP_2)
	v_lshlrev_b32_e32 v5, 3, v23
	s_add_u32 s6, s6, s0
	v_add_co_ci_u32_e64 v16, null, s16, 0, s13
	v_add_co_u32 v17, s13, s15, v0
	s_addc_u32 s7, s7, 0
	v_add_co_u32 v25, vcc_lo, s6, v3
	v_add_co_u32 v3, s6, s12, v5
	v_add_co_ci_u32_e64 v18, null, 0, 0, s13
	v_add_co_ci_u32_e64 v24, null, 0, 0, s9
	v_add_co_ci_u32_e32 v26, vcc_lo, s7, v4, vcc_lo
	v_add_co_ci_u32_e64 v4, null, s11, 0, s6
	s_mul_i32 s9, s0, 24
	s_mov_b64 s[6:7], 0
	s_branch .LBB205_9
.LBB205_8:                              ;   in Loop: Header=BB205_9 Depth=1
	s_or_b32 exec_lo, exec_lo, s0
	s_add_u32 s6, s6, s1
	s_addc_u32 s7, s7, 0
	v_add_co_u32 v1, vcc_lo, v1, s10
	v_cmp_ge_i64_e64 s0, s[6:7], s[4:5]
	v_cmp_lt_u64_e64 s11, 0xffff, s[6:7]
	v_add_co_ci_u32_e32 v2, vcc_lo, 0, v2, vcc_lo
	v_add_co_u32 v3, vcc_lo, v3, s10
	v_add_co_ci_u32_e32 v4, vcc_lo, 0, v4, vcc_lo
	s_delay_alu instid0(VALU_DEP_4) | instskip(NEXT) | instid1(SALU_CYCLE_1)
	s_or_b32 s0, s0, s11
	s_and_b32 vcc_lo, exec_lo, s0
	s_cbranch_vccnz .LBB205_25
.LBB205_9:                              ; =>This Inner Loop Header: Depth=1
	v_add_co_u32 v5, s0, v0, s6
	s_delay_alu instid0(VALU_DEP_1) | instskip(NEXT) | instid1(VALU_DEP_1)
	v_add_co_ci_u32_e64 v6, null, 0, s7, s0
	v_cmp_gt_i64_e32 vcc_lo, s[4:5], v[5:6]
	v_cmp_gt_u64_e64 s0, 0x10000, v[5:6]
	s_delay_alu instid0(VALU_DEP_1) | instskip(NEXT) | instid1(SALU_CYCLE_1)
	s_and_b32 s11, vcc_lo, s0
	s_and_saveexec_b32 s0, s11
	s_cbranch_execz .LBB205_11
; %bb.10:                               ;   in Loop: Header=BB205_9 Depth=1
	v_add_co_u32 v7, vcc_lo, v13, s6
	v_add_co_ci_u32_e32 v8, vcc_lo, s7, v14, vcc_lo
	global_load_u8 v27, v[7:8], off
.LBB205_11:                             ;   in Loop: Header=BB205_9 Depth=1
	s_or_b32 exec_lo, exec_lo, s0
	v_add_co_u32 v7, vcc_lo, v23, s6
	v_add_co_ci_u32_e32 v8, vcc_lo, s7, v24, vcc_lo
	s_delay_alu instid0(VALU_DEP_1) | instskip(SKIP_1) | instid1(VALU_DEP_1)
	v_cmp_gt_i64_e32 vcc_lo, s[4:5], v[7:8]
	v_cmp_gt_u64_e64 s0, 0x10000, v[7:8]
	s_and_b32 s11, vcc_lo, s0
	s_delay_alu instid0(SALU_CYCLE_1)
	s_and_saveexec_b32 s0, s11
	s_cbranch_execz .LBB205_13
; %bb.12:                               ;   in Loop: Header=BB205_9 Depth=1
	v_add_co_u32 v9, vcc_lo, v25, s6
	v_add_co_ci_u32_e32 v10, vcc_lo, s7, v26, vcc_lo
	global_load_u8 v28, v[9:10], off
.LBB205_13:                             ;   in Loop: Header=BB205_9 Depth=1
	s_or_b32 exec_lo, exec_lo, s0
	v_add_co_u32 v9, vcc_lo, v21, s6
	v_add_co_ci_u32_e32 v10, vcc_lo, s7, v22, vcc_lo
	s_delay_alu instid0(VALU_DEP_1) | instskip(SKIP_1) | instid1(VALU_DEP_1)
	v_cmp_gt_i64_e32 vcc_lo, s[4:5], v[9:10]
	v_cmp_gt_u64_e64 s0, 0x10000, v[9:10]
	s_and_b32 s11, vcc_lo, s0
	s_delay_alu instid0(SALU_CYCLE_1)
	;; [unrolled: 15-line block ×3, first 2 shown]
	s_and_saveexec_b32 s0, s11
	s_cbranch_execnz .LBB205_20
; %bb.16:                               ;   in Loop: Header=BB205_9 Depth=1
	s_or_b32 exec_lo, exec_lo, s0
	s_delay_alu instid0(SALU_CYCLE_1)
	s_mov_b32 s0, exec_lo
	v_cmpx_gt_u64_e64 s[2:3], v[5:6]
	s_cbranch_execnz .LBB205_21
.LBB205_17:                             ;   in Loop: Header=BB205_9 Depth=1
	s_or_b32 exec_lo, exec_lo, s0
	s_delay_alu instid0(SALU_CYCLE_1)
	s_mov_b32 s0, exec_lo
	v_cmpx_gt_u64_e64 s[2:3], v[7:8]
	s_cbranch_execnz .LBB205_22
.LBB205_18:                             ;   in Loop: Header=BB205_9 Depth=1
	s_or_b32 exec_lo, exec_lo, s0
	s_delay_alu instid0(SALU_CYCLE_1)
	s_mov_b32 s0, exec_lo
	v_cmpx_gt_u64_e64 s[2:3], v[9:10]
	s_cbranch_execnz .LBB205_23
.LBB205_19:                             ;   in Loop: Header=BB205_9 Depth=1
	s_or_b32 exec_lo, exec_lo, s0
	s_delay_alu instid0(SALU_CYCLE_1)
	s_mov_b32 s0, exec_lo
	v_cmpx_gt_u64_e64 s[2:3], v[11:12]
	s_cbranch_execz .LBB205_8
	s_branch .LBB205_24
.LBB205_20:                             ;   in Loop: Header=BB205_9 Depth=1
	s_waitcnt vmcnt(0)
	v_add_co_u32 v30, vcc_lo, v15, s6
	v_add_co_ci_u32_e32 v31, vcc_lo, s7, v16, vcc_lo
	global_load_u8 v30, v[30:31], off
	s_or_b32 exec_lo, exec_lo, s0
	s_delay_alu instid0(SALU_CYCLE_1)
	s_mov_b32 s0, exec_lo
	v_cmpx_gt_u64_e64 s[2:3], v[5:6]
	s_cbranch_execz .LBB205_17
.LBB205_21:                             ;   in Loop: Header=BB205_9 Depth=1
	s_waitcnt vmcnt(0)
	v_bfe_i32 v5, v27, 0, 8
	s_delay_alu instid0(VALU_DEP_1) | instskip(SKIP_2) | instid1(SALU_CYCLE_1)
	v_ashrrev_i32_e32 v6, 31, v5
	global_store_b64 v[1:2], v[5:6], off
	s_or_b32 exec_lo, exec_lo, s0
	s_mov_b32 s0, exec_lo
	v_cmpx_gt_u64_e64 s[2:3], v[7:8]
	s_cbranch_execz .LBB205_18
.LBB205_22:                             ;   in Loop: Header=BB205_9 Depth=1
	s_waitcnt vmcnt(0)
	v_bfe_i32 v5, v28, 0, 8
	s_delay_alu instid0(VALU_DEP_1) | instskip(SKIP_2) | instid1(SALU_CYCLE_1)
	v_ashrrev_i32_e32 v6, 31, v5
	global_store_b64 v[3:4], v[5:6], off
	s_or_b32 exec_lo, exec_lo, s0
	s_mov_b32 s0, exec_lo
	v_cmpx_gt_u64_e64 s[2:3], v[9:10]
	s_cbranch_execz .LBB205_19
.LBB205_23:                             ;   in Loop: Header=BB205_9 Depth=1
	s_waitcnt vmcnt(0)
	v_bfe_i32 v5, v29, 0, 8
	v_add_co_u32 v7, vcc_lo, v1, s8
	v_add_co_ci_u32_e32 v8, vcc_lo, 0, v2, vcc_lo
	s_delay_alu instid0(VALU_DEP_3) | instskip(SKIP_2) | instid1(SALU_CYCLE_1)
	v_ashrrev_i32_e32 v6, 31, v5
	global_store_b64 v[7:8], v[5:6], off
	s_or_b32 exec_lo, exec_lo, s0
	s_mov_b32 s0, exec_lo
	v_cmpx_gt_u64_e64 s[2:3], v[11:12]
	s_cbranch_execz .LBB205_8
.LBB205_24:                             ;   in Loop: Header=BB205_9 Depth=1
	s_waitcnt vmcnt(0)
	v_bfe_i32 v5, v30, 0, 8
	v_add_co_u32 v7, vcc_lo, v1, s9
	v_add_co_ci_u32_e32 v8, vcc_lo, 0, v2, vcc_lo
	s_delay_alu instid0(VALU_DEP_3)
	v_ashrrev_i32_e32 v6, 31, v5
	global_store_b64 v[7:8], v[5:6], off
	s_branch .LBB205_8
.LBB205_25:
	s_nop 0
	s_sendmsg sendmsg(MSG_DEALLOC_VGPRS)
	s_endpgm
	.section	.rodata,"a",@progbits
	.p2align	6, 0x0
	.amdhsa_kernel _ZN2at6native12_GLOBAL__N_125multi_tensor_apply_kernelINS1_18TensorListMetadataILi2EEENS1_11CopyFunctorIlaLi2ELi1ELi1EEEJNS0_4CopyIlaEEEEEvT_T0_DpT1_
		.amdhsa_group_segment_fixed_size 0
		.amdhsa_private_segment_fixed_size 0
		.amdhsa_kernarg_size 3408
		.amdhsa_user_sgpr_count 15
		.amdhsa_user_sgpr_dispatch_ptr 0
		.amdhsa_user_sgpr_queue_ptr 0
		.amdhsa_user_sgpr_kernarg_segment_ptr 1
		.amdhsa_user_sgpr_dispatch_id 0
		.amdhsa_user_sgpr_private_segment_size 0
		.amdhsa_wavefront_size32 1
		.amdhsa_uses_dynamic_stack 0
		.amdhsa_enable_private_segment 0
		.amdhsa_system_sgpr_workgroup_id_x 1
		.amdhsa_system_sgpr_workgroup_id_y 0
		.amdhsa_system_sgpr_workgroup_id_z 0
		.amdhsa_system_sgpr_workgroup_info 0
		.amdhsa_system_vgpr_workitem_id 0
		.amdhsa_next_free_vgpr 32
		.amdhsa_next_free_sgpr 21
		.amdhsa_reserve_vcc 1
		.amdhsa_float_round_mode_32 0
		.amdhsa_float_round_mode_16_64 0
		.amdhsa_float_denorm_mode_32 3
		.amdhsa_float_denorm_mode_16_64 3
		.amdhsa_dx10_clamp 1
		.amdhsa_ieee_mode 1
		.amdhsa_fp16_overflow 0
		.amdhsa_workgroup_processor_mode 1
		.amdhsa_memory_ordered 1
		.amdhsa_forward_progress 0
		.amdhsa_shared_vgpr_count 0
		.amdhsa_exception_fp_ieee_invalid_op 0
		.amdhsa_exception_fp_denorm_src 0
		.amdhsa_exception_fp_ieee_div_zero 0
		.amdhsa_exception_fp_ieee_overflow 0
		.amdhsa_exception_fp_ieee_underflow 0
		.amdhsa_exception_fp_ieee_inexact 0
		.amdhsa_exception_int_div_zero 0
	.end_amdhsa_kernel
	.section	.text._ZN2at6native12_GLOBAL__N_125multi_tensor_apply_kernelINS1_18TensorListMetadataILi2EEENS1_11CopyFunctorIlaLi2ELi1ELi1EEEJNS0_4CopyIlaEEEEEvT_T0_DpT1_,"axG",@progbits,_ZN2at6native12_GLOBAL__N_125multi_tensor_apply_kernelINS1_18TensorListMetadataILi2EEENS1_11CopyFunctorIlaLi2ELi1ELi1EEEJNS0_4CopyIlaEEEEEvT_T0_DpT1_,comdat
.Lfunc_end205:
	.size	_ZN2at6native12_GLOBAL__N_125multi_tensor_apply_kernelINS1_18TensorListMetadataILi2EEENS1_11CopyFunctorIlaLi2ELi1ELi1EEEJNS0_4CopyIlaEEEEEvT_T0_DpT1_, .Lfunc_end205-_ZN2at6native12_GLOBAL__N_125multi_tensor_apply_kernelINS1_18TensorListMetadataILi2EEENS1_11CopyFunctorIlaLi2ELi1ELi1EEEJNS0_4CopyIlaEEEEEvT_T0_DpT1_
                                        ; -- End function
	.section	.AMDGPU.csdata,"",@progbits
; Kernel info:
; codeLenInByte = 1544
; NumSgprs: 23
; NumVgprs: 32
; ScratchSize: 0
; MemoryBound: 0
; FloatMode: 240
; IeeeMode: 1
; LDSByteSize: 0 bytes/workgroup (compile time only)
; SGPRBlocks: 2
; VGPRBlocks: 3
; NumSGPRsForWavesPerEU: 23
; NumVGPRsForWavesPerEU: 32
; Occupancy: 16
; WaveLimiterHint : 0
; COMPUTE_PGM_RSRC2:SCRATCH_EN: 0
; COMPUTE_PGM_RSRC2:USER_SGPR: 15
; COMPUTE_PGM_RSRC2:TRAP_HANDLER: 0
; COMPUTE_PGM_RSRC2:TGID_X_EN: 1
; COMPUTE_PGM_RSRC2:TGID_Y_EN: 0
; COMPUTE_PGM_RSRC2:TGID_Z_EN: 0
; COMPUTE_PGM_RSRC2:TIDIG_COMP_CNT: 0
	.section	.text._ZN2at6native12_GLOBAL__N_125multi_tensor_apply_kernelINS1_18TensorListMetadataILi2EEENS1_14UnaryOpFunctorIlLi2ELi1ELi1EEEJNS0_4CopyIllEEEEEvT_T0_DpT1_,"axG",@progbits,_ZN2at6native12_GLOBAL__N_125multi_tensor_apply_kernelINS1_18TensorListMetadataILi2EEENS1_14UnaryOpFunctorIlLi2ELi1ELi1EEEJNS0_4CopyIllEEEEEvT_T0_DpT1_,comdat
	.globl	_ZN2at6native12_GLOBAL__N_125multi_tensor_apply_kernelINS1_18TensorListMetadataILi2EEENS1_14UnaryOpFunctorIlLi2ELi1ELi1EEEJNS0_4CopyIllEEEEEvT_T0_DpT1_ ; -- Begin function _ZN2at6native12_GLOBAL__N_125multi_tensor_apply_kernelINS1_18TensorListMetadataILi2EEENS1_14UnaryOpFunctorIlLi2ELi1ELi1EEEJNS0_4CopyIllEEEEEvT_T0_DpT1_
	.p2align	8
	.type	_ZN2at6native12_GLOBAL__N_125multi_tensor_apply_kernelINS1_18TensorListMetadataILi2EEENS1_14UnaryOpFunctorIlLi2ELi1ELi1EEEJNS0_4CopyIllEEEEEvT_T0_DpT1_,@function
_ZN2at6native12_GLOBAL__N_125multi_tensor_apply_kernelINS1_18TensorListMetadataILi2EEENS1_14UnaryOpFunctorIlLi2ELi1ELi1EEEJNS0_4CopyIllEEEEEvT_T0_DpT1_: ; @_ZN2at6native12_GLOBAL__N_125multi_tensor_apply_kernelINS1_18TensorListMetadataILi2EEENS1_14UnaryOpFunctorIlLi2ELi1ELi1EEEJNS0_4CopyIllEEEEEvT_T0_DpT1_
; %bb.0:
	v_mov_b32_e32 v1, s15
	s_add_u32 s2, s0, s15
	s_mul_hi_u32 s3, s15, 3
	s_mul_i32 s15, s15, 3
	s_addc_u32 s4, s1, 0
	global_load_u8 v1, v1, s[0:1] offset:1536
	s_add_u32 s2, s2, s15
	s_addc_u32 s3, s4, s3
	s_mov_b32 s17, 0
	s_load_b32 s2, s[2:3], 0x740
	s_mov_b32 s19, s17
	s_mov_b32 s21, s17
	s_waitcnt vmcnt(0)
	v_readfirstlane_b32 s5, v1
	s_delay_alu instid0(VALU_DEP_1)
	s_lshl_b32 s3, s5, 3
	s_clause 0x2
	s_load_b64 s[10:11], s[0:1], s3 offset:0x0
	s_load_b64 s[12:13], s[0:1], s3 offset:0x200
	;; [unrolled: 1-line block ×3, first 2 shown]
	s_waitcnt lgkmcnt(0)
	s_ashr_i32 s3, s2, 31
	s_delay_alu instid0(SALU_CYCLE_1) | instskip(NEXT) | instid1(SALU_CYCLE_1)
	s_lshl_b64 s[4:5], s[2:3], 19
	s_add_u32 s8, s10, s4
	s_addc_u32 s9, s11, s5
	s_and_b32 s16, s8, 31
	s_add_u32 s14, s12, s4
	s_addc_u32 s15, s13, s5
	s_and_b32 s18, s6, 3
	s_and_b32 s20, s14, 31
	s_or_b64 s[16:17], s[16:17], s[18:19]
	s_lshl_b64 s[2:3], s[2:3], 16
	s_or_b64 s[16:17], s[20:21], s[16:17]
	s_sub_u32 s6, s6, s2
	s_subb_u32 s7, s7, s3
	s_cmp_eq_u64 s[16:17], 0
	s_mov_b32 s2, -1
	s_cbranch_scc0 .LBB206_5
; %bb.1:
	v_dual_mov_b32 v2, 0 :: v_dual_lshlrev_b32 v1, 2, v0
	s_mov_b32 s16, exec_lo
	s_delay_alu instid0(VALU_DEP_1)
	v_cmpx_gt_i64_e64 s[6:7], v[1:2]
	s_cbranch_execz .LBB206_4
; %bb.2:
	s_load_b32 s2, s[0:1], 0xc5c
	v_lshlrev_b32_e32 v3, 5, v0
	s_mov_b32 s17, 0
	s_waitcnt lgkmcnt(0)
	s_and_b32 s2, s2, 0xffff
	s_delay_alu instid0(SALU_CYCLE_1)
	v_add_lshl_u32 v1, v0, s2, 2
	s_lshl_b32 s18, s2, 2
	s_lshl_b32 s19, s2, 5
	s_set_inst_prefetch_distance 0x1
	.p2align	6
.LBB206_3:                              ; =>This Inner Loop Header: Depth=1
	v_add_co_u32 v8, s2, s8, v3
	s_delay_alu instid0(VALU_DEP_1)
	v_add_co_ci_u32_e64 v9, null, s9, 0, s2
	v_cmp_le_i64_e32 vcc_lo, s[6:7], v[1:2]
	v_cmp_lt_u64_e64 s2, 0xffff, v[1:2]
	v_add_co_u32 v12, s3, s14, v3
	s_clause 0x1
	global_load_b128 v[4:7], v[8:9], off
	global_load_b128 v[8:11], v[8:9], off offset:16
	v_add_co_ci_u32_e64 v13, null, s15, 0, s3
	s_or_b32 s2, vcc_lo, s2
	s_add_u32 s8, s8, s19
	v_add_co_u32 v1, s3, v1, s18
	s_addc_u32 s9, s9, 0
	s_add_u32 s14, s14, s19
	v_add_co_ci_u32_e64 v2, s3, 0, v2, s3
	s_addc_u32 s15, s15, 0
	s_and_b32 s2, exec_lo, s2
	s_waitcnt vmcnt(1)
	global_store_b128 v[12:13], v[4:7], off
	s_waitcnt vmcnt(0)
	global_store_b128 v[12:13], v[8:11], off offset:16
	s_or_b32 s17, s2, s17
	s_delay_alu instid0(SALU_CYCLE_1)
	s_and_not1_b32 exec_lo, exec_lo, s17
	s_cbranch_execnz .LBB206_3
.LBB206_4:
	s_set_inst_prefetch_distance 0x2
	s_or_b32 exec_lo, exec_lo, s16
	s_mov_b32 s2, 0
.LBB206_5:
	s_delay_alu instid0(SALU_CYCLE_1)
	s_and_not1_b32 vcc_lo, exec_lo, s2
	s_cbranch_vccnz .LBB206_25
; %bb.6:
	v_cmp_lt_i64_e64 s2, s[6:7], 1
	s_delay_alu instid0(VALU_DEP_1)
	s_and_b32 vcc_lo, exec_lo, s2
	s_cbranch_vccnz .LBB206_25
; %bb.7:
	s_load_b32 s0, s[0:1], 0xc5c
	v_dual_mov_b32 v2, 0 :: v_dual_lshlrev_b32 v1, 3, v0
	v_cmp_gt_u64_e64 s1, 0x10000, s[6:7]
	s_delay_alu instid0(VALU_DEP_2) | instskip(NEXT) | instid1(VALU_DEP_1)
	v_add_co_u32 v9, s2, s10, v1
	v_add_co_ci_u32_e64 v10, null, s11, 0, s2
	v_add_co_u32 v11, s2, s12, v1
	s_delay_alu instid0(VALU_DEP_1)
	v_add_co_ci_u32_e64 v12, null, s13, 0, s2
	s_waitcnt lgkmcnt(0)
	s_and_b32 s0, s0, 0xffff
	s_and_b32 s1, s1, exec_lo
	v_mad_u64_u32 v[3:4], null, s0, 24, v[1:2]
	s_cselect_b32 s9, s7, 0
	s_cselect_b32 s8, s6, 0x10000
	s_lshl_b32 s3, s0, 4
	s_mul_i32 s2, s0, 3
	v_add_co_u32 v1, s3, s3, v1
	s_delay_alu instid0(VALU_DEP_2) | instskip(NEXT) | instid1(VALU_DEP_3)
	v_add_co_u32 v13, vcc_lo, s10, v3
	v_add_co_ci_u32_e32 v14, vcc_lo, s11, v4, vcc_lo
	v_add_co_u32 v17, s2, s2, v0
	v_add_co_u32 v15, vcc_lo, s12, v3
	v_add_co_ci_u32_e64 v2, null, 0, 0, s3
	v_add_co_ci_u32_e64 v18, null, 0, 0, s2
	v_add_co_u32 v21, s2, v0, s0
	v_add_co_ci_u32_e32 v16, vcc_lo, s13, v4, vcc_lo
	v_add_co_u32 v19, vcc_lo, s10, v1
	v_add_co_ci_u32_e32 v20, vcc_lo, s11, v2, vcc_lo
	v_add_co_u32 v22, vcc_lo, s12, v1
	v_lshlrev_b32_e32 v1, 3, v21
	s_lshl_b32 s1, s0, 1
	v_add_co_ci_u32_e32 v23, vcc_lo, s13, v2, vcc_lo
	v_add_co_u32 v25, s1, s1, v0
	s_delay_alu instid0(VALU_DEP_1) | instskip(SKIP_1) | instid1(VALU_DEP_1)
	v_add_co_ci_u32_e64 v26, null, 0, 0, s1
	v_add_co_u32 v27, s1, s10, v1
	v_add_co_ci_u32_e64 v28, null, s11, 0, s1
	v_add_co_u32 v29, s1, s12, v1
	v_add_co_ci_u32_e64 v24, null, 0, 0, s2
	v_add_co_ci_u32_e64 v30, null, s13, 0, s1
	s_lshl_b32 s12, s0, 2
	s_lshl_b32 s13, s0, 5
	s_mov_b64 s[10:11], 0
	s_branch .LBB206_9
.LBB206_8:                              ;   in Loop: Header=BB206_9 Depth=1
	s_or_b32 exec_lo, exec_lo, s0
	v_add_co_u32 v9, vcc_lo, v9, s13
	v_add_co_ci_u32_e32 v10, vcc_lo, 0, v10, vcc_lo
	v_add_co_u32 v11, vcc_lo, v11, s13
	v_add_co_ci_u32_e32 v12, vcc_lo, 0, v12, vcc_lo
	;; [unrolled: 2-line block ×5, first 2 shown]
	s_add_u32 s10, s10, s12
	v_add_co_u32 v22, vcc_lo, v22, s13
	s_addc_u32 s11, s11, 0
	v_add_co_ci_u32_e32 v23, vcc_lo, 0, v23, vcc_lo
	v_cmp_ge_i64_e64 s0, s[10:11], s[6:7]
	v_cmp_lt_u64_e64 s1, 0xffff, s[10:11]
	v_add_co_u32 v27, vcc_lo, v27, s13
	v_add_co_ci_u32_e32 v28, vcc_lo, 0, v28, vcc_lo
	v_add_co_u32 v29, vcc_lo, v29, s13
	v_add_co_ci_u32_e32 v30, vcc_lo, 0, v30, vcc_lo
	s_or_b32 s0, s0, s1
	s_delay_alu instid0(SALU_CYCLE_1)
	s_and_b32 vcc_lo, exec_lo, s0
	s_cbranch_vccnz .LBB206_25
.LBB206_9:                              ; =>This Inner Loop Header: Depth=1
	s_waitcnt vmcnt(0)
	v_add_co_u32 v3, s0, v0, s10
	s_delay_alu instid0(VALU_DEP_1) | instskip(SKIP_2) | instid1(VALU_DEP_3)
	v_add_co_ci_u32_e64 v4, null, 0, s11, s0
	v_mov_b32_e32 v1, 0
	v_mov_b32_e32 v2, 0
	v_cmp_gt_u64_e32 vcc_lo, s[8:9], v[3:4]
	s_delay_alu instid0(VALU_DEP_2)
	v_dual_mov_b32 v4, v2 :: v_dual_mov_b32 v3, v1
	s_and_saveexec_b32 s1, vcc_lo
	s_cbranch_execz .LBB206_11
; %bb.10:                               ;   in Loop: Header=BB206_9 Depth=1
	v_add_co_u32 v3, s0, v9, s4
	s_delay_alu instid0(VALU_DEP_1)
	v_add_co_ci_u32_e64 v4, s0, s5, v10, s0
	global_load_b64 v[3:4], v[3:4], off
.LBB206_11:                             ;   in Loop: Header=BB206_9 Depth=1
	s_or_b32 exec_lo, exec_lo, s1
	v_add_co_u32 v5, s0, v21, s10
	s_delay_alu instid0(VALU_DEP_1) | instskip(NEXT) | instid1(VALU_DEP_1)
	v_add_co_ci_u32_e64 v6, s0, s11, v24, s0
	v_cmp_gt_u64_e64 s0, s[8:9], v[5:6]
	s_delay_alu instid0(VALU_DEP_1)
	s_and_saveexec_b32 s2, s0
	s_cbranch_execz .LBB206_13
; %bb.12:                               ;   in Loop: Header=BB206_9 Depth=1
	v_add_co_u32 v1, s1, v27, s4
	s_delay_alu instid0(VALU_DEP_1)
	v_add_co_ci_u32_e64 v2, s1, s5, v28, s1
	global_load_b64 v[1:2], v[1:2], off
.LBB206_13:                             ;   in Loop: Header=BB206_9 Depth=1
	s_or_b32 exec_lo, exec_lo, s2
	v_add_co_u32 v7, s1, v25, s10
	s_delay_alu instid0(VALU_DEP_1) | instskip(SKIP_2) | instid1(VALU_DEP_3)
	v_add_co_ci_u32_e64 v8, s1, s11, v26, s1
	v_mov_b32_e32 v5, 0
	v_mov_b32_e32 v6, 0
	v_cmp_gt_u64_e64 s1, s[8:9], v[7:8]
	s_delay_alu instid0(VALU_DEP_2) | instskip(NEXT) | instid1(VALU_DEP_2)
	v_dual_mov_b32 v8, v6 :: v_dual_mov_b32 v7, v5
	s_and_saveexec_b32 s3, s1
	s_cbranch_execz .LBB206_15
; %bb.14:                               ;   in Loop: Header=BB206_9 Depth=1
	v_add_co_u32 v7, s2, v19, s4
	s_delay_alu instid0(VALU_DEP_1)
	v_add_co_ci_u32_e64 v8, s2, s5, v20, s2
	global_load_b64 v[7:8], v[7:8], off
.LBB206_15:                             ;   in Loop: Header=BB206_9 Depth=1
	s_or_b32 exec_lo, exec_lo, s3
	v_add_co_u32 v31, s2, v17, s10
	s_delay_alu instid0(VALU_DEP_1) | instskip(NEXT) | instid1(VALU_DEP_1)
	v_add_co_ci_u32_e64 v32, s2, s11, v18, s2
	v_cmp_gt_u64_e64 s2, s[8:9], v[31:32]
	s_delay_alu instid0(VALU_DEP_1)
	s_and_saveexec_b32 s14, s2
	s_cbranch_execnz .LBB206_20
; %bb.16:                               ;   in Loop: Header=BB206_9 Depth=1
	s_or_b32 exec_lo, exec_lo, s14
	s_and_saveexec_b32 s3, vcc_lo
	s_cbranch_execnz .LBB206_21
.LBB206_17:                             ;   in Loop: Header=BB206_9 Depth=1
	s_or_b32 exec_lo, exec_lo, s3
	s_and_saveexec_b32 s3, s0
	s_cbranch_execnz .LBB206_22
.LBB206_18:                             ;   in Loop: Header=BB206_9 Depth=1
	s_or_b32 exec_lo, exec_lo, s3
	s_and_saveexec_b32 s0, s1
	s_cbranch_execnz .LBB206_23
.LBB206_19:                             ;   in Loop: Header=BB206_9 Depth=1
	s_or_b32 exec_lo, exec_lo, s0
	s_and_saveexec_b32 s0, s2
	s_cbranch_execz .LBB206_8
	s_branch .LBB206_24
.LBB206_20:                             ;   in Loop: Header=BB206_9 Depth=1
	v_add_co_u32 v5, s3, v13, s4
	s_delay_alu instid0(VALU_DEP_1)
	v_add_co_ci_u32_e64 v6, s3, s5, v14, s3
	global_load_b64 v[5:6], v[5:6], off
	s_or_b32 exec_lo, exec_lo, s14
	s_and_saveexec_b32 s3, vcc_lo
	s_cbranch_execz .LBB206_17
.LBB206_21:                             ;   in Loop: Header=BB206_9 Depth=1
	v_add_co_u32 v31, vcc_lo, v11, s4
	v_add_co_ci_u32_e32 v32, vcc_lo, s5, v12, vcc_lo
	s_waitcnt vmcnt(0)
	global_store_b64 v[31:32], v[3:4], off
	s_or_b32 exec_lo, exec_lo, s3
	s_and_saveexec_b32 s3, s0
	s_cbranch_execz .LBB206_18
.LBB206_22:                             ;   in Loop: Header=BB206_9 Depth=1
	s_waitcnt vmcnt(0)
	v_add_co_u32 v3, vcc_lo, v29, s4
	v_add_co_ci_u32_e32 v4, vcc_lo, s5, v30, vcc_lo
	global_store_b64 v[3:4], v[1:2], off
	s_or_b32 exec_lo, exec_lo, s3
	s_and_saveexec_b32 s0, s1
	s_cbranch_execz .LBB206_19
.LBB206_23:                             ;   in Loop: Header=BB206_9 Depth=1
	s_waitcnt vmcnt(0)
	v_add_co_u32 v1, vcc_lo, v22, s4
	v_add_co_ci_u32_e32 v2, vcc_lo, s5, v23, vcc_lo
	global_store_b64 v[1:2], v[7:8], off
	s_or_b32 exec_lo, exec_lo, s0
	s_and_saveexec_b32 s0, s2
	s_cbranch_execz .LBB206_8
.LBB206_24:                             ;   in Loop: Header=BB206_9 Depth=1
	s_waitcnt vmcnt(0)
	v_add_co_u32 v1, vcc_lo, v15, s4
	v_add_co_ci_u32_e32 v2, vcc_lo, s5, v16, vcc_lo
	global_store_b64 v[1:2], v[5:6], off
	s_branch .LBB206_8
.LBB206_25:
	s_nop 0
	s_sendmsg sendmsg(MSG_DEALLOC_VGPRS)
	s_endpgm
	.section	.rodata,"a",@progbits
	.p2align	6, 0x0
	.amdhsa_kernel _ZN2at6native12_GLOBAL__N_125multi_tensor_apply_kernelINS1_18TensorListMetadataILi2EEENS1_14UnaryOpFunctorIlLi2ELi1ELi1EEEJNS0_4CopyIllEEEEEvT_T0_DpT1_
		.amdhsa_group_segment_fixed_size 0
		.amdhsa_private_segment_fixed_size 0
		.amdhsa_kernarg_size 3408
		.amdhsa_user_sgpr_count 15
		.amdhsa_user_sgpr_dispatch_ptr 0
		.amdhsa_user_sgpr_queue_ptr 0
		.amdhsa_user_sgpr_kernarg_segment_ptr 1
		.amdhsa_user_sgpr_dispatch_id 0
		.amdhsa_user_sgpr_private_segment_size 0
		.amdhsa_wavefront_size32 1
		.amdhsa_uses_dynamic_stack 0
		.amdhsa_enable_private_segment 0
		.amdhsa_system_sgpr_workgroup_id_x 1
		.amdhsa_system_sgpr_workgroup_id_y 0
		.amdhsa_system_sgpr_workgroup_id_z 0
		.amdhsa_system_sgpr_workgroup_info 0
		.amdhsa_system_vgpr_workitem_id 0
		.amdhsa_next_free_vgpr 33
		.amdhsa_next_free_sgpr 22
		.amdhsa_reserve_vcc 1
		.amdhsa_float_round_mode_32 0
		.amdhsa_float_round_mode_16_64 0
		.amdhsa_float_denorm_mode_32 3
		.amdhsa_float_denorm_mode_16_64 3
		.amdhsa_dx10_clamp 1
		.amdhsa_ieee_mode 1
		.amdhsa_fp16_overflow 0
		.amdhsa_workgroup_processor_mode 1
		.amdhsa_memory_ordered 1
		.amdhsa_forward_progress 0
		.amdhsa_shared_vgpr_count 0
		.amdhsa_exception_fp_ieee_invalid_op 0
		.amdhsa_exception_fp_denorm_src 0
		.amdhsa_exception_fp_ieee_div_zero 0
		.amdhsa_exception_fp_ieee_overflow 0
		.amdhsa_exception_fp_ieee_underflow 0
		.amdhsa_exception_fp_ieee_inexact 0
		.amdhsa_exception_int_div_zero 0
	.end_amdhsa_kernel
	.section	.text._ZN2at6native12_GLOBAL__N_125multi_tensor_apply_kernelINS1_18TensorListMetadataILi2EEENS1_14UnaryOpFunctorIlLi2ELi1ELi1EEEJNS0_4CopyIllEEEEEvT_T0_DpT1_,"axG",@progbits,_ZN2at6native12_GLOBAL__N_125multi_tensor_apply_kernelINS1_18TensorListMetadataILi2EEENS1_14UnaryOpFunctorIlLi2ELi1ELi1EEEJNS0_4CopyIllEEEEEvT_T0_DpT1_,comdat
.Lfunc_end206:
	.size	_ZN2at6native12_GLOBAL__N_125multi_tensor_apply_kernelINS1_18TensorListMetadataILi2EEENS1_14UnaryOpFunctorIlLi2ELi1ELi1EEEJNS0_4CopyIllEEEEEvT_T0_DpT1_, .Lfunc_end206-_ZN2at6native12_GLOBAL__N_125multi_tensor_apply_kernelINS1_18TensorListMetadataILi2EEENS1_14UnaryOpFunctorIlLi2ELi1ELi1EEEJNS0_4CopyIllEEEEEvT_T0_DpT1_
                                        ; -- End function
	.section	.AMDGPU.csdata,"",@progbits
; Kernel info:
; codeLenInByte = 1412
; NumSgprs: 24
; NumVgprs: 33
; ScratchSize: 0
; MemoryBound: 0
; FloatMode: 240
; IeeeMode: 1
; LDSByteSize: 0 bytes/workgroup (compile time only)
; SGPRBlocks: 2
; VGPRBlocks: 4
; NumSGPRsForWavesPerEU: 24
; NumVGPRsForWavesPerEU: 33
; Occupancy: 16
; WaveLimiterHint : 0
; COMPUTE_PGM_RSRC2:SCRATCH_EN: 0
; COMPUTE_PGM_RSRC2:USER_SGPR: 15
; COMPUTE_PGM_RSRC2:TRAP_HANDLER: 0
; COMPUTE_PGM_RSRC2:TGID_X_EN: 1
; COMPUTE_PGM_RSRC2:TGID_Y_EN: 0
; COMPUTE_PGM_RSRC2:TGID_Z_EN: 0
; COMPUTE_PGM_RSRC2:TIDIG_COMP_CNT: 0
	.section	.text._ZN2at6native12_GLOBAL__N_125multi_tensor_apply_kernelINS1_18TensorListMetadataILi2EEENS1_11CopyFunctorIlsLi2ELi1ELi1EEEJNS0_4CopyIlsEEEEEvT_T0_DpT1_,"axG",@progbits,_ZN2at6native12_GLOBAL__N_125multi_tensor_apply_kernelINS1_18TensorListMetadataILi2EEENS1_11CopyFunctorIlsLi2ELi1ELi1EEEJNS0_4CopyIlsEEEEEvT_T0_DpT1_,comdat
	.globl	_ZN2at6native12_GLOBAL__N_125multi_tensor_apply_kernelINS1_18TensorListMetadataILi2EEENS1_11CopyFunctorIlsLi2ELi1ELi1EEEJNS0_4CopyIlsEEEEEvT_T0_DpT1_ ; -- Begin function _ZN2at6native12_GLOBAL__N_125multi_tensor_apply_kernelINS1_18TensorListMetadataILi2EEENS1_11CopyFunctorIlsLi2ELi1ELi1EEEJNS0_4CopyIlsEEEEEvT_T0_DpT1_
	.p2align	8
	.type	_ZN2at6native12_GLOBAL__N_125multi_tensor_apply_kernelINS1_18TensorListMetadataILi2EEENS1_11CopyFunctorIlsLi2ELi1ELi1EEEJNS0_4CopyIlsEEEEEvT_T0_DpT1_,@function
_ZN2at6native12_GLOBAL__N_125multi_tensor_apply_kernelINS1_18TensorListMetadataILi2EEENS1_11CopyFunctorIlsLi2ELi1ELi1EEEJNS0_4CopyIlsEEEEEvT_T0_DpT1_: ; @_ZN2at6native12_GLOBAL__N_125multi_tensor_apply_kernelINS1_18TensorListMetadataILi2EEENS1_11CopyFunctorIlsLi2ELi1ELi1EEEJNS0_4CopyIlsEEEEEvT_T0_DpT1_
; %bb.0:
	v_mov_b32_e32 v1, s15
	s_add_u32 s2, s0, s15
	s_mul_hi_u32 s3, s15, 3
	s_mul_i32 s15, s15, 3
	s_addc_u32 s4, s1, 0
	global_load_u8 v1, v1, s[0:1] offset:1536
	s_add_u32 s2, s2, s15
	s_addc_u32 s3, s4, s3
	s_mov_b32 s15, 0
	s_load_b32 s8, s[2:3], 0x740
	s_waitcnt lgkmcnt(0)
	s_ashr_i32 s9, s8, 31
	s_delay_alu instid0(SALU_CYCLE_1) | instskip(SKIP_3) | instid1(VALU_DEP_1)
	s_lshl_b64 s[10:11], s[8:9], 17
	s_lshl_b64 s[16:17], s[8:9], 16
	s_waitcnt vmcnt(0)
	v_readfirstlane_b32 s5, v1
	s_lshl_b32 s4, s5, 3
	s_clause 0x2
	s_load_b64 s[2:3], s[0:1], s4 offset:0x0
	s_load_b64 s[6:7], s[0:1], s4 offset:0x200
	;; [unrolled: 1-line block ×3, first 2 shown]
	s_waitcnt lgkmcnt(0)
	s_add_u32 s12, s2, s10
	s_addc_u32 s13, s3, s11
	s_and_b32 s18, s6, 31
	s_and_b32 s19, s4, 3
	;; [unrolled: 1-line block ×3, first 2 shown]
	s_or_b32 s18, s19, s18
	s_mov_b32 s19, s15
	s_delay_alu instid0(SALU_CYCLE_1)
	s_or_b64 s[14:15], s[14:15], s[18:19]
	s_sub_u32 s4, s4, s16
	s_subb_u32 s5, s5, s17
	s_cmp_eq_u64 s[14:15], 0
	s_mov_b32 s14, -1
	s_cbranch_scc0 .LBB207_5
; %bb.1:
	v_dual_mov_b32 v2, 0 :: v_dual_lshlrev_b32 v1, 2, v0
	s_mov_b32 s14, exec_lo
	s_delay_alu instid0(VALU_DEP_1)
	v_cmpx_gt_i64_e64 s[4:5], v[1:2]
	s_cbranch_execz .LBB207_4
; %bb.2:
	s_load_b32 s15, s[0:1], 0xc5c
	v_lshlrev_b32_e32 v4, 5, v0
	v_lshlrev_b32_e32 v3, 3, v0
	s_waitcnt lgkmcnt(0)
	s_and_b32 s16, s15, 0xffff
	s_add_u32 s15, s2, s10
	s_addc_u32 s17, s3, s11
	s_lshl_b64 s[2:3], s[8:9], 19
	s_lshl_b32 s10, s16, 3
	s_lshl_b32 s11, s16, 2
	s_add_u32 s2, s6, s2
	s_addc_u32 s3, s7, s3
	v_add_co_u32 v5, s2, s2, v4
	s_delay_alu instid0(VALU_DEP_1) | instskip(SKIP_1) | instid1(VALU_DEP_3)
	v_add_co_ci_u32_e64 v6, null, s3, 0, s2
	v_add_co_u32 v3, s2, s15, v3
	v_add_co_u32 v5, vcc_lo, v5, 16
	v_add_lshl_u32 v1, v0, s16, 2
	v_add_co_ci_u32_e64 v4, null, s17, 0, s2
	v_add_co_ci_u32_e32 v6, vcc_lo, 0, v6, vcc_lo
	s_mov_b32 s15, 0
	s_lshl_b32 s16, s16, 5
	s_set_inst_prefetch_distance 0x1
	.p2align	6
.LBB207_3:                              ; =>This Inner Loop Header: Depth=1
	global_load_b64 v[7:8], v[3:4], off
	v_cmp_le_i64_e32 vcc_lo, s[4:5], v[1:2]
	v_cmp_lt_u64_e64 s2, 0xffff, v[1:2]
	v_add_co_u32 v3, s3, v3, s10
	s_delay_alu instid0(VALU_DEP_1) | instskip(SKIP_1) | instid1(VALU_DEP_4)
	v_add_co_ci_u32_e64 v4, s3, 0, v4, s3
	v_add_co_u32 v1, s3, v1, s11
	s_or_b32 s2, vcc_lo, s2
	v_add_co_ci_u32_e64 v2, s3, 0, v2, s3
	s_and_b32 s2, exec_lo, s2
	s_delay_alu instid0(SALU_CYCLE_1)
	s_or_b32 s15, s2, s15
	s_waitcnt vmcnt(0)
	v_lshrrev_b32_e32 v9, 16, v7
	v_mov_b32_e32 v10, v8
	v_lshrrev_b32_e32 v8, 16, v8
	v_bfe_i32 v7, v7, 0, 16
	s_delay_alu instid0(VALU_DEP_4) | instskip(NEXT) | instid1(VALU_DEP_4)
	v_bfe_i32 v9, v9, 0, 16
	v_bfe_i32 v11, v10, 0, 16
	s_delay_alu instid0(VALU_DEP_4) | instskip(NEXT) | instid1(VALU_DEP_4)
	v_bfe_i32 v13, v8, 0, 16
	v_ashrrev_i32_e32 v8, 31, v7
	s_delay_alu instid0(VALU_DEP_4) | instskip(NEXT) | instid1(VALU_DEP_4)
	v_ashrrev_i32_e32 v10, 31, v9
	v_ashrrev_i32_e32 v12, 31, v11
	s_delay_alu instid0(VALU_DEP_4)
	v_ashrrev_i32_e32 v14, 31, v13
	s_clause 0x1
	global_store_b128 v[5:6], v[7:10], off offset:-16
	global_store_b128 v[5:6], v[11:14], off
	v_add_co_u32 v5, vcc_lo, v5, s16
	v_add_co_ci_u32_e32 v6, vcc_lo, 0, v6, vcc_lo
	s_and_not1_b32 exec_lo, exec_lo, s15
	s_cbranch_execnz .LBB207_3
.LBB207_4:
	s_set_inst_prefetch_distance 0x2
	s_or_b32 exec_lo, exec_lo, s14
	s_mov_b32 s14, 0
.LBB207_5:
	s_delay_alu instid0(SALU_CYCLE_1)
	s_and_not1_b32 vcc_lo, exec_lo, s14
	s_cbranch_vccnz .LBB207_25
; %bb.6:
	v_cmp_lt_i64_e64 s2, s[4:5], 1
	s_delay_alu instid0(VALU_DEP_1)
	s_and_b32 vcc_lo, exec_lo, s2
	s_cbranch_vccnz .LBB207_25
; %bb.7:
	s_load_b32 s0, s[0:1], 0xc5c
	v_cmp_gt_u64_e64 s1, 0x10000, s[4:5]
	v_dual_mov_b32 v2, 0 :: v_dual_lshlrev_b32 v5, 3, v0
	v_lshlrev_b32_e32 v1, 1, v0
                                        ; implicit-def: $vgpr9_vgpr10
	s_waitcnt lgkmcnt(0)
	s_and_b32 s0, s0, 0xffff
	s_delay_alu instid0(VALU_DEP_3)
	s_and_b32 s1, s1, exec_lo
	s_cselect_b32 s3, s5, 0
	s_cselect_b32 s2, s4, 0x10000
	s_lshl_b64 s[8:9], s[8:9], 19
	s_lshl_b32 s11, s0, 1
	s_lshl_b32 s1, s0, 2
	;; [unrolled: 1-line block ×3, first 2 shown]
	s_add_u32 s6, s6, s8
	s_addc_u32 s7, s7, s9
	v_add_co_u32 v5, s9, s6, v5
	s_delay_alu instid0(VALU_DEP_1) | instskip(SKIP_3) | instid1(VALU_DEP_2)
	v_add_co_ci_u32_e64 v6, null, s7, 0, s9
	v_add_co_u32 v20, s9, v0, s0
	s_mul_i32 s14, s0, 3
	v_mad_u64_u32 v[3:4], null, s0, 6, v[1:2]
	v_lshlrev_b32_e32 v7, 3, v20
	v_add_co_u32 v2, s8, s14, v0
	v_add_co_u32 v21, s14, s1, v1
	v_add_co_ci_u32_e64 v23, null, 0, 0, s9
	v_add_co_u32 v24, s9, s11, v0
	v_add_co_u32 v7, s6, s6, v7
	v_add_co_ci_u32_e64 v19, null, 0, 0, s8
	v_add_co_ci_u32_e64 v22, null, 0, 0, s14
	;; [unrolled: 1-line block ×3, first 2 shown]
	v_lshlrev_b32_e32 v26, 1, v20
	v_add_co_ci_u32_e64 v8, null, s7, 0, s6
	s_lshl_b32 s8, s0, 5
	s_mul_i32 s9, s0, 24
	s_lshl_b32 s11, s0, 4
	s_mov_b64 s[6:7], 0
	s_branch .LBB207_9
.LBB207_8:                              ;   in Loop: Header=BB207_9 Depth=1
	s_or_b32 exec_lo, exec_lo, s0
	s_add_u32 s6, s6, s1
	s_addc_u32 s7, s7, 0
	v_add_co_u32 v5, vcc_lo, v5, s8
	v_cmp_ge_i64_e64 s0, s[6:7], s[4:5]
	v_cmp_lt_u64_e64 s14, 0xffff, s[6:7]
	v_add_co_ci_u32_e32 v6, vcc_lo, 0, v6, vcc_lo
	v_add_co_u32 v7, vcc_lo, v7, s8
	v_add_co_ci_u32_e32 v8, vcc_lo, 0, v8, vcc_lo
	s_delay_alu instid0(VALU_DEP_4)
	s_or_b32 s0, s0, s14
	s_add_u32 s12, s12, s10
	s_addc_u32 s13, s13, 0
	s_and_b32 vcc_lo, exec_lo, s0
	s_cbranch_vccnz .LBB207_25
.LBB207_9:                              ; =>This Inner Loop Header: Depth=1
	v_add_co_u32 v11, s0, v0, s6
	s_delay_alu instid0(VALU_DEP_1) | instskip(NEXT) | instid1(VALU_DEP_1)
	v_add_co_ci_u32_e64 v12, null, 0, s7, s0
	v_cmp_gt_i64_e32 vcc_lo, s[4:5], v[11:12]
	v_cmp_gt_u64_e64 s0, 0x10000, v[11:12]
	s_delay_alu instid0(VALU_DEP_1) | instskip(NEXT) | instid1(SALU_CYCLE_1)
	s_and_b32 s14, vcc_lo, s0
	s_and_saveexec_b32 s0, s14
	s_cbranch_execz .LBB207_11
; %bb.10:                               ;   in Loop: Header=BB207_9 Depth=1
	v_add_co_u32 v13, s14, s12, v1
	s_delay_alu instid0(VALU_DEP_1)
	v_add_co_ci_u32_e64 v14, null, s13, 0, s14
	global_load_d16_b16 v9, v[13:14], off
.LBB207_11:                             ;   in Loop: Header=BB207_9 Depth=1
	s_or_b32 exec_lo, exec_lo, s0
	v_add_co_u32 v13, vcc_lo, v20, s6
	v_add_co_ci_u32_e32 v14, vcc_lo, s7, v23, vcc_lo
	s_delay_alu instid0(VALU_DEP_1) | instskip(SKIP_1) | instid1(VALU_DEP_1)
	v_cmp_gt_i64_e32 vcc_lo, s[4:5], v[13:14]
	v_cmp_gt_u64_e64 s0, 0x10000, v[13:14]
	s_and_b32 s14, vcc_lo, s0
	s_delay_alu instid0(SALU_CYCLE_1)
	s_and_saveexec_b32 s0, s14
	s_cbranch_execz .LBB207_13
; %bb.12:                               ;   in Loop: Header=BB207_9 Depth=1
	v_add_co_u32 v15, s14, s12, v26
	s_delay_alu instid0(VALU_DEP_1)
	v_add_co_ci_u32_e64 v16, null, s13, 0, s14
	global_load_d16_hi_b16 v9, v[15:16], off
.LBB207_13:                             ;   in Loop: Header=BB207_9 Depth=1
	s_or_b32 exec_lo, exec_lo, s0
	v_add_co_u32 v15, vcc_lo, v24, s6
	v_add_co_ci_u32_e32 v16, vcc_lo, s7, v25, vcc_lo
	s_delay_alu instid0(VALU_DEP_1) | instskip(SKIP_1) | instid1(VALU_DEP_1)
	v_cmp_gt_i64_e32 vcc_lo, s[4:5], v[15:16]
	v_cmp_gt_u64_e64 s0, 0x10000, v[15:16]
	s_and_b32 s14, vcc_lo, s0
	s_delay_alu instid0(SALU_CYCLE_1)
	s_and_saveexec_b32 s0, s14
	s_cbranch_execz .LBB207_15
; %bb.14:                               ;   in Loop: Header=BB207_9 Depth=1
	v_add_co_u32 v17, vcc_lo, s12, v21
	v_add_co_ci_u32_e32 v18, vcc_lo, s13, v22, vcc_lo
	global_load_d16_b16 v10, v[17:18], off
.LBB207_15:                             ;   in Loop: Header=BB207_9 Depth=1
	s_or_b32 exec_lo, exec_lo, s0
	v_add_co_u32 v17, vcc_lo, v2, s6
	v_add_co_ci_u32_e32 v18, vcc_lo, s7, v19, vcc_lo
	s_delay_alu instid0(VALU_DEP_1) | instskip(SKIP_1) | instid1(VALU_DEP_1)
	v_cmp_gt_i64_e32 vcc_lo, s[4:5], v[17:18]
	v_cmp_gt_u64_e64 s0, 0x10000, v[17:18]
	s_and_b32 s14, vcc_lo, s0
	s_delay_alu instid0(SALU_CYCLE_1)
	s_and_saveexec_b32 s0, s14
	s_cbranch_execnz .LBB207_20
; %bb.16:                               ;   in Loop: Header=BB207_9 Depth=1
	s_or_b32 exec_lo, exec_lo, s0
	s_delay_alu instid0(SALU_CYCLE_1)
	s_mov_b32 s0, exec_lo
	v_cmpx_gt_u64_e64 s[2:3], v[11:12]
	s_cbranch_execnz .LBB207_21
.LBB207_17:                             ;   in Loop: Header=BB207_9 Depth=1
	s_or_b32 exec_lo, exec_lo, s0
	s_delay_alu instid0(SALU_CYCLE_1)
	s_mov_b32 s0, exec_lo
	v_cmpx_gt_u64_e64 s[2:3], v[13:14]
	s_cbranch_execnz .LBB207_22
.LBB207_18:                             ;   in Loop: Header=BB207_9 Depth=1
	s_or_b32 exec_lo, exec_lo, s0
	s_delay_alu instid0(SALU_CYCLE_1)
	s_mov_b32 s0, exec_lo
	v_cmpx_gt_u64_e64 s[2:3], v[15:16]
	s_cbranch_execnz .LBB207_23
.LBB207_19:                             ;   in Loop: Header=BB207_9 Depth=1
	s_or_b32 exec_lo, exec_lo, s0
	s_delay_alu instid0(SALU_CYCLE_1)
	s_mov_b32 s0, exec_lo
	v_cmpx_gt_u64_e64 s[2:3], v[17:18]
	s_cbranch_execz .LBB207_8
	s_branch .LBB207_24
.LBB207_20:                             ;   in Loop: Header=BB207_9 Depth=1
	v_add_co_u32 v27, vcc_lo, s12, v3
	v_add_co_ci_u32_e32 v28, vcc_lo, s13, v4, vcc_lo
	global_load_d16_hi_b16 v10, v[27:28], off
	s_or_b32 exec_lo, exec_lo, s0
	s_delay_alu instid0(SALU_CYCLE_1)
	s_mov_b32 s0, exec_lo
	v_cmpx_gt_u64_e64 s[2:3], v[11:12]
	s_cbranch_execz .LBB207_17
.LBB207_21:                             ;   in Loop: Header=BB207_9 Depth=1
	s_waitcnt vmcnt(0)
	v_bfe_i32 v11, v9, 0, 16
	s_delay_alu instid0(VALU_DEP_1) | instskip(SKIP_2) | instid1(SALU_CYCLE_1)
	v_ashrrev_i32_e32 v12, 31, v11
	global_store_b64 v[5:6], v[11:12], off
	s_or_b32 exec_lo, exec_lo, s0
	s_mov_b32 s0, exec_lo
	v_cmpx_gt_u64_e64 s[2:3], v[13:14]
	s_cbranch_execz .LBB207_18
.LBB207_22:                             ;   in Loop: Header=BB207_9 Depth=1
	s_waitcnt vmcnt(0)
	v_lshrrev_b32_e32 v11, 16, v9
	s_delay_alu instid0(VALU_DEP_1) | instskip(NEXT) | instid1(VALU_DEP_1)
	v_bfe_i32 v11, v11, 0, 16
	v_ashrrev_i32_e32 v12, 31, v11
	global_store_b64 v[7:8], v[11:12], off
	s_or_b32 exec_lo, exec_lo, s0
	s_delay_alu instid0(SALU_CYCLE_1)
	s_mov_b32 s0, exec_lo
	v_cmpx_gt_u64_e64 s[2:3], v[15:16]
	s_cbranch_execz .LBB207_19
.LBB207_23:                             ;   in Loop: Header=BB207_9 Depth=1
	s_waitcnt vmcnt(0)
	v_mov_b32_e32 v11, v10
	v_add_co_u32 v13, vcc_lo, v5, s11
	v_add_co_ci_u32_e32 v14, vcc_lo, 0, v6, vcc_lo
	s_delay_alu instid0(VALU_DEP_3) | instskip(NEXT) | instid1(VALU_DEP_1)
	v_bfe_i32 v11, v11, 0, 16
	v_ashrrev_i32_e32 v12, 31, v11
	global_store_b64 v[13:14], v[11:12], off
	s_or_b32 exec_lo, exec_lo, s0
	s_delay_alu instid0(SALU_CYCLE_1)
	s_mov_b32 s0, exec_lo
	v_cmpx_gt_u64_e64 s[2:3], v[17:18]
	s_cbranch_execz .LBB207_8
.LBB207_24:                             ;   in Loop: Header=BB207_9 Depth=1
	s_waitcnt vmcnt(0)
	v_lshrrev_b32_e32 v11, 16, v10
	v_add_co_u32 v13, vcc_lo, v5, s9
	v_add_co_ci_u32_e32 v14, vcc_lo, 0, v6, vcc_lo
	s_delay_alu instid0(VALU_DEP_3) | instskip(NEXT) | instid1(VALU_DEP_1)
	v_bfe_i32 v11, v11, 0, 16
	v_ashrrev_i32_e32 v12, 31, v11
	global_store_b64 v[13:14], v[11:12], off
	s_branch .LBB207_8
.LBB207_25:
	s_nop 0
	s_sendmsg sendmsg(MSG_DEALLOC_VGPRS)
	s_endpgm
	.section	.rodata,"a",@progbits
	.p2align	6, 0x0
	.amdhsa_kernel _ZN2at6native12_GLOBAL__N_125multi_tensor_apply_kernelINS1_18TensorListMetadataILi2EEENS1_11CopyFunctorIlsLi2ELi1ELi1EEEJNS0_4CopyIlsEEEEEvT_T0_DpT1_
		.amdhsa_group_segment_fixed_size 0
		.amdhsa_private_segment_fixed_size 0
		.amdhsa_kernarg_size 3408
		.amdhsa_user_sgpr_count 15
		.amdhsa_user_sgpr_dispatch_ptr 0
		.amdhsa_user_sgpr_queue_ptr 0
		.amdhsa_user_sgpr_kernarg_segment_ptr 1
		.amdhsa_user_sgpr_dispatch_id 0
		.amdhsa_user_sgpr_private_segment_size 0
		.amdhsa_wavefront_size32 1
		.amdhsa_uses_dynamic_stack 0
		.amdhsa_enable_private_segment 0
		.amdhsa_system_sgpr_workgroup_id_x 1
		.amdhsa_system_sgpr_workgroup_id_y 0
		.amdhsa_system_sgpr_workgroup_id_z 0
		.amdhsa_system_sgpr_workgroup_info 0
		.amdhsa_system_vgpr_workitem_id 0
		.amdhsa_next_free_vgpr 29
		.amdhsa_next_free_sgpr 20
		.amdhsa_reserve_vcc 1
		.amdhsa_float_round_mode_32 0
		.amdhsa_float_round_mode_16_64 0
		.amdhsa_float_denorm_mode_32 3
		.amdhsa_float_denorm_mode_16_64 3
		.amdhsa_dx10_clamp 1
		.amdhsa_ieee_mode 1
		.amdhsa_fp16_overflow 0
		.amdhsa_workgroup_processor_mode 1
		.amdhsa_memory_ordered 1
		.amdhsa_forward_progress 0
		.amdhsa_shared_vgpr_count 0
		.amdhsa_exception_fp_ieee_invalid_op 0
		.amdhsa_exception_fp_denorm_src 0
		.amdhsa_exception_fp_ieee_div_zero 0
		.amdhsa_exception_fp_ieee_overflow 0
		.amdhsa_exception_fp_ieee_underflow 0
		.amdhsa_exception_fp_ieee_inexact 0
		.amdhsa_exception_int_div_zero 0
	.end_amdhsa_kernel
	.section	.text._ZN2at6native12_GLOBAL__N_125multi_tensor_apply_kernelINS1_18TensorListMetadataILi2EEENS1_11CopyFunctorIlsLi2ELi1ELi1EEEJNS0_4CopyIlsEEEEEvT_T0_DpT1_,"axG",@progbits,_ZN2at6native12_GLOBAL__N_125multi_tensor_apply_kernelINS1_18TensorListMetadataILi2EEENS1_11CopyFunctorIlsLi2ELi1ELi1EEEJNS0_4CopyIlsEEEEEvT_T0_DpT1_,comdat
.Lfunc_end207:
	.size	_ZN2at6native12_GLOBAL__N_125multi_tensor_apply_kernelINS1_18TensorListMetadataILi2EEENS1_11CopyFunctorIlsLi2ELi1ELi1EEEJNS0_4CopyIlsEEEEEvT_T0_DpT1_, .Lfunc_end207-_ZN2at6native12_GLOBAL__N_125multi_tensor_apply_kernelINS1_18TensorListMetadataILi2EEENS1_11CopyFunctorIlsLi2ELi1ELi1EEEJNS0_4CopyIlsEEEEEvT_T0_DpT1_
                                        ; -- End function
	.section	.AMDGPU.csdata,"",@progbits
; Kernel info:
; codeLenInByte = 1528
; NumSgprs: 22
; NumVgprs: 29
; ScratchSize: 0
; MemoryBound: 0
; FloatMode: 240
; IeeeMode: 1
; LDSByteSize: 0 bytes/workgroup (compile time only)
; SGPRBlocks: 2
; VGPRBlocks: 3
; NumSGPRsForWavesPerEU: 22
; NumVGPRsForWavesPerEU: 29
; Occupancy: 16
; WaveLimiterHint : 0
; COMPUTE_PGM_RSRC2:SCRATCH_EN: 0
; COMPUTE_PGM_RSRC2:USER_SGPR: 15
; COMPUTE_PGM_RSRC2:TRAP_HANDLER: 0
; COMPUTE_PGM_RSRC2:TGID_X_EN: 1
; COMPUTE_PGM_RSRC2:TGID_Y_EN: 0
; COMPUTE_PGM_RSRC2:TGID_Z_EN: 0
; COMPUTE_PGM_RSRC2:TIDIG_COMP_CNT: 0
	.section	.text._ZN2at6native12_GLOBAL__N_125multi_tensor_apply_kernelINS1_18TensorListMetadataILi2EEENS1_11CopyFunctorIliLi2ELi1ELi1EEEJNS0_4CopyIliEEEEEvT_T0_DpT1_,"axG",@progbits,_ZN2at6native12_GLOBAL__N_125multi_tensor_apply_kernelINS1_18TensorListMetadataILi2EEENS1_11CopyFunctorIliLi2ELi1ELi1EEEJNS0_4CopyIliEEEEEvT_T0_DpT1_,comdat
	.globl	_ZN2at6native12_GLOBAL__N_125multi_tensor_apply_kernelINS1_18TensorListMetadataILi2EEENS1_11CopyFunctorIliLi2ELi1ELi1EEEJNS0_4CopyIliEEEEEvT_T0_DpT1_ ; -- Begin function _ZN2at6native12_GLOBAL__N_125multi_tensor_apply_kernelINS1_18TensorListMetadataILi2EEENS1_11CopyFunctorIliLi2ELi1ELi1EEEJNS0_4CopyIliEEEEEvT_T0_DpT1_
	.p2align	8
	.type	_ZN2at6native12_GLOBAL__N_125multi_tensor_apply_kernelINS1_18TensorListMetadataILi2EEENS1_11CopyFunctorIliLi2ELi1ELi1EEEJNS0_4CopyIliEEEEEvT_T0_DpT1_,@function
_ZN2at6native12_GLOBAL__N_125multi_tensor_apply_kernelINS1_18TensorListMetadataILi2EEENS1_11CopyFunctorIliLi2ELi1ELi1EEEJNS0_4CopyIliEEEEEvT_T0_DpT1_: ; @_ZN2at6native12_GLOBAL__N_125multi_tensor_apply_kernelINS1_18TensorListMetadataILi2EEENS1_11CopyFunctorIliLi2ELi1ELi1EEEJNS0_4CopyIliEEEEEvT_T0_DpT1_
; %bb.0:
	v_mov_b32_e32 v1, s15
	s_add_u32 s2, s0, s15
	s_mul_hi_u32 s3, s15, 3
	s_mul_i32 s15, s15, 3
	s_addc_u32 s4, s1, 0
	global_load_u8 v1, v1, s[0:1] offset:1536
	s_add_u32 s2, s2, s15
	s_addc_u32 s3, s4, s3
	s_mov_b32 s15, 0
	s_load_b32 s8, s[2:3], 0x740
	s_waitcnt lgkmcnt(0)
	s_ashr_i32 s9, s8, 31
	s_delay_alu instid0(SALU_CYCLE_1) | instskip(SKIP_3) | instid1(VALU_DEP_1)
	s_lshl_b64 s[10:11], s[8:9], 18
	s_lshl_b64 s[16:17], s[8:9], 16
	s_waitcnt vmcnt(0)
	v_readfirstlane_b32 s5, v1
	s_lshl_b32 s4, s5, 3
	s_clause 0x2
	s_load_b64 s[2:3], s[0:1], s4 offset:0x0
	s_load_b64 s[6:7], s[0:1], s4 offset:0x200
	s_load_b64 s[4:5], s[0:1], s4 offset:0x400
	s_waitcnt lgkmcnt(0)
	s_add_u32 s12, s2, s10
	s_addc_u32 s13, s3, s11
	s_and_b32 s18, s6, 31
	s_and_b32 s19, s4, 3
	;; [unrolled: 1-line block ×3, first 2 shown]
	s_or_b32 s18, s19, s18
	s_mov_b32 s19, s15
	s_delay_alu instid0(SALU_CYCLE_1)
	s_or_b64 s[14:15], s[14:15], s[18:19]
	s_sub_u32 s4, s4, s16
	s_subb_u32 s5, s5, s17
	s_cmp_eq_u64 s[14:15], 0
	s_mov_b32 s14, -1
	s_cbranch_scc0 .LBB208_5
; %bb.1:
	v_dual_mov_b32 v2, 0 :: v_dual_lshlrev_b32 v1, 2, v0
	s_mov_b32 s14, exec_lo
	s_delay_alu instid0(VALU_DEP_1)
	v_cmpx_gt_i64_e64 s[4:5], v[1:2]
	s_cbranch_execz .LBB208_4
; %bb.2:
	s_load_b32 s15, s[0:1], 0xc5c
	v_lshlrev_b32_e32 v4, 5, v0
	v_lshlrev_b32_e32 v3, 4, v0
	s_waitcnt lgkmcnt(0)
	s_and_b32 s16, s15, 0xffff
	s_delay_alu instid0(SALU_CYCLE_1)
	s_lshl_b32 s15, s16, 2
	s_add_u32 s17, s2, s10
	s_addc_u32 s11, s3, s11
	s_lshl_b64 s[2:3], s[8:9], 19
	s_lshl_b32 s10, s16, 4
	s_add_u32 s2, s6, s2
	s_addc_u32 s3, s7, s3
	v_add_co_u32 v5, s2, s2, v4
	s_delay_alu instid0(VALU_DEP_1) | instskip(SKIP_1) | instid1(VALU_DEP_3)
	v_add_co_ci_u32_e64 v6, null, s3, 0, s2
	v_add_co_u32 v3, s2, s17, v3
	v_add_co_u32 v5, vcc_lo, v5, 16
	v_add_lshl_u32 v1, v0, s16, 2
	v_add_co_ci_u32_e64 v4, null, s11, 0, s2
	v_add_co_ci_u32_e32 v6, vcc_lo, 0, v6, vcc_lo
	s_mov_b32 s11, 0
	s_lshl_b32 s16, s16, 5
	s_set_inst_prefetch_distance 0x1
	.p2align	6
.LBB208_3:                              ; =>This Inner Loop Header: Depth=1
	global_load_b128 v[7:10], v[3:4], off
	v_cmp_le_i64_e32 vcc_lo, s[4:5], v[1:2]
	v_cmp_lt_u64_e64 s2, 0xffff, v[1:2]
	v_add_co_u32 v1, s3, v1, s15
	s_delay_alu instid0(VALU_DEP_1) | instskip(SKIP_1) | instid1(VALU_DEP_4)
	v_add_co_ci_u32_e64 v2, s3, 0, v2, s3
	v_add_co_u32 v3, s3, v3, s10
	s_or_b32 s2, vcc_lo, s2
	v_add_co_ci_u32_e64 v4, s3, 0, v4, s3
	s_and_b32 s2, exec_lo, s2
	s_delay_alu instid0(SALU_CYCLE_1)
	s_or_b32 s11, s2, s11
	s_waitcnt vmcnt(0)
	v_ashrrev_i32_e32 v12, 31, v7
	v_ashrrev_i32_e32 v14, 31, v8
	v_mov_b32_e32 v11, v7
	v_mov_b32_e32 v13, v8
	v_ashrrev_i32_e32 v16, 31, v9
	v_ashrrev_i32_e32 v18, 31, v10
	v_mov_b32_e32 v15, v9
	v_mov_b32_e32 v17, v10
	s_clause 0x1
	global_store_b128 v[5:6], v[11:14], off offset:-16
	global_store_b128 v[5:6], v[15:18], off
	v_add_co_u32 v5, vcc_lo, v5, s16
	v_add_co_ci_u32_e32 v6, vcc_lo, 0, v6, vcc_lo
	s_and_not1_b32 exec_lo, exec_lo, s11
	s_cbranch_execnz .LBB208_3
.LBB208_4:
	s_set_inst_prefetch_distance 0x2
	s_or_b32 exec_lo, exec_lo, s14
	s_mov_b32 s14, 0
.LBB208_5:
	s_delay_alu instid0(SALU_CYCLE_1)
	s_and_not1_b32 vcc_lo, exec_lo, s14
	s_cbranch_vccnz .LBB208_25
; %bb.6:
	v_cmp_lt_i64_e64 s2, s[4:5], 1
	s_delay_alu instid0(VALU_DEP_1)
	s_and_b32 vcc_lo, exec_lo, s2
	s_cbranch_vccnz .LBB208_25
; %bb.7:
	s_load_b32 s0, s[0:1], 0xc5c
	v_cmp_gt_u64_e64 s1, 0x10000, s[4:5]
	v_dual_mov_b32 v2, 0 :: v_dual_lshlrev_b32 v5, 3, v0
	v_lshlrev_b32_e32 v1, 2, v0
                                        ; implicit-def: $vgpr9
                                        ; implicit-def: $vgpr11
                                        ; implicit-def: $vgpr13
                                        ; implicit-def: $vgpr15
	s_waitcnt lgkmcnt(0)
	s_and_b32 s0, s0, 0xffff
	s_delay_alu instid0(VALU_DEP_3)
	s_and_b32 s1, s1, exec_lo
	s_cselect_b32 s3, s5, 0
	s_cselect_b32 s2, s4, 0x10000
	s_lshl_b64 s[8:9], s[8:9], 19
	s_lshl_b32 s11, s0, 1
	s_lshl_b32 s1, s0, 2
	;; [unrolled: 1-line block ×3, first 2 shown]
	s_add_u32 s6, s6, s8
	s_addc_u32 s7, s7, s9
	v_add_co_u32 v5, s9, s6, v5
	s_delay_alu instid0(VALU_DEP_1) | instskip(SKIP_4) | instid1(VALU_DEP_3)
	v_add_co_ci_u32_e64 v6, null, s7, 0, s9
	v_add_co_u32 v25, s9, v0, s0
	s_mul_i32 s14, s0, 3
	v_mad_u64_u32 v[3:4], null, s0, 12, v[1:2]
	v_add_co_u32 v2, s8, s14, v0
	v_lshlrev_b32_e32 v7, 3, v25
	v_add_co_ci_u32_e64 v24, null, 0, 0, s8
	s_lshl_b32 s8, s0, 3
	v_add_co_ci_u32_e64 v28, null, 0, 0, s9
	v_add_co_u32 v26, s8, s8, v1
	s_delay_alu instid0(VALU_DEP_1)
	v_add_co_ci_u32_e64 v27, null, 0, 0, s8
	v_add_co_u32 v29, s8, s11, v0
	v_add_co_u32 v7, s6, s6, v7
	v_add_co_ci_u32_e64 v30, null, 0, 0, s8
	v_lshlrev_b32_e32 v31, 2, v25
	v_add_co_ci_u32_e64 v8, null, s7, 0, s6
	s_lshl_b32 s8, s0, 5
	s_mul_i32 s9, s0, 24
	s_mov_b64 s[6:7], 0
	s_branch .LBB208_9
.LBB208_8:                              ;   in Loop: Header=BB208_9 Depth=1
	s_or_b32 exec_lo, exec_lo, s0
	s_add_u32 s6, s6, s1
	s_addc_u32 s7, s7, 0
	v_add_co_u32 v5, vcc_lo, v5, s8
	v_cmp_ge_i64_e64 s0, s[6:7], s[4:5]
	v_cmp_lt_u64_e64 s11, 0xffff, s[6:7]
	v_add_co_ci_u32_e32 v6, vcc_lo, 0, v6, vcc_lo
	v_add_co_u32 v7, vcc_lo, v7, s8
	v_add_co_ci_u32_e32 v8, vcc_lo, 0, v8, vcc_lo
	s_delay_alu instid0(VALU_DEP_4)
	s_or_b32 s0, s0, s11
	s_add_u32 s12, s12, s10
	s_addc_u32 s13, s13, 0
	s_and_b32 vcc_lo, exec_lo, s0
	s_cbranch_vccnz .LBB208_25
.LBB208_9:                              ; =>This Inner Loop Header: Depth=1
	v_add_co_u32 v16, s0, v0, s6
	s_delay_alu instid0(VALU_DEP_1) | instskip(NEXT) | instid1(VALU_DEP_1)
	v_add_co_ci_u32_e64 v17, null, 0, s7, s0
	v_cmp_gt_i64_e32 vcc_lo, s[4:5], v[16:17]
	v_cmp_gt_u64_e64 s0, 0x10000, v[16:17]
	s_delay_alu instid0(VALU_DEP_1) | instskip(NEXT) | instid1(SALU_CYCLE_1)
	s_and_b32 s11, vcc_lo, s0
	s_and_saveexec_b32 s0, s11
	s_cbranch_execz .LBB208_11
; %bb.10:                               ;   in Loop: Header=BB208_9 Depth=1
	v_add_co_u32 v14, s11, s12, v1
	s_waitcnt vmcnt(0)
	v_add_co_ci_u32_e64 v15, null, s13, 0, s11
	global_load_b32 v15, v[14:15], off
.LBB208_11:                             ;   in Loop: Header=BB208_9 Depth=1
	s_or_b32 exec_lo, exec_lo, s0
	v_add_co_u32 v18, vcc_lo, v25, s6
	v_add_co_ci_u32_e32 v19, vcc_lo, s7, v28, vcc_lo
	s_delay_alu instid0(VALU_DEP_1) | instskip(SKIP_1) | instid1(VALU_DEP_1)
	v_cmp_gt_i64_e32 vcc_lo, s[4:5], v[18:19]
	v_cmp_gt_u64_e64 s0, 0x10000, v[18:19]
	s_and_b32 s11, vcc_lo, s0
	s_delay_alu instid0(SALU_CYCLE_1)
	s_and_saveexec_b32 s0, s11
	s_cbranch_execz .LBB208_13
; %bb.12:                               ;   in Loop: Header=BB208_9 Depth=1
	v_add_co_u32 v12, s11, s12, v31
	s_waitcnt vmcnt(0)
	v_add_co_ci_u32_e64 v13, null, s13, 0, s11
	global_load_b32 v13, v[12:13], off
.LBB208_13:                             ;   in Loop: Header=BB208_9 Depth=1
	s_or_b32 exec_lo, exec_lo, s0
	v_add_co_u32 v20, vcc_lo, v29, s6
	v_add_co_ci_u32_e32 v21, vcc_lo, s7, v30, vcc_lo
	s_delay_alu instid0(VALU_DEP_1) | instskip(SKIP_1) | instid1(VALU_DEP_1)
	v_cmp_gt_i64_e32 vcc_lo, s[4:5], v[20:21]
	v_cmp_gt_u64_e64 s0, 0x10000, v[20:21]
	s_and_b32 s11, vcc_lo, s0
	s_delay_alu instid0(SALU_CYCLE_1)
	s_and_saveexec_b32 s0, s11
	s_cbranch_execz .LBB208_15
; %bb.14:                               ;   in Loop: Header=BB208_9 Depth=1
	v_add_co_u32 v10, vcc_lo, s12, v26
	s_waitcnt vmcnt(0)
	v_add_co_ci_u32_e32 v11, vcc_lo, s13, v27, vcc_lo
	global_load_b32 v11, v[10:11], off
.LBB208_15:                             ;   in Loop: Header=BB208_9 Depth=1
	s_or_b32 exec_lo, exec_lo, s0
	v_add_co_u32 v22, vcc_lo, v2, s6
	v_add_co_ci_u32_e32 v23, vcc_lo, s7, v24, vcc_lo
	s_delay_alu instid0(VALU_DEP_1) | instskip(SKIP_1) | instid1(VALU_DEP_1)
	v_cmp_gt_i64_e32 vcc_lo, s[4:5], v[22:23]
	v_cmp_gt_u64_e64 s0, 0x10000, v[22:23]
	s_and_b32 s11, vcc_lo, s0
	s_delay_alu instid0(SALU_CYCLE_1)
	s_and_saveexec_b32 s0, s11
	s_cbranch_execnz .LBB208_20
; %bb.16:                               ;   in Loop: Header=BB208_9 Depth=1
	s_or_b32 exec_lo, exec_lo, s0
	s_delay_alu instid0(SALU_CYCLE_1)
	s_mov_b32 s0, exec_lo
	v_cmpx_gt_u64_e64 s[2:3], v[16:17]
	s_cbranch_execnz .LBB208_21
.LBB208_17:                             ;   in Loop: Header=BB208_9 Depth=1
	s_or_b32 exec_lo, exec_lo, s0
	s_delay_alu instid0(SALU_CYCLE_1)
	s_mov_b32 s0, exec_lo
	v_cmpx_gt_u64_e64 s[2:3], v[18:19]
	s_cbranch_execnz .LBB208_22
.LBB208_18:                             ;   in Loop: Header=BB208_9 Depth=1
	s_or_b32 exec_lo, exec_lo, s0
	s_delay_alu instid0(SALU_CYCLE_1)
	s_mov_b32 s0, exec_lo
	v_cmpx_gt_u64_e64 s[2:3], v[20:21]
	s_cbranch_execnz .LBB208_23
.LBB208_19:                             ;   in Loop: Header=BB208_9 Depth=1
	s_or_b32 exec_lo, exec_lo, s0
	s_delay_alu instid0(SALU_CYCLE_1)
	s_mov_b32 s0, exec_lo
	v_cmpx_gt_u64_e64 s[2:3], v[22:23]
	s_cbranch_execz .LBB208_8
	s_branch .LBB208_24
.LBB208_20:                             ;   in Loop: Header=BB208_9 Depth=1
	s_waitcnt vmcnt(0)
	v_add_co_u32 v9, vcc_lo, s12, v3
	v_add_co_ci_u32_e32 v10, vcc_lo, s13, v4, vcc_lo
	global_load_b32 v9, v[9:10], off
	s_or_b32 exec_lo, exec_lo, s0
	s_delay_alu instid0(SALU_CYCLE_1)
	s_mov_b32 s0, exec_lo
	v_cmpx_gt_u64_e64 s[2:3], v[16:17]
	s_cbranch_execz .LBB208_17
.LBB208_21:                             ;   in Loop: Header=BB208_9 Depth=1
	s_waitcnt vmcnt(0)
	v_ashrrev_i32_e32 v16, 31, v15
	global_store_b64 v[5:6], v[15:16], off
	s_or_b32 exec_lo, exec_lo, s0
	s_delay_alu instid0(SALU_CYCLE_1)
	s_mov_b32 s0, exec_lo
	v_cmpx_gt_u64_e64 s[2:3], v[18:19]
	s_cbranch_execz .LBB208_18
.LBB208_22:                             ;   in Loop: Header=BB208_9 Depth=1
	s_waitcnt vmcnt(0)
	v_ashrrev_i32_e32 v14, 31, v13
	global_store_b64 v[7:8], v[13:14], off
	s_or_b32 exec_lo, exec_lo, s0
	s_delay_alu instid0(SALU_CYCLE_1)
	s_mov_b32 s0, exec_lo
	v_cmpx_gt_u64_e64 s[2:3], v[20:21]
	s_cbranch_execz .LBB208_19
.LBB208_23:                             ;   in Loop: Header=BB208_9 Depth=1
	v_add_co_u32 v16, vcc_lo, v5, s10
	s_waitcnt vmcnt(0)
	v_ashrrev_i32_e32 v12, 31, v11
	v_add_co_ci_u32_e32 v17, vcc_lo, 0, v6, vcc_lo
	global_store_b64 v[16:17], v[11:12], off
	s_or_b32 exec_lo, exec_lo, s0
	s_delay_alu instid0(SALU_CYCLE_1)
	s_mov_b32 s0, exec_lo
	v_cmpx_gt_u64_e64 s[2:3], v[22:23]
	s_cbranch_execz .LBB208_8
.LBB208_24:                             ;   in Loop: Header=BB208_9 Depth=1
	v_add_co_u32 v16, vcc_lo, v5, s9
	s_waitcnt vmcnt(0)
	v_ashrrev_i32_e32 v10, 31, v9
	v_add_co_ci_u32_e32 v17, vcc_lo, 0, v6, vcc_lo
	global_store_b64 v[16:17], v[9:10], off
	s_branch .LBB208_8
.LBB208_25:
	s_nop 0
	s_sendmsg sendmsg(MSG_DEALLOC_VGPRS)
	s_endpgm
	.section	.rodata,"a",@progbits
	.p2align	6, 0x0
	.amdhsa_kernel _ZN2at6native12_GLOBAL__N_125multi_tensor_apply_kernelINS1_18TensorListMetadataILi2EEENS1_11CopyFunctorIliLi2ELi1ELi1EEEJNS0_4CopyIliEEEEEvT_T0_DpT1_
		.amdhsa_group_segment_fixed_size 0
		.amdhsa_private_segment_fixed_size 0
		.amdhsa_kernarg_size 3408
		.amdhsa_user_sgpr_count 15
		.amdhsa_user_sgpr_dispatch_ptr 0
		.amdhsa_user_sgpr_queue_ptr 0
		.amdhsa_user_sgpr_kernarg_segment_ptr 1
		.amdhsa_user_sgpr_dispatch_id 0
		.amdhsa_user_sgpr_private_segment_size 0
		.amdhsa_wavefront_size32 1
		.amdhsa_uses_dynamic_stack 0
		.amdhsa_enable_private_segment 0
		.amdhsa_system_sgpr_workgroup_id_x 1
		.amdhsa_system_sgpr_workgroup_id_y 0
		.amdhsa_system_sgpr_workgroup_id_z 0
		.amdhsa_system_sgpr_workgroup_info 0
		.amdhsa_system_vgpr_workitem_id 0
		.amdhsa_next_free_vgpr 32
		.amdhsa_next_free_sgpr 20
		.amdhsa_reserve_vcc 1
		.amdhsa_float_round_mode_32 0
		.amdhsa_float_round_mode_16_64 0
		.amdhsa_float_denorm_mode_32 3
		.amdhsa_float_denorm_mode_16_64 3
		.amdhsa_dx10_clamp 1
		.amdhsa_ieee_mode 1
		.amdhsa_fp16_overflow 0
		.amdhsa_workgroup_processor_mode 1
		.amdhsa_memory_ordered 1
		.amdhsa_forward_progress 0
		.amdhsa_shared_vgpr_count 0
		.amdhsa_exception_fp_ieee_invalid_op 0
		.amdhsa_exception_fp_denorm_src 0
		.amdhsa_exception_fp_ieee_div_zero 0
		.amdhsa_exception_fp_ieee_overflow 0
		.amdhsa_exception_fp_ieee_underflow 0
		.amdhsa_exception_fp_ieee_inexact 0
		.amdhsa_exception_int_div_zero 0
	.end_amdhsa_kernel
	.section	.text._ZN2at6native12_GLOBAL__N_125multi_tensor_apply_kernelINS1_18TensorListMetadataILi2EEENS1_11CopyFunctorIliLi2ELi1ELi1EEEJNS0_4CopyIliEEEEEvT_T0_DpT1_,"axG",@progbits,_ZN2at6native12_GLOBAL__N_125multi_tensor_apply_kernelINS1_18TensorListMetadataILi2EEENS1_11CopyFunctorIliLi2ELi1ELi1EEEJNS0_4CopyIliEEEEEvT_T0_DpT1_,comdat
.Lfunc_end208:
	.size	_ZN2at6native12_GLOBAL__N_125multi_tensor_apply_kernelINS1_18TensorListMetadataILi2EEENS1_11CopyFunctorIliLi2ELi1ELi1EEEJNS0_4CopyIliEEEEEvT_T0_DpT1_, .Lfunc_end208-_ZN2at6native12_GLOBAL__N_125multi_tensor_apply_kernelINS1_18TensorListMetadataILi2EEENS1_11CopyFunctorIliLi2ELi1ELi1EEEJNS0_4CopyIliEEEEEvT_T0_DpT1_
                                        ; -- End function
	.section	.AMDGPU.csdata,"",@progbits
; Kernel info:
; codeLenInByte = 1444
; NumSgprs: 22
; NumVgprs: 32
; ScratchSize: 0
; MemoryBound: 0
; FloatMode: 240
; IeeeMode: 1
; LDSByteSize: 0 bytes/workgroup (compile time only)
; SGPRBlocks: 2
; VGPRBlocks: 3
; NumSGPRsForWavesPerEU: 22
; NumVGPRsForWavesPerEU: 32
; Occupancy: 16
; WaveLimiterHint : 0
; COMPUTE_PGM_RSRC2:SCRATCH_EN: 0
; COMPUTE_PGM_RSRC2:USER_SGPR: 15
; COMPUTE_PGM_RSRC2:TRAP_HANDLER: 0
; COMPUTE_PGM_RSRC2:TGID_X_EN: 1
; COMPUTE_PGM_RSRC2:TGID_Y_EN: 0
; COMPUTE_PGM_RSRC2:TGID_Z_EN: 0
; COMPUTE_PGM_RSRC2:TIDIG_COMP_CNT: 0
	.section	.text._ZN2at6native12_GLOBAL__N_125multi_tensor_apply_kernelINS1_18TensorListMetadataILi2EEENS1_11CopyFunctorIldLi2ELi1ELi1EEEJNS0_4CopyIldEEEEEvT_T0_DpT1_,"axG",@progbits,_ZN2at6native12_GLOBAL__N_125multi_tensor_apply_kernelINS1_18TensorListMetadataILi2EEENS1_11CopyFunctorIldLi2ELi1ELi1EEEJNS0_4CopyIldEEEEEvT_T0_DpT1_,comdat
	.globl	_ZN2at6native12_GLOBAL__N_125multi_tensor_apply_kernelINS1_18TensorListMetadataILi2EEENS1_11CopyFunctorIldLi2ELi1ELi1EEEJNS0_4CopyIldEEEEEvT_T0_DpT1_ ; -- Begin function _ZN2at6native12_GLOBAL__N_125multi_tensor_apply_kernelINS1_18TensorListMetadataILi2EEENS1_11CopyFunctorIldLi2ELi1ELi1EEEJNS0_4CopyIldEEEEEvT_T0_DpT1_
	.p2align	8
	.type	_ZN2at6native12_GLOBAL__N_125multi_tensor_apply_kernelINS1_18TensorListMetadataILi2EEENS1_11CopyFunctorIldLi2ELi1ELi1EEEJNS0_4CopyIldEEEEEvT_T0_DpT1_,@function
_ZN2at6native12_GLOBAL__N_125multi_tensor_apply_kernelINS1_18TensorListMetadataILi2EEENS1_11CopyFunctorIldLi2ELi1ELi1EEEJNS0_4CopyIldEEEEEvT_T0_DpT1_: ; @_ZN2at6native12_GLOBAL__N_125multi_tensor_apply_kernelINS1_18TensorListMetadataILi2EEENS1_11CopyFunctorIldLi2ELi1ELi1EEEJNS0_4CopyIldEEEEEvT_T0_DpT1_
; %bb.0:
	v_mov_b32_e32 v1, s15
	s_add_u32 s2, s0, s15
	s_mul_hi_u32 s3, s15, 3
	s_mul_i32 s15, s15, 3
	s_addc_u32 s4, s1, 0
	global_load_u8 v1, v1, s[0:1] offset:1536
	s_add_u32 s2, s2, s15
	s_addc_u32 s3, s4, s3
	s_mov_b32 s17, 0
	s_load_b32 s2, s[2:3], 0x740
	s_mov_b32 s19, s17
	s_mov_b32 s21, s17
	s_waitcnt vmcnt(0)
	v_readfirstlane_b32 s5, v1
	s_delay_alu instid0(VALU_DEP_1)
	s_lshl_b32 s3, s5, 3
	s_clause 0x2
	s_load_b64 s[10:11], s[0:1], s3 offset:0x0
	s_load_b64 s[12:13], s[0:1], s3 offset:0x200
	;; [unrolled: 1-line block ×3, first 2 shown]
	s_waitcnt lgkmcnt(0)
	s_ashr_i32 s3, s2, 31
	s_delay_alu instid0(SALU_CYCLE_1)
	s_lshl_b64 s[4:5], s[2:3], 19
	s_lshl_b64 s[2:3], s[2:3], 16
	s_add_u32 s8, s10, s4
	s_addc_u32 s9, s11, s5
	s_add_u32 s14, s12, s4
	s_addc_u32 s15, s13, s5
	s_and_b32 s20, s6, 3
	s_and_b32 s18, s14, 31
	;; [unrolled: 1-line block ×3, first 2 shown]
	s_or_b64 s[18:19], s[18:19], s[20:21]
	s_delay_alu instid0(SALU_CYCLE_1)
	s_or_b64 s[16:17], s[16:17], s[18:19]
	s_sub_u32 s6, s6, s2
	s_subb_u32 s7, s7, s3
	s_cmp_eq_u64 s[16:17], 0
	s_mov_b32 s2, -1
	s_cbranch_scc0 .LBB209_5
; %bb.1:
	v_dual_mov_b32 v2, 0 :: v_dual_lshlrev_b32 v1, 2, v0
	s_mov_b32 s16, exec_lo
	s_delay_alu instid0(VALU_DEP_1)
	v_cmpx_gt_i64_e64 s[6:7], v[1:2]
	s_cbranch_execz .LBB209_4
; %bb.2:
	s_load_b32 s2, s[0:1], 0xc5c
	v_lshlrev_b32_e32 v3, 5, v0
	s_mov_b32 s17, 0
	s_waitcnt lgkmcnt(0)
	s_and_b32 s2, s2, 0xffff
	s_delay_alu instid0(SALU_CYCLE_1)
	v_add_lshl_u32 v1, v0, s2, 2
	s_lshl_b32 s18, s2, 2
	s_lshl_b32 s19, s2, 5
.LBB209_3:                              ; =>This Inner Loop Header: Depth=1
	v_add_co_u32 v8, s2, s8, v3
	s_delay_alu instid0(VALU_DEP_1)
	v_add_co_ci_u32_e64 v9, null, s9, 0, s2
	v_cmp_le_i64_e32 vcc_lo, s[6:7], v[1:2]
	v_cmp_lt_u64_e64 s2, 0xffff, v[1:2]
	s_clause 0x1
	global_load_b128 v[4:7], v[8:9], off
	global_load_b128 v[8:11], v[8:9], off offset:16
	s_or_b32 s2, vcc_lo, s2
	s_add_u32 s8, s8, s19
	s_addc_u32 s9, s9, 0
	s_waitcnt vmcnt(1)
	v_trunc_f64_e32 v[4:5], v[4:5]
	v_trunc_f64_e32 v[6:7], v[6:7]
	s_waitcnt vmcnt(0)
	v_trunc_f64_e32 v[8:9], v[8:9]
	v_trunc_f64_e32 v[10:11], v[10:11]
	s_delay_alu instid0(VALU_DEP_4) | instskip(NEXT) | instid1(VALU_DEP_4)
	v_ldexp_f64 v[12:13], v[4:5], 0xffffffe0
	v_ldexp_f64 v[14:15], v[6:7], 0xffffffe0
	s_delay_alu instid0(VALU_DEP_4) | instskip(NEXT) | instid1(VALU_DEP_4)
	v_ldexp_f64 v[16:17], v[8:9], 0xffffffe0
	v_ldexp_f64 v[18:19], v[10:11], 0xffffffe0
	s_delay_alu instid0(VALU_DEP_4) | instskip(NEXT) | instid1(VALU_DEP_4)
	v_floor_f64_e32 v[12:13], v[12:13]
	v_floor_f64_e32 v[14:15], v[14:15]
	s_delay_alu instid0(VALU_DEP_4) | instskip(NEXT) | instid1(VALU_DEP_4)
	v_floor_f64_e32 v[16:17], v[16:17]
	v_floor_f64_e32 v[18:19], v[18:19]
	s_delay_alu instid0(VALU_DEP_4) | instskip(NEXT) | instid1(VALU_DEP_4)
	v_fma_f64 v[20:21], 0xc1f00000, v[12:13], v[4:5]
	v_fma_f64 v[22:23], 0xc1f00000, v[14:15], v[6:7]
	s_delay_alu instid0(VALU_DEP_4) | instskip(NEXT) | instid1(VALU_DEP_4)
	v_fma_f64 v[24:25], 0xc1f00000, v[16:17], v[8:9]
	v_fma_f64 v[26:27], 0xc1f00000, v[18:19], v[10:11]
	v_cvt_i32_f64_e32 v5, v[12:13]
	v_cvt_i32_f64_e32 v7, v[14:15]
	;; [unrolled: 1-line block ×4, first 2 shown]
	v_add_co_u32 v12, s3, s14, v3
	s_delay_alu instid0(VALU_DEP_1)
	v_add_co_ci_u32_e64 v13, null, s15, 0, s3
	v_add_co_u32 v1, s3, v1, s18
	s_add_u32 s14, s14, s19
	v_add_co_ci_u32_e64 v2, s3, 0, v2, s3
	s_addc_u32 s15, s15, 0
	s_and_b32 s2, exec_lo, s2
	s_delay_alu instid0(SALU_CYCLE_1)
	s_or_b32 s17, s2, s17
	v_cvt_u32_f64_e32 v4, v[20:21]
	v_cvt_u32_f64_e32 v6, v[22:23]
	;; [unrolled: 1-line block ×4, first 2 shown]
	s_clause 0x1
	global_store_b128 v[12:13], v[4:7], off
	global_store_b128 v[12:13], v[8:11], off offset:16
	s_and_not1_b32 exec_lo, exec_lo, s17
	s_cbranch_execnz .LBB209_3
.LBB209_4:
	s_or_b32 exec_lo, exec_lo, s16
	s_mov_b32 s2, 0
.LBB209_5:
	s_delay_alu instid0(SALU_CYCLE_1)
	s_and_not1_b32 vcc_lo, exec_lo, s2
	s_cbranch_vccnz .LBB209_25
; %bb.6:
	v_cmp_lt_i64_e64 s2, s[6:7], 1
	s_delay_alu instid0(VALU_DEP_1)
	s_and_b32 vcc_lo, exec_lo, s2
	s_cbranch_vccnz .LBB209_25
; %bb.7:
	s_load_b32 s0, s[0:1], 0xc5c
	v_dual_mov_b32 v1, 0 :: v_dual_lshlrev_b32 v2, 3, v0
	v_cmp_gt_u64_e64 s2, 0x10000, s[6:7]
	s_mov_b32 s3, 0
                                        ; implicit-def: $vgpr6_vgpr7
                                        ; implicit-def: $vgpr8_vgpr9
	s_delay_alu instid0(VALU_DEP_2) | instskip(NEXT) | instid1(VALU_DEP_3)
	v_mov_b32_e32 v3, v1
	v_add_co_u32 v16, s1, s10, v2
	s_delay_alu instid0(VALU_DEP_1) | instskip(SKIP_1) | instid1(VALU_DEP_1)
	v_add_co_ci_u32_e64 v17, null, s11, 0, s1
	v_add_co_u32 v18, s1, s12, v2
	v_add_co_ci_u32_e64 v19, null, s13, 0, s1
	s_waitcnt lgkmcnt(0)
	s_and_b32 s1, s0, 0xffff
	s_and_b32 s0, s2, exec_lo
	v_mad_u64_u32 v[4:5], null, s1, 24, v[2:3]
	s_cselect_b32 s9, s7, 0
	s_cselect_b32 s8, s6, 0x10000
	s_lshl_b32 s0, s1, 4
	s_lshl_b32 s2, s1, 2
	v_add_co_u32 v2, s0, s0, v2
	s_delay_alu instid0(VALU_DEP_2) | instskip(NEXT) | instid1(VALU_DEP_3)
	v_add_co_u32 v20, vcc_lo, s10, v4
	v_add_co_ci_u32_e32 v21, vcc_lo, s11, v5, vcc_lo
	v_add_co_u32 v22, vcc_lo, s12, v4
	v_add_lshl_u32 v4, v0, s1, 3
	v_add_co_ci_u32_e64 v3, null, 0, 0, s0
	v_add_co_ci_u32_e32 v23, vcc_lo, s13, v5, vcc_lo
	v_add_co_u32 v24, vcc_lo, s10, v2
	s_delay_alu instid0(VALU_DEP_4) | instskip(NEXT) | instid1(VALU_DEP_4)
	v_add_co_u32 v28, s0, s10, v4
	v_add_co_ci_u32_e32 v25, vcc_lo, s11, v3, vcc_lo
	v_add_co_u32 v26, vcc_lo, s12, v2
	v_add_co_ci_u32_e64 v29, null, s11, 0, s0
	v_add_co_u32 v30, s0, s12, v4
	v_add_co_ci_u32_e32 v27, vcc_lo, s13, v3, vcc_lo
	v_add_co_ci_u32_e64 v31, null, s13, 0, s0
	s_lshl_b32 s14, s1, 1
	s_mul_i32 s15, s1, 3
	s_lshl_b32 s12, s1, 5
	s_mov_b64 s[10:11], s[2:3]
                                        ; implicit-def: $vgpr2_vgpr3
                                        ; implicit-def: $vgpr4_vgpr5
	s_branch .LBB209_9
.LBB209_8:                              ;   in Loop: Header=BB209_9 Depth=1
	s_or_b32 exec_lo, exec_lo, s0
	v_add_co_u32 v16, vcc_lo, v16, s12
	v_add_co_ci_u32_e32 v17, vcc_lo, 0, v17, vcc_lo
	v_add_co_u32 v18, vcc_lo, v18, s12
	v_add_co_ci_u32_e32 v19, vcc_lo, 0, v19, vcc_lo
	v_add_co_u32 v0, vcc_lo, v0, s2
	v_add_co_ci_u32_e32 v1, vcc_lo, 0, v1, vcc_lo
	v_add_co_u32 v20, vcc_lo, v20, s12
	v_add_co_ci_u32_e32 v21, vcc_lo, 0, v21, vcc_lo
	v_add_co_u32 v22, vcc_lo, v22, s12
	v_add_co_ci_u32_e32 v23, vcc_lo, 0, v23, vcc_lo
	v_add_co_u32 v24, vcc_lo, v24, s12
	v_add_co_ci_u32_e32 v25, vcc_lo, 0, v25, vcc_lo
	v_add_co_u32 v26, vcc_lo, v26, s12
	v_add_co_ci_u32_e32 v27, vcc_lo, 0, v27, vcc_lo
	v_cmp_ge_i64_e64 s0, s[10:11], s[6:7]
	v_cmp_lt_u64_e64 s3, 0xffff, s[10:11]
	v_add_co_u32 v28, vcc_lo, v28, s12
	v_add_co_ci_u32_e32 v29, vcc_lo, 0, v29, vcc_lo
	v_add_co_u32 v30, vcc_lo, v30, s12
	v_add_co_ci_u32_e32 v31, vcc_lo, 0, v31, vcc_lo
	s_or_b32 s0, s0, s3
	s_add_u32 s10, s10, s2
	s_addc_u32 s11, s11, 0
	s_and_b32 vcc_lo, exec_lo, s0
	s_cbranch_vccnz .LBB209_25
.LBB209_9:                              ; =>This Inner Loop Header: Depth=1
	v_cmp_gt_i64_e32 vcc_lo, s[6:7], v[0:1]
	v_cmp_gt_u64_e64 s0, 0x10000, v[0:1]
	s_delay_alu instid0(VALU_DEP_1) | instskip(NEXT) | instid1(SALU_CYCLE_1)
	s_and_b32 s3, vcc_lo, s0
	s_and_saveexec_b32 s0, s3
	s_cbranch_execz .LBB209_11
; %bb.10:                               ;   in Loop: Header=BB209_9 Depth=1
	s_waitcnt vmcnt(0)
	v_add_co_u32 v8, vcc_lo, v16, s4
	v_add_co_ci_u32_e32 v9, vcc_lo, s5, v17, vcc_lo
	global_load_b64 v[8:9], v[8:9], off
.LBB209_11:                             ;   in Loop: Header=BB209_9 Depth=1
	s_or_b32 exec_lo, exec_lo, s0
	v_add_co_u32 v10, vcc_lo, s1, v0
	v_add_co_ci_u32_e32 v11, vcc_lo, 0, v1, vcc_lo
	s_delay_alu instid0(VALU_DEP_1) | instskip(SKIP_1) | instid1(VALU_DEP_1)
	v_cmp_gt_i64_e32 vcc_lo, s[6:7], v[10:11]
	v_cmp_gt_u64_e64 s0, 0x10000, v[10:11]
	s_and_b32 s3, vcc_lo, s0
	s_delay_alu instid0(SALU_CYCLE_1)
	s_and_saveexec_b32 s0, s3
	s_cbranch_execz .LBB209_13
; %bb.12:                               ;   in Loop: Header=BB209_9 Depth=1
	s_waitcnt vmcnt(0)
	v_add_co_u32 v6, vcc_lo, v28, s4
	v_add_co_ci_u32_e32 v7, vcc_lo, s5, v29, vcc_lo
	global_load_b64 v[6:7], v[6:7], off
.LBB209_13:                             ;   in Loop: Header=BB209_9 Depth=1
	s_or_b32 exec_lo, exec_lo, s0
	v_add_co_u32 v12, vcc_lo, s14, v0
	v_add_co_ci_u32_e32 v13, vcc_lo, 0, v1, vcc_lo
	s_delay_alu instid0(VALU_DEP_1) | instskip(SKIP_1) | instid1(VALU_DEP_1)
	v_cmp_gt_i64_e32 vcc_lo, s[6:7], v[12:13]
	v_cmp_gt_u64_e64 s0, 0x10000, v[12:13]
	s_and_b32 s3, vcc_lo, s0
	s_delay_alu instid0(SALU_CYCLE_1)
	;; [unrolled: 16-line block ×3, first 2 shown]
	s_and_saveexec_b32 s0, s3
	s_cbranch_execnz .LBB209_20
; %bb.16:                               ;   in Loop: Header=BB209_9 Depth=1
	s_or_b32 exec_lo, exec_lo, s0
	s_delay_alu instid0(SALU_CYCLE_1)
	s_mov_b32 s0, exec_lo
	v_cmpx_gt_u64_e64 s[8:9], v[0:1]
	s_cbranch_execnz .LBB209_21
.LBB209_17:                             ;   in Loop: Header=BB209_9 Depth=1
	s_or_b32 exec_lo, exec_lo, s0
	s_delay_alu instid0(SALU_CYCLE_1)
	s_mov_b32 s0, exec_lo
	v_cmpx_gt_u64_e64 s[8:9], v[10:11]
	s_cbranch_execnz .LBB209_22
.LBB209_18:                             ;   in Loop: Header=BB209_9 Depth=1
	s_or_b32 exec_lo, exec_lo, s0
	s_delay_alu instid0(SALU_CYCLE_1)
	s_mov_b32 s0, exec_lo
	v_cmpx_gt_u64_e64 s[8:9], v[12:13]
	s_cbranch_execnz .LBB209_23
.LBB209_19:                             ;   in Loop: Header=BB209_9 Depth=1
	s_or_b32 exec_lo, exec_lo, s0
	s_delay_alu instid0(SALU_CYCLE_1)
	s_mov_b32 s0, exec_lo
	v_cmpx_gt_u64_e64 s[8:9], v[14:15]
	s_cbranch_execz .LBB209_8
	s_branch .LBB209_24
.LBB209_20:                             ;   in Loop: Header=BB209_9 Depth=1
	s_waitcnt vmcnt(0)
	v_add_co_u32 v2, vcc_lo, v20, s4
	v_add_co_ci_u32_e32 v3, vcc_lo, s5, v21, vcc_lo
	global_load_b64 v[2:3], v[2:3], off
	s_or_b32 exec_lo, exec_lo, s0
	s_delay_alu instid0(SALU_CYCLE_1)
	s_mov_b32 s0, exec_lo
	v_cmpx_gt_u64_e64 s[8:9], v[0:1]
	s_cbranch_execz .LBB209_17
.LBB209_21:                             ;   in Loop: Header=BB209_9 Depth=1
	s_waitcnt vmcnt(0)
	v_trunc_f64_e32 v[32:33], v[8:9]
	s_delay_alu instid0(VALU_DEP_1) | instskip(NEXT) | instid1(VALU_DEP_1)
	v_ldexp_f64 v[34:35], v[32:33], 0xffffffe0
	v_floor_f64_e32 v[34:35], v[34:35]
	s_delay_alu instid0(VALU_DEP_1) | instskip(SKIP_3) | instid1(VALU_DEP_4)
	v_fma_f64 v[32:33], 0xc1f00000, v[34:35], v[32:33]
	v_cvt_i32_f64_e32 v34, v[34:35]
	v_add_co_u32 v35, vcc_lo, v18, s4
	v_add_co_ci_u32_e32 v36, vcc_lo, s5, v19, vcc_lo
	v_cvt_u32_f64_e32 v33, v[32:33]
	global_store_b64 v[35:36], v[33:34], off
	s_or_b32 exec_lo, exec_lo, s0
	s_delay_alu instid0(SALU_CYCLE_1)
	s_mov_b32 s0, exec_lo
	v_cmpx_gt_u64_e64 s[8:9], v[10:11]
	s_cbranch_execz .LBB209_18
.LBB209_22:                             ;   in Loop: Header=BB209_9 Depth=1
	s_waitcnt vmcnt(0)
	v_trunc_f64_e32 v[10:11], v[6:7]
	s_delay_alu instid0(VALU_DEP_1) | instskip(NEXT) | instid1(VALU_DEP_1)
	v_ldexp_f64 v[32:33], v[10:11], 0xffffffe0
	v_floor_f64_e32 v[32:33], v[32:33]
	s_delay_alu instid0(VALU_DEP_1) | instskip(SKIP_1) | instid1(VALU_DEP_2)
	v_fma_f64 v[10:11], 0xc1f00000, v[32:33], v[10:11]
	v_cvt_i32_f64_e32 v33, v[32:33]
	v_cvt_u32_f64_e32 v32, v[10:11]
	v_add_co_u32 v10, vcc_lo, v30, s4
	v_add_co_ci_u32_e32 v11, vcc_lo, s5, v31, vcc_lo
	global_store_b64 v[10:11], v[32:33], off
	s_or_b32 exec_lo, exec_lo, s0
	s_delay_alu instid0(SALU_CYCLE_1)
	s_mov_b32 s0, exec_lo
	v_cmpx_gt_u64_e64 s[8:9], v[12:13]
	s_cbranch_execz .LBB209_19
.LBB209_23:                             ;   in Loop: Header=BB209_9 Depth=1
	s_waitcnt vmcnt(0)
	v_trunc_f64_e32 v[10:11], v[4:5]
	v_add_co_u32 v32, vcc_lo, v26, s4
	v_add_co_ci_u32_e32 v33, vcc_lo, s5, v27, vcc_lo
	s_delay_alu instid0(VALU_DEP_3) | instskip(NEXT) | instid1(VALU_DEP_1)
	v_ldexp_f64 v[12:13], v[10:11], 0xffffffe0
	v_floor_f64_e32 v[12:13], v[12:13]
	s_delay_alu instid0(VALU_DEP_1) | instskip(SKIP_1) | instid1(VALU_DEP_2)
	v_fma_f64 v[10:11], 0xc1f00000, v[12:13], v[10:11]
	v_cvt_i32_f64_e32 v12, v[12:13]
	v_cvt_u32_f64_e32 v11, v[10:11]
	global_store_b64 v[32:33], v[11:12], off
	s_or_b32 exec_lo, exec_lo, s0
	s_delay_alu instid0(SALU_CYCLE_1)
	s_mov_b32 s0, exec_lo
	v_cmpx_gt_u64_e64 s[8:9], v[14:15]
	s_cbranch_execz .LBB209_8
.LBB209_24:                             ;   in Loop: Header=BB209_9 Depth=1
	s_waitcnt vmcnt(0)
	v_trunc_f64_e32 v[10:11], v[2:3]
	s_delay_alu instid0(VALU_DEP_1) | instskip(NEXT) | instid1(VALU_DEP_1)
	v_ldexp_f64 v[12:13], v[10:11], 0xffffffe0
	v_floor_f64_e32 v[12:13], v[12:13]
	s_delay_alu instid0(VALU_DEP_1) | instskip(SKIP_3) | instid1(VALU_DEP_4)
	v_fma_f64 v[10:11], 0xc1f00000, v[12:13], v[10:11]
	v_cvt_i32_f64_e32 v12, v[12:13]
	v_add_co_u32 v13, vcc_lo, v22, s4
	v_add_co_ci_u32_e32 v14, vcc_lo, s5, v23, vcc_lo
	v_cvt_u32_f64_e32 v11, v[10:11]
	global_store_b64 v[13:14], v[11:12], off
	s_branch .LBB209_8
.LBB209_25:
	s_nop 0
	s_sendmsg sendmsg(MSG_DEALLOC_VGPRS)
	s_endpgm
	.section	.rodata,"a",@progbits
	.p2align	6, 0x0
	.amdhsa_kernel _ZN2at6native12_GLOBAL__N_125multi_tensor_apply_kernelINS1_18TensorListMetadataILi2EEENS1_11CopyFunctorIldLi2ELi1ELi1EEEJNS0_4CopyIldEEEEEvT_T0_DpT1_
		.amdhsa_group_segment_fixed_size 0
		.amdhsa_private_segment_fixed_size 0
		.amdhsa_kernarg_size 3408
		.amdhsa_user_sgpr_count 15
		.amdhsa_user_sgpr_dispatch_ptr 0
		.amdhsa_user_sgpr_queue_ptr 0
		.amdhsa_user_sgpr_kernarg_segment_ptr 1
		.amdhsa_user_sgpr_dispatch_id 0
		.amdhsa_user_sgpr_private_segment_size 0
		.amdhsa_wavefront_size32 1
		.amdhsa_uses_dynamic_stack 0
		.amdhsa_enable_private_segment 0
		.amdhsa_system_sgpr_workgroup_id_x 1
		.amdhsa_system_sgpr_workgroup_id_y 0
		.amdhsa_system_sgpr_workgroup_id_z 0
		.amdhsa_system_sgpr_workgroup_info 0
		.amdhsa_system_vgpr_workitem_id 0
		.amdhsa_next_free_vgpr 37
		.amdhsa_next_free_sgpr 22
		.amdhsa_reserve_vcc 1
		.amdhsa_float_round_mode_32 0
		.amdhsa_float_round_mode_16_64 0
		.amdhsa_float_denorm_mode_32 3
		.amdhsa_float_denorm_mode_16_64 3
		.amdhsa_dx10_clamp 1
		.amdhsa_ieee_mode 1
		.amdhsa_fp16_overflow 0
		.amdhsa_workgroup_processor_mode 1
		.amdhsa_memory_ordered 1
		.amdhsa_forward_progress 0
		.amdhsa_shared_vgpr_count 0
		.amdhsa_exception_fp_ieee_invalid_op 0
		.amdhsa_exception_fp_denorm_src 0
		.amdhsa_exception_fp_ieee_div_zero 0
		.amdhsa_exception_fp_ieee_overflow 0
		.amdhsa_exception_fp_ieee_underflow 0
		.amdhsa_exception_fp_ieee_inexact 0
		.amdhsa_exception_int_div_zero 0
	.end_amdhsa_kernel
	.section	.text._ZN2at6native12_GLOBAL__N_125multi_tensor_apply_kernelINS1_18TensorListMetadataILi2EEENS1_11CopyFunctorIldLi2ELi1ELi1EEEJNS0_4CopyIldEEEEEvT_T0_DpT1_,"axG",@progbits,_ZN2at6native12_GLOBAL__N_125multi_tensor_apply_kernelINS1_18TensorListMetadataILi2EEENS1_11CopyFunctorIldLi2ELi1ELi1EEEJNS0_4CopyIldEEEEEvT_T0_DpT1_,comdat
.Lfunc_end209:
	.size	_ZN2at6native12_GLOBAL__N_125multi_tensor_apply_kernelINS1_18TensorListMetadataILi2EEENS1_11CopyFunctorIldLi2ELi1ELi1EEEJNS0_4CopyIldEEEEEvT_T0_DpT1_, .Lfunc_end209-_ZN2at6native12_GLOBAL__N_125multi_tensor_apply_kernelINS1_18TensorListMetadataILi2EEENS1_11CopyFunctorIldLi2ELi1ELi1EEEJNS0_4CopyIldEEEEEvT_T0_DpT1_
                                        ; -- End function
	.section	.AMDGPU.csdata,"",@progbits
; Kernel info:
; codeLenInByte = 1828
; NumSgprs: 24
; NumVgprs: 37
; ScratchSize: 0
; MemoryBound: 0
; FloatMode: 240
; IeeeMode: 1
; LDSByteSize: 0 bytes/workgroup (compile time only)
; SGPRBlocks: 2
; VGPRBlocks: 4
; NumSGPRsForWavesPerEU: 24
; NumVGPRsForWavesPerEU: 37
; Occupancy: 16
; WaveLimiterHint : 0
; COMPUTE_PGM_RSRC2:SCRATCH_EN: 0
; COMPUTE_PGM_RSRC2:USER_SGPR: 15
; COMPUTE_PGM_RSRC2:TRAP_HANDLER: 0
; COMPUTE_PGM_RSRC2:TGID_X_EN: 1
; COMPUTE_PGM_RSRC2:TGID_Y_EN: 0
; COMPUTE_PGM_RSRC2:TGID_Z_EN: 0
; COMPUTE_PGM_RSRC2:TIDIG_COMP_CNT: 0
	.section	.text._ZN2at6native12_GLOBAL__N_125multi_tensor_apply_kernelINS1_18TensorListMetadataILi2EEENS1_11CopyFunctorIlfLi2ELi1ELi1EEEJNS0_4CopyIlfEEEEEvT_T0_DpT1_,"axG",@progbits,_ZN2at6native12_GLOBAL__N_125multi_tensor_apply_kernelINS1_18TensorListMetadataILi2EEENS1_11CopyFunctorIlfLi2ELi1ELi1EEEJNS0_4CopyIlfEEEEEvT_T0_DpT1_,comdat
	.globl	_ZN2at6native12_GLOBAL__N_125multi_tensor_apply_kernelINS1_18TensorListMetadataILi2EEENS1_11CopyFunctorIlfLi2ELi1ELi1EEEJNS0_4CopyIlfEEEEEvT_T0_DpT1_ ; -- Begin function _ZN2at6native12_GLOBAL__N_125multi_tensor_apply_kernelINS1_18TensorListMetadataILi2EEENS1_11CopyFunctorIlfLi2ELi1ELi1EEEJNS0_4CopyIlfEEEEEvT_T0_DpT1_
	.p2align	8
	.type	_ZN2at6native12_GLOBAL__N_125multi_tensor_apply_kernelINS1_18TensorListMetadataILi2EEENS1_11CopyFunctorIlfLi2ELi1ELi1EEEJNS0_4CopyIlfEEEEEvT_T0_DpT1_,@function
_ZN2at6native12_GLOBAL__N_125multi_tensor_apply_kernelINS1_18TensorListMetadataILi2EEENS1_11CopyFunctorIlfLi2ELi1ELi1EEEJNS0_4CopyIlfEEEEEvT_T0_DpT1_: ; @_ZN2at6native12_GLOBAL__N_125multi_tensor_apply_kernelINS1_18TensorListMetadataILi2EEENS1_11CopyFunctorIlfLi2ELi1ELi1EEEJNS0_4CopyIlfEEEEEvT_T0_DpT1_
; %bb.0:
	v_mov_b32_e32 v1, s15
	s_add_u32 s2, s0, s15
	s_mul_hi_u32 s3, s15, 3
	s_mul_i32 s15, s15, 3
	s_addc_u32 s4, s1, 0
	global_load_u8 v1, v1, s[0:1] offset:1536
	s_add_u32 s2, s2, s15
	s_addc_u32 s3, s4, s3
	s_mov_b32 s15, 0
	s_load_b32 s8, s[2:3], 0x740
	s_waitcnt lgkmcnt(0)
	s_ashr_i32 s9, s8, 31
	s_delay_alu instid0(SALU_CYCLE_1) | instskip(SKIP_3) | instid1(VALU_DEP_1)
	s_lshl_b64 s[10:11], s[8:9], 18
	s_lshl_b64 s[16:17], s[8:9], 16
	s_waitcnt vmcnt(0)
	v_readfirstlane_b32 s5, v1
	s_lshl_b32 s4, s5, 3
	s_clause 0x2
	s_load_b64 s[2:3], s[0:1], s4 offset:0x0
	s_load_b64 s[6:7], s[0:1], s4 offset:0x200
	;; [unrolled: 1-line block ×3, first 2 shown]
	s_waitcnt lgkmcnt(0)
	s_add_u32 s12, s2, s10
	s_addc_u32 s13, s3, s11
	s_and_b32 s18, s6, 31
	s_and_b32 s19, s4, 3
	;; [unrolled: 1-line block ×3, first 2 shown]
	s_or_b32 s18, s19, s18
	s_mov_b32 s19, s15
	s_delay_alu instid0(SALU_CYCLE_1)
	s_or_b64 s[14:15], s[14:15], s[18:19]
	s_sub_u32 s4, s4, s16
	s_subb_u32 s5, s5, s17
	s_cmp_eq_u64 s[14:15], 0
	s_mov_b32 s14, -1
	s_cbranch_scc0 .LBB210_5
; %bb.1:
	v_dual_mov_b32 v2, 0 :: v_dual_lshlrev_b32 v1, 2, v0
	s_mov_b32 s14, exec_lo
	s_delay_alu instid0(VALU_DEP_1)
	v_cmpx_gt_i64_e64 s[4:5], v[1:2]
	s_cbranch_execz .LBB210_4
; %bb.2:
	s_load_b32 s15, s[0:1], 0xc5c
	v_lshlrev_b32_e32 v4, 5, v0
	v_lshlrev_b32_e32 v3, 4, v0
	s_waitcnt lgkmcnt(0)
	s_and_b32 s16, s15, 0xffff
	s_delay_alu instid0(SALU_CYCLE_1)
	s_lshl_b32 s15, s16, 2
	s_add_u32 s17, s2, s10
	s_addc_u32 s11, s3, s11
	s_lshl_b64 s[2:3], s[8:9], 19
	s_lshl_b32 s10, s16, 4
	s_add_u32 s2, s6, s2
	s_addc_u32 s3, s7, s3
	v_add_co_u32 v5, s2, s2, v4
	s_delay_alu instid0(VALU_DEP_1) | instskip(SKIP_1) | instid1(VALU_DEP_3)
	v_add_co_ci_u32_e64 v6, null, s3, 0, s2
	v_add_co_u32 v3, s2, s17, v3
	v_add_co_u32 v5, vcc_lo, v5, 16
	v_add_lshl_u32 v1, v0, s16, 2
	v_add_co_ci_u32_e64 v4, null, s11, 0, s2
	v_add_co_ci_u32_e32 v6, vcc_lo, 0, v6, vcc_lo
	s_mov_b32 s11, 0
	s_lshl_b32 s16, s16, 5
.LBB210_3:                              ; =>This Inner Loop Header: Depth=1
	global_load_b128 v[7:10], v[3:4], off
	v_cmp_le_i64_e32 vcc_lo, s[4:5], v[1:2]
	v_cmp_lt_u64_e64 s2, 0xffff, v[1:2]
	v_add_co_u32 v1, s3, v1, s15
	s_delay_alu instid0(VALU_DEP_1) | instskip(SKIP_1) | instid1(VALU_DEP_4)
	v_add_co_ci_u32_e64 v2, s3, 0, v2, s3
	v_add_co_u32 v3, s3, v3, s10
	s_or_b32 s2, vcc_lo, s2
	v_add_co_ci_u32_e64 v4, s3, 0, v4, s3
	s_and_b32 s2, exec_lo, s2
	s_delay_alu instid0(SALU_CYCLE_1)
	s_or_b32 s11, s2, s11
	s_waitcnt vmcnt(0)
	v_trunc_f32_e32 v7, v7
	v_trunc_f32_e32 v8, v8
	;; [unrolled: 1-line block ×4, first 2 shown]
	s_delay_alu instid0(VALU_DEP_4) | instskip(NEXT) | instid1(VALU_DEP_4)
	v_mul_f32_e64 v11, 0x2f800000, |v7|
	v_mul_f32_e64 v13, 0x2f800000, |v8|
	s_delay_alu instid0(VALU_DEP_4) | instskip(NEXT) | instid1(VALU_DEP_4)
	v_mul_f32_e64 v15, 0x2f800000, |v9|
	v_mul_f32_e64 v17, 0x2f800000, |v10|
	v_ashrrev_i32_e32 v12, 31, v7
	v_floor_f32_e32 v11, v11
	v_floor_f32_e32 v13, v13
	;; [unrolled: 1-line block ×3, first 2 shown]
	v_ashrrev_i32_e32 v14, 31, v8
	v_floor_f32_e32 v17, v17
	v_fma_f32 v7, 0xcf800000, v11, |v7|
	v_fma_f32 v8, 0xcf800000, v13, |v8|
	v_ashrrev_i32_e32 v16, 31, v9
	v_fma_f32 v9, 0xcf800000, v15, |v9|
	v_cvt_u32_f32_e32 v19, v11
	v_cvt_u32_f32_e32 v7, v7
	;; [unrolled: 1-line block ×3, first 2 shown]
	v_ashrrev_i32_e32 v18, 31, v10
	v_fma_f32 v10, 0xcf800000, v17, |v10|
	v_cvt_u32_f32_e32 v11, v13
	v_xor_b32_e32 v7, v7, v12
	v_cvt_u32_f32_e32 v9, v9
	v_cvt_u32_f32_e32 v13, v15
	;; [unrolled: 1-line block ×3, first 2 shown]
	v_xor_b32_e32 v17, v19, v12
	v_xor_b32_e32 v19, v8, v14
	v_cvt_u32_f32_e32 v10, v10
	v_xor_b32_e32 v11, v11, v14
	v_sub_co_u32 v7, vcc_lo, v7, v12
	v_xor_b32_e32 v20, v9, v16
	v_sub_co_ci_u32_e32 v8, vcc_lo, v17, v12, vcc_lo
	v_xor_b32_e32 v13, v13, v16
	v_sub_co_u32 v9, vcc_lo, v19, v14
	v_xor_b32_e32 v21, v10, v18
	v_sub_co_ci_u32_e32 v10, vcc_lo, v11, v14, vcc_lo
	v_xor_b32_e32 v15, v15, v18
	v_sub_co_u32 v11, vcc_lo, v20, v16
	v_sub_co_ci_u32_e32 v12, vcc_lo, v13, v16, vcc_lo
	v_sub_co_u32 v13, vcc_lo, v21, v18
	s_delay_alu instid0(VALU_DEP_4)
	v_sub_co_ci_u32_e32 v14, vcc_lo, v15, v18, vcc_lo
	s_clause 0x1
	global_store_b128 v[5:6], v[7:10], off offset:-16
	global_store_b128 v[5:6], v[11:14], off
	v_add_co_u32 v5, vcc_lo, v5, s16
	v_add_co_ci_u32_e32 v6, vcc_lo, 0, v6, vcc_lo
	s_and_not1_b32 exec_lo, exec_lo, s11
	s_cbranch_execnz .LBB210_3
.LBB210_4:
	s_or_b32 exec_lo, exec_lo, s14
	s_mov_b32 s14, 0
.LBB210_5:
	s_delay_alu instid0(SALU_CYCLE_1)
	s_and_not1_b32 vcc_lo, exec_lo, s14
	s_cbranch_vccnz .LBB210_25
; %bb.6:
	v_cmp_lt_i64_e64 s2, s[4:5], 1
	s_delay_alu instid0(VALU_DEP_1)
	s_and_b32 vcc_lo, exec_lo, s2
	s_cbranch_vccnz .LBB210_25
; %bb.7:
	s_load_b32 s0, s[0:1], 0xc5c
	v_cmp_gt_u64_e64 s1, 0x10000, s[4:5]
	v_dual_mov_b32 v2, 0 :: v_dual_lshlrev_b32 v5, 3, v0
	v_lshlrev_b32_e32 v1, 2, v0
                                        ; implicit-def: $vgpr25
                                        ; implicit-def: $vgpr26
                                        ; implicit-def: $vgpr27
                                        ; implicit-def: $vgpr28
	s_waitcnt lgkmcnt(0)
	s_and_b32 s0, s0, 0xffff
	s_delay_alu instid0(VALU_DEP_3)
	s_and_b32 s1, s1, exec_lo
	s_cselect_b32 s3, s5, 0
	s_cselect_b32 s2, s4, 0x10000
	s_lshl_b64 s[8:9], s[8:9], 19
	s_lshl_b32 s11, s0, 1
	s_lshl_b32 s1, s0, 2
	;; [unrolled: 1-line block ×3, first 2 shown]
	s_add_u32 s6, s6, s8
	s_addc_u32 s7, s7, s9
	v_add_co_u32 v5, s9, s6, v5
	s_delay_alu instid0(VALU_DEP_1) | instskip(SKIP_4) | instid1(VALU_DEP_3)
	v_add_co_ci_u32_e64 v6, null, s7, 0, s9
	v_add_co_u32 v18, s9, v0, s0
	s_mul_i32 s14, s0, 3
	v_mad_u64_u32 v[3:4], null, s0, 12, v[1:2]
	v_add_co_u32 v2, s8, s14, v0
	v_lshlrev_b32_e32 v7, 3, v18
	v_add_co_ci_u32_e64 v17, null, 0, 0, s8
	s_lshl_b32 s8, s0, 3
	v_add_co_ci_u32_e64 v21, null, 0, 0, s9
	v_add_co_u32 v19, s8, s8, v1
	s_delay_alu instid0(VALU_DEP_1)
	v_add_co_ci_u32_e64 v20, null, 0, 0, s8
	v_add_co_u32 v22, s8, s11, v0
	v_add_co_u32 v7, s6, s6, v7
	v_add_co_ci_u32_e64 v23, null, 0, 0, s8
	v_lshlrev_b32_e32 v24, 2, v18
	v_add_co_ci_u32_e64 v8, null, s7, 0, s6
	s_lshl_b32 s8, s0, 5
	s_mul_i32 s9, s0, 24
	s_mov_b64 s[6:7], 0
	s_branch .LBB210_9
.LBB210_8:                              ;   in Loop: Header=BB210_9 Depth=1
	s_or_b32 exec_lo, exec_lo, s0
	s_add_u32 s6, s6, s1
	s_addc_u32 s7, s7, 0
	v_add_co_u32 v5, vcc_lo, v5, s8
	v_cmp_ge_i64_e64 s0, s[6:7], s[4:5]
	v_cmp_lt_u64_e64 s11, 0xffff, s[6:7]
	v_add_co_ci_u32_e32 v6, vcc_lo, 0, v6, vcc_lo
	v_add_co_u32 v7, vcc_lo, v7, s8
	v_add_co_ci_u32_e32 v8, vcc_lo, 0, v8, vcc_lo
	s_delay_alu instid0(VALU_DEP_4)
	s_or_b32 s0, s0, s11
	s_add_u32 s12, s12, s10
	s_addc_u32 s13, s13, 0
	s_and_b32 vcc_lo, exec_lo, s0
	s_cbranch_vccnz .LBB210_25
.LBB210_9:                              ; =>This Inner Loop Header: Depth=1
	v_add_co_u32 v15, s0, v0, s6
	s_delay_alu instid0(VALU_DEP_1) | instskip(NEXT) | instid1(VALU_DEP_1)
	v_add_co_ci_u32_e64 v16, null, 0, s7, s0
	v_cmp_gt_i64_e32 vcc_lo, s[4:5], v[15:16]
	v_cmp_gt_u64_e64 s0, 0x10000, v[15:16]
	s_delay_alu instid0(VALU_DEP_1) | instskip(NEXT) | instid1(SALU_CYCLE_1)
	s_and_b32 s11, vcc_lo, s0
	s_and_saveexec_b32 s0, s11
	s_cbranch_execz .LBB210_11
; %bb.10:                               ;   in Loop: Header=BB210_9 Depth=1
	v_add_co_u32 v9, s11, s12, v1
	s_delay_alu instid0(VALU_DEP_1)
	v_add_co_ci_u32_e64 v10, null, s13, 0, s11
	global_load_b32 v28, v[9:10], off
.LBB210_11:                             ;   in Loop: Header=BB210_9 Depth=1
	s_or_b32 exec_lo, exec_lo, s0
	v_add_co_u32 v13, vcc_lo, v18, s6
	v_add_co_ci_u32_e32 v14, vcc_lo, s7, v21, vcc_lo
	s_delay_alu instid0(VALU_DEP_1) | instskip(SKIP_1) | instid1(VALU_DEP_1)
	v_cmp_gt_i64_e32 vcc_lo, s[4:5], v[13:14]
	v_cmp_gt_u64_e64 s0, 0x10000, v[13:14]
	s_and_b32 s11, vcc_lo, s0
	s_delay_alu instid0(SALU_CYCLE_1)
	s_and_saveexec_b32 s0, s11
	s_cbranch_execz .LBB210_13
; %bb.12:                               ;   in Loop: Header=BB210_9 Depth=1
	v_add_co_u32 v9, s11, s12, v24
	s_delay_alu instid0(VALU_DEP_1)
	v_add_co_ci_u32_e64 v10, null, s13, 0, s11
	global_load_b32 v27, v[9:10], off
.LBB210_13:                             ;   in Loop: Header=BB210_9 Depth=1
	s_or_b32 exec_lo, exec_lo, s0
	v_add_co_u32 v11, vcc_lo, v22, s6
	v_add_co_ci_u32_e32 v12, vcc_lo, s7, v23, vcc_lo
	s_delay_alu instid0(VALU_DEP_1) | instskip(SKIP_1) | instid1(VALU_DEP_1)
	v_cmp_gt_i64_e32 vcc_lo, s[4:5], v[11:12]
	v_cmp_gt_u64_e64 s0, 0x10000, v[11:12]
	s_and_b32 s11, vcc_lo, s0
	s_delay_alu instid0(SALU_CYCLE_1)
	s_and_saveexec_b32 s0, s11
	s_cbranch_execz .LBB210_15
; %bb.14:                               ;   in Loop: Header=BB210_9 Depth=1
	v_add_co_u32 v9, vcc_lo, s12, v19
	v_add_co_ci_u32_e32 v10, vcc_lo, s13, v20, vcc_lo
	global_load_b32 v26, v[9:10], off
.LBB210_15:                             ;   in Loop: Header=BB210_9 Depth=1
	s_or_b32 exec_lo, exec_lo, s0
	v_add_co_u32 v9, vcc_lo, v2, s6
	v_add_co_ci_u32_e32 v10, vcc_lo, s7, v17, vcc_lo
	s_delay_alu instid0(VALU_DEP_1) | instskip(SKIP_1) | instid1(VALU_DEP_1)
	v_cmp_gt_i64_e32 vcc_lo, s[4:5], v[9:10]
	v_cmp_gt_u64_e64 s0, 0x10000, v[9:10]
	s_and_b32 s11, vcc_lo, s0
	s_delay_alu instid0(SALU_CYCLE_1)
	s_and_saveexec_b32 s0, s11
	s_cbranch_execnz .LBB210_20
; %bb.16:                               ;   in Loop: Header=BB210_9 Depth=1
	s_or_b32 exec_lo, exec_lo, s0
	s_delay_alu instid0(SALU_CYCLE_1)
	s_mov_b32 s0, exec_lo
	v_cmpx_gt_u64_e64 s[2:3], v[15:16]
	s_cbranch_execnz .LBB210_21
.LBB210_17:                             ;   in Loop: Header=BB210_9 Depth=1
	s_or_b32 exec_lo, exec_lo, s0
	s_delay_alu instid0(SALU_CYCLE_1)
	s_mov_b32 s0, exec_lo
	v_cmpx_gt_u64_e64 s[2:3], v[13:14]
	s_cbranch_execnz .LBB210_22
.LBB210_18:                             ;   in Loop: Header=BB210_9 Depth=1
	s_or_b32 exec_lo, exec_lo, s0
	s_delay_alu instid0(SALU_CYCLE_1)
	s_mov_b32 s0, exec_lo
	v_cmpx_gt_u64_e64 s[2:3], v[11:12]
	s_cbranch_execnz .LBB210_23
.LBB210_19:                             ;   in Loop: Header=BB210_9 Depth=1
	s_or_b32 exec_lo, exec_lo, s0
	s_delay_alu instid0(SALU_CYCLE_1)
	s_mov_b32 s0, exec_lo
	v_cmpx_gt_u64_e64 s[2:3], v[9:10]
	s_cbranch_execz .LBB210_8
	s_branch .LBB210_24
.LBB210_20:                             ;   in Loop: Header=BB210_9 Depth=1
	v_add_co_u32 v29, vcc_lo, s12, v3
	v_add_co_ci_u32_e32 v30, vcc_lo, s13, v4, vcc_lo
	global_load_b32 v25, v[29:30], off
	s_or_b32 exec_lo, exec_lo, s0
	s_delay_alu instid0(SALU_CYCLE_1)
	s_mov_b32 s0, exec_lo
	v_cmpx_gt_u64_e64 s[2:3], v[15:16]
	s_cbranch_execz .LBB210_17
.LBB210_21:                             ;   in Loop: Header=BB210_9 Depth=1
	s_waitcnt vmcnt(0)
	v_trunc_f32_e32 v15, v28
	s_delay_alu instid0(VALU_DEP_1) | instskip(SKIP_1) | instid1(VALU_DEP_2)
	v_mul_f32_e64 v16, 0x2f800000, |v15|
	v_ashrrev_i32_e32 v30, 31, v15
	v_floor_f32_e32 v16, v16
	s_delay_alu instid0(VALU_DEP_1) | instskip(SKIP_1) | instid1(VALU_DEP_2)
	v_fma_f32 v29, 0xcf800000, v16, |v15|
	v_cvt_u32_f32_e32 v16, v16
	v_cvt_u32_f32_e32 v15, v29
	s_delay_alu instid0(VALU_DEP_2) | instskip(NEXT) | instid1(VALU_DEP_2)
	v_xor_b32_e32 v16, v16, v30
	v_xor_b32_e32 v15, v15, v30
	s_delay_alu instid0(VALU_DEP_1) | instskip(NEXT) | instid1(VALU_DEP_3)
	v_sub_co_u32 v15, vcc_lo, v15, v30
	v_sub_co_ci_u32_e32 v16, vcc_lo, v16, v30, vcc_lo
	global_store_b64 v[5:6], v[15:16], off
	s_or_b32 exec_lo, exec_lo, s0
	s_delay_alu instid0(SALU_CYCLE_1)
	s_mov_b32 s0, exec_lo
	v_cmpx_gt_u64_e64 s[2:3], v[13:14]
	s_cbranch_execz .LBB210_18
.LBB210_22:                             ;   in Loop: Header=BB210_9 Depth=1
	s_waitcnt vmcnt(0)
	v_trunc_f32_e32 v13, v27
	s_delay_alu instid0(VALU_DEP_1) | instskip(SKIP_1) | instid1(VALU_DEP_2)
	v_mul_f32_e64 v14, 0x2f800000, |v13|
	v_ashrrev_i32_e32 v16, 31, v13
	v_floor_f32_e32 v14, v14
	s_delay_alu instid0(VALU_DEP_1) | instskip(SKIP_1) | instid1(VALU_DEP_2)
	v_fma_f32 v15, 0xcf800000, v14, |v13|
	v_cvt_u32_f32_e32 v14, v14
	v_cvt_u32_f32_e32 v13, v15
	s_delay_alu instid0(VALU_DEP_2) | instskip(NEXT) | instid1(VALU_DEP_2)
	v_xor_b32_e32 v14, v14, v16
	v_xor_b32_e32 v13, v13, v16
	s_delay_alu instid0(VALU_DEP_1) | instskip(NEXT) | instid1(VALU_DEP_3)
	v_sub_co_u32 v13, vcc_lo, v13, v16
	v_sub_co_ci_u32_e32 v14, vcc_lo, v14, v16, vcc_lo
	global_store_b64 v[7:8], v[13:14], off
	s_or_b32 exec_lo, exec_lo, s0
	s_delay_alu instid0(SALU_CYCLE_1)
	s_mov_b32 s0, exec_lo
	v_cmpx_gt_u64_e64 s[2:3], v[11:12]
	s_cbranch_execz .LBB210_19
.LBB210_23:                             ;   in Loop: Header=BB210_9 Depth=1
	s_waitcnt vmcnt(0)
	v_trunc_f32_e32 v11, v26
	s_delay_alu instid0(VALU_DEP_1) | instskip(SKIP_1) | instid1(VALU_DEP_2)
	v_mul_f32_e64 v12, 0x2f800000, |v11|
	v_ashrrev_i32_e32 v14, 31, v11
	v_floor_f32_e32 v12, v12
	s_delay_alu instid0(VALU_DEP_1) | instskip(SKIP_1) | instid1(VALU_DEP_2)
	v_fma_f32 v13, 0xcf800000, v12, |v11|
	v_cvt_u32_f32_e32 v12, v12
	v_cvt_u32_f32_e32 v11, v13
	s_delay_alu instid0(VALU_DEP_2) | instskip(NEXT) | instid1(VALU_DEP_2)
	v_xor_b32_e32 v12, v12, v14
	v_xor_b32_e32 v11, v11, v14
	s_delay_alu instid0(VALU_DEP_1) | instskip(NEXT) | instid1(VALU_DEP_3)
	v_sub_co_u32 v11, vcc_lo, v11, v14
	v_sub_co_ci_u32_e32 v12, vcc_lo, v12, v14, vcc_lo
	v_add_co_u32 v13, vcc_lo, v5, s10
	v_add_co_ci_u32_e32 v14, vcc_lo, 0, v6, vcc_lo
	global_store_b64 v[13:14], v[11:12], off
	s_or_b32 exec_lo, exec_lo, s0
	s_delay_alu instid0(SALU_CYCLE_1)
	s_mov_b32 s0, exec_lo
	v_cmpx_gt_u64_e64 s[2:3], v[9:10]
	s_cbranch_execz .LBB210_8
.LBB210_24:                             ;   in Loop: Header=BB210_9 Depth=1
	s_waitcnt vmcnt(0)
	v_trunc_f32_e32 v9, v25
	s_delay_alu instid0(VALU_DEP_1) | instskip(SKIP_1) | instid1(VALU_DEP_2)
	v_mul_f32_e64 v10, 0x2f800000, |v9|
	v_ashrrev_i32_e32 v12, 31, v9
	v_floor_f32_e32 v10, v10
	s_delay_alu instid0(VALU_DEP_1) | instskip(SKIP_1) | instid1(VALU_DEP_2)
	v_fma_f32 v11, 0xcf800000, v10, |v9|
	v_cvt_u32_f32_e32 v10, v10
	v_cvt_u32_f32_e32 v9, v11
	s_delay_alu instid0(VALU_DEP_2) | instskip(NEXT) | instid1(VALU_DEP_2)
	v_xor_b32_e32 v10, v10, v12
	v_xor_b32_e32 v9, v9, v12
	s_delay_alu instid0(VALU_DEP_1) | instskip(NEXT) | instid1(VALU_DEP_3)
	v_sub_co_u32 v9, vcc_lo, v9, v12
	v_sub_co_ci_u32_e32 v10, vcc_lo, v10, v12, vcc_lo
	v_add_co_u32 v11, vcc_lo, v5, s9
	v_add_co_ci_u32_e32 v12, vcc_lo, 0, v6, vcc_lo
	global_store_b64 v[11:12], v[9:10], off
	s_branch .LBB210_8
.LBB210_25:
	s_nop 0
	s_sendmsg sendmsg(MSG_DEALLOC_VGPRS)
	s_endpgm
	.section	.rodata,"a",@progbits
	.p2align	6, 0x0
	.amdhsa_kernel _ZN2at6native12_GLOBAL__N_125multi_tensor_apply_kernelINS1_18TensorListMetadataILi2EEENS1_11CopyFunctorIlfLi2ELi1ELi1EEEJNS0_4CopyIlfEEEEEvT_T0_DpT1_
		.amdhsa_group_segment_fixed_size 0
		.amdhsa_private_segment_fixed_size 0
		.amdhsa_kernarg_size 3408
		.amdhsa_user_sgpr_count 15
		.amdhsa_user_sgpr_dispatch_ptr 0
		.amdhsa_user_sgpr_queue_ptr 0
		.amdhsa_user_sgpr_kernarg_segment_ptr 1
		.amdhsa_user_sgpr_dispatch_id 0
		.amdhsa_user_sgpr_private_segment_size 0
		.amdhsa_wavefront_size32 1
		.amdhsa_uses_dynamic_stack 0
		.amdhsa_enable_private_segment 0
		.amdhsa_system_sgpr_workgroup_id_x 1
		.amdhsa_system_sgpr_workgroup_id_y 0
		.amdhsa_system_sgpr_workgroup_id_z 0
		.amdhsa_system_sgpr_workgroup_info 0
		.amdhsa_system_vgpr_workitem_id 0
		.amdhsa_next_free_vgpr 31
		.amdhsa_next_free_sgpr 20
		.amdhsa_reserve_vcc 1
		.amdhsa_float_round_mode_32 0
		.amdhsa_float_round_mode_16_64 0
		.amdhsa_float_denorm_mode_32 3
		.amdhsa_float_denorm_mode_16_64 3
		.amdhsa_dx10_clamp 1
		.amdhsa_ieee_mode 1
		.amdhsa_fp16_overflow 0
		.amdhsa_workgroup_processor_mode 1
		.amdhsa_memory_ordered 1
		.amdhsa_forward_progress 0
		.amdhsa_shared_vgpr_count 0
		.amdhsa_exception_fp_ieee_invalid_op 0
		.amdhsa_exception_fp_denorm_src 0
		.amdhsa_exception_fp_ieee_div_zero 0
		.amdhsa_exception_fp_ieee_overflow 0
		.amdhsa_exception_fp_ieee_underflow 0
		.amdhsa_exception_fp_ieee_inexact 0
		.amdhsa_exception_int_div_zero 0
	.end_amdhsa_kernel
	.section	.text._ZN2at6native12_GLOBAL__N_125multi_tensor_apply_kernelINS1_18TensorListMetadataILi2EEENS1_11CopyFunctorIlfLi2ELi1ELi1EEEJNS0_4CopyIlfEEEEEvT_T0_DpT1_,"axG",@progbits,_ZN2at6native12_GLOBAL__N_125multi_tensor_apply_kernelINS1_18TensorListMetadataILi2EEENS1_11CopyFunctorIlfLi2ELi1ELi1EEEJNS0_4CopyIlfEEEEEvT_T0_DpT1_,comdat
.Lfunc_end210:
	.size	_ZN2at6native12_GLOBAL__N_125multi_tensor_apply_kernelINS1_18TensorListMetadataILi2EEENS1_11CopyFunctorIlfLi2ELi1ELi1EEEJNS0_4CopyIlfEEEEEvT_T0_DpT1_, .Lfunc_end210-_ZN2at6native12_GLOBAL__N_125multi_tensor_apply_kernelINS1_18TensorListMetadataILi2EEENS1_11CopyFunctorIlfLi2ELi1ELi1EEEJNS0_4CopyIlfEEEEEvT_T0_DpT1_
                                        ; -- End function
	.section	.AMDGPU.csdata,"",@progbits
; Kernel info:
; codeLenInByte = 1968
; NumSgprs: 22
; NumVgprs: 31
; ScratchSize: 0
; MemoryBound: 0
; FloatMode: 240
; IeeeMode: 1
; LDSByteSize: 0 bytes/workgroup (compile time only)
; SGPRBlocks: 2
; VGPRBlocks: 3
; NumSGPRsForWavesPerEU: 22
; NumVGPRsForWavesPerEU: 31
; Occupancy: 16
; WaveLimiterHint : 0
; COMPUTE_PGM_RSRC2:SCRATCH_EN: 0
; COMPUTE_PGM_RSRC2:USER_SGPR: 15
; COMPUTE_PGM_RSRC2:TRAP_HANDLER: 0
; COMPUTE_PGM_RSRC2:TGID_X_EN: 1
; COMPUTE_PGM_RSRC2:TGID_Y_EN: 0
; COMPUTE_PGM_RSRC2:TGID_Z_EN: 0
; COMPUTE_PGM_RSRC2:TIDIG_COMP_CNT: 0
	.section	.text._ZN2at6native12_GLOBAL__N_125multi_tensor_apply_kernelINS1_18TensorListMetadataILi2EEENS1_11CopyFunctorIlN3c107complexIdEELi2ELi1ELi1EEEJNS0_4CopyIlS8_EEEEEvT_T0_DpT1_,"axG",@progbits,_ZN2at6native12_GLOBAL__N_125multi_tensor_apply_kernelINS1_18TensorListMetadataILi2EEENS1_11CopyFunctorIlN3c107complexIdEELi2ELi1ELi1EEEJNS0_4CopyIlS8_EEEEEvT_T0_DpT1_,comdat
	.globl	_ZN2at6native12_GLOBAL__N_125multi_tensor_apply_kernelINS1_18TensorListMetadataILi2EEENS1_11CopyFunctorIlN3c107complexIdEELi2ELi1ELi1EEEJNS0_4CopyIlS8_EEEEEvT_T0_DpT1_ ; -- Begin function _ZN2at6native12_GLOBAL__N_125multi_tensor_apply_kernelINS1_18TensorListMetadataILi2EEENS1_11CopyFunctorIlN3c107complexIdEELi2ELi1ELi1EEEJNS0_4CopyIlS8_EEEEEvT_T0_DpT1_
	.p2align	8
	.type	_ZN2at6native12_GLOBAL__N_125multi_tensor_apply_kernelINS1_18TensorListMetadataILi2EEENS1_11CopyFunctorIlN3c107complexIdEELi2ELi1ELi1EEEJNS0_4CopyIlS8_EEEEEvT_T0_DpT1_,@function
_ZN2at6native12_GLOBAL__N_125multi_tensor_apply_kernelINS1_18TensorListMetadataILi2EEENS1_11CopyFunctorIlN3c107complexIdEELi2ELi1ELi1EEEJNS0_4CopyIlS8_EEEEEvT_T0_DpT1_: ; @_ZN2at6native12_GLOBAL__N_125multi_tensor_apply_kernelINS1_18TensorListMetadataILi2EEENS1_11CopyFunctorIlN3c107complexIdEELi2ELi1ELi1EEEJNS0_4CopyIlS8_EEEEEvT_T0_DpT1_
; %bb.0:
	v_mov_b32_e32 v1, s15
	s_add_u32 s2, s0, s15
	s_mul_hi_u32 s3, s15, 3
	s_mul_i32 s15, s15, 3
	s_addc_u32 s4, s1, 0
	global_load_u8 v1, v1, s[0:1] offset:1536
	s_add_u32 s2, s2, s15
	s_addc_u32 s3, s4, s3
	s_mov_b32 s15, 0
	s_load_b32 s8, s[2:3], 0x740
	s_waitcnt lgkmcnt(0)
	s_ashr_i32 s9, s8, 31
	s_delay_alu instid0(SALU_CYCLE_1) | instskip(SKIP_3) | instid1(VALU_DEP_1)
	s_lshl_b64 s[10:11], s[8:9], 20
	s_lshl_b64 s[16:17], s[8:9], 16
	s_waitcnt vmcnt(0)
	v_readfirstlane_b32 s5, v1
	s_lshl_b32 s4, s5, 3
	s_clause 0x2
	s_load_b64 s[2:3], s[0:1], s4 offset:0x0
	s_load_b64 s[6:7], s[0:1], s4 offset:0x200
	;; [unrolled: 1-line block ×3, first 2 shown]
	s_waitcnt lgkmcnt(0)
	s_add_u32 s12, s2, s10
	s_addc_u32 s13, s3, s11
	s_and_b32 s18, s6, 31
	s_and_b32 s19, s4, 3
	;; [unrolled: 1-line block ×3, first 2 shown]
	s_or_b32 s18, s19, s18
	s_mov_b32 s19, s15
	s_delay_alu instid0(SALU_CYCLE_1)
	s_or_b64 s[14:15], s[14:15], s[18:19]
	s_sub_u32 s4, s4, s16
	s_subb_u32 s5, s5, s17
	s_cmp_eq_u64 s[14:15], 0
	s_mov_b32 s14, -1
	s_cbranch_scc0 .LBB211_5
; %bb.1:
	v_dual_mov_b32 v2, 0 :: v_dual_lshlrev_b32 v1, 2, v0
	s_mov_b32 s14, exec_lo
	s_delay_alu instid0(VALU_DEP_1)
	v_cmpx_gt_i64_e64 s[4:5], v[1:2]
	s_cbranch_execz .LBB211_4
; %bb.2:
	s_load_b32 s15, s[0:1], 0xc5c
	v_lshlrev_b32_e32 v4, 5, v0
	v_lshlrev_b32_e32 v3, 6, v0
	s_waitcnt lgkmcnt(0)
	s_and_b32 s16, s15, 0xffff
	s_delay_alu instid0(SALU_CYCLE_1)
	s_lshl_b32 s15, s16, 2
	s_add_u32 s17, s2, s10
	s_addc_u32 s11, s3, s11
	s_lshl_b64 s[2:3], s[8:9], 19
	s_lshl_b32 s10, s16, 6
	s_add_u32 s2, s6, s2
	s_addc_u32 s3, s7, s3
	v_add_co_u32 v5, s2, s2, v4
	s_delay_alu instid0(VALU_DEP_1) | instskip(SKIP_1) | instid1(VALU_DEP_3)
	v_add_co_ci_u32_e64 v6, null, s3, 0, s2
	v_add_co_u32 v3, s2, s17, v3
	v_add_co_u32 v5, vcc_lo, v5, 16
	v_add_lshl_u32 v1, v0, s16, 2
	v_add_co_ci_u32_e64 v4, null, s11, 0, s2
	v_add_co_ci_u32_e32 v6, vcc_lo, 0, v6, vcc_lo
	s_mov_b32 s11, 0
	s_lshl_b32 s16, s16, 5
.LBB211_3:                              ; =>This Inner Loop Header: Depth=1
	s_clause 0x3
	global_load_b64 v[7:8], v[3:4], off
	global_load_b64 v[9:10], v[3:4], off offset:16
	global_load_b64 v[11:12], v[3:4], off offset:32
	;; [unrolled: 1-line block ×3, first 2 shown]
	v_cmp_le_i64_e32 vcc_lo, s[4:5], v[1:2]
	v_cmp_lt_u64_e64 s2, 0xffff, v[1:2]
	v_add_co_u32 v1, s3, v1, s15
	s_delay_alu instid0(VALU_DEP_1) | instskip(SKIP_1) | instid1(VALU_DEP_4)
	v_add_co_ci_u32_e64 v2, s3, 0, v2, s3
	v_add_co_u32 v3, s3, v3, s10
	s_or_b32 s2, vcc_lo, s2
	v_add_co_ci_u32_e64 v4, s3, 0, v4, s3
	s_and_b32 s2, exec_lo, s2
	s_delay_alu instid0(SALU_CYCLE_1)
	s_or_b32 s11, s2, s11
	s_waitcnt vmcnt(3)
	v_trunc_f64_e32 v[7:8], v[7:8]
	s_waitcnt vmcnt(2)
	v_trunc_f64_e32 v[9:10], v[9:10]
	;; [unrolled: 2-line block ×4, first 2 shown]
	s_delay_alu instid0(VALU_DEP_4) | instskip(NEXT) | instid1(VALU_DEP_4)
	v_ldexp_f64 v[15:16], v[7:8], 0xffffffe0
	v_ldexp_f64 v[17:18], v[9:10], 0xffffffe0
	s_delay_alu instid0(VALU_DEP_4) | instskip(NEXT) | instid1(VALU_DEP_4)
	v_ldexp_f64 v[19:20], v[11:12], 0xffffffe0
	v_ldexp_f64 v[21:22], v[13:14], 0xffffffe0
	s_delay_alu instid0(VALU_DEP_4) | instskip(NEXT) | instid1(VALU_DEP_4)
	v_floor_f64_e32 v[15:16], v[15:16]
	v_floor_f64_e32 v[17:18], v[17:18]
	s_delay_alu instid0(VALU_DEP_4) | instskip(NEXT) | instid1(VALU_DEP_4)
	v_floor_f64_e32 v[19:20], v[19:20]
	v_floor_f64_e32 v[21:22], v[21:22]
	s_delay_alu instid0(VALU_DEP_4) | instskip(NEXT) | instid1(VALU_DEP_4)
	v_fma_f64 v[23:24], 0xc1f00000, v[15:16], v[7:8]
	v_fma_f64 v[25:26], 0xc1f00000, v[17:18], v[9:10]
	s_delay_alu instid0(VALU_DEP_4) | instskip(NEXT) | instid1(VALU_DEP_4)
	v_fma_f64 v[27:28], 0xc1f00000, v[19:20], v[11:12]
	v_fma_f64 v[29:30], 0xc1f00000, v[21:22], v[13:14]
	v_cvt_i32_f64_e32 v8, v[15:16]
	v_cvt_i32_f64_e32 v10, v[17:18]
	;; [unrolled: 1-line block ×4, first 2 shown]
	v_cvt_u32_f64_e32 v7, v[23:24]
	v_cvt_u32_f64_e32 v9, v[25:26]
	;; [unrolled: 1-line block ×4, first 2 shown]
	s_clause 0x1
	global_store_b128 v[5:6], v[7:10], off offset:-16
	global_store_b128 v[5:6], v[11:14], off
	v_add_co_u32 v5, vcc_lo, v5, s16
	v_add_co_ci_u32_e32 v6, vcc_lo, 0, v6, vcc_lo
	s_and_not1_b32 exec_lo, exec_lo, s11
	s_cbranch_execnz .LBB211_3
.LBB211_4:
	s_or_b32 exec_lo, exec_lo, s14
	s_mov_b32 s14, 0
.LBB211_5:
	s_delay_alu instid0(SALU_CYCLE_1)
	s_and_not1_b32 vcc_lo, exec_lo, s14
	s_cbranch_vccnz .LBB211_25
; %bb.6:
	v_cmp_lt_i64_e64 s2, s[4:5], 1
	s_delay_alu instid0(VALU_DEP_1)
	s_and_b32 vcc_lo, exec_lo, s2
	s_cbranch_vccnz .LBB211_25
; %bb.7:
	s_load_b32 s0, s[0:1], 0xc5c
	v_cmp_gt_u64_e64 s1, 0x10000, s[4:5]
	v_lshlrev_b32_e32 v5, 3, v0
	v_mov_b32_e32 v9, 0
	v_mov_b32_e32 v10, 0
	v_dual_mov_b32 v2, 0 :: v_dual_lshlrev_b32 v1, 4, v0
	s_delay_alu instid0(VALU_DEP_2)
	v_dual_mov_b32 v12, v10 :: v_dual_mov_b32 v11, v9
	v_dual_mov_b32 v14, v10 :: v_dual_mov_b32 v13, v9
	v_dual_mov_b32 v16, v10 :: v_dual_mov_b32 v15, v9
	s_waitcnt lgkmcnt(0)
	s_and_b32 s0, s0, 0xffff
	s_and_b32 s1, s1, exec_lo
	s_cselect_b32 s3, s5, 0
	s_cselect_b32 s2, s4, 0x10000
	s_lshl_b64 s[8:9], s[8:9], 19
	s_lshl_b32 s11, s0, 1
	s_lshl_b32 s1, s0, 2
	;; [unrolled: 1-line block ×3, first 2 shown]
	s_add_u32 s6, s6, s8
	s_addc_u32 s7, s7, s9
	v_add_co_u32 v5, s9, s6, v5
	s_delay_alu instid0(VALU_DEP_1) | instskip(SKIP_3) | instid1(VALU_DEP_2)
	v_add_co_ci_u32_e64 v6, null, s7, 0, s9
	v_add_co_u32 v26, s9, v0, s0
	s_mul_i32 s14, s0, 3
	v_mad_u64_u32 v[3:4], null, s0, 48, v[1:2]
	v_lshlrev_b32_e32 v7, 3, v26
	v_add_co_u32 v2, s8, s14, v0
	s_delay_alu instid0(VALU_DEP_1)
	v_add_co_ci_u32_e64 v25, null, 0, 0, s8
	s_lshl_b32 s8, s0, 5
	v_add_co_ci_u32_e64 v29, null, 0, 0, s9
	v_add_co_u32 v27, s14, s8, v1
	v_add_co_u32 v30, s9, s11, v0
	;; [unrolled: 1-line block ×3, first 2 shown]
	v_add_co_ci_u32_e64 v28, null, 0, 0, s14
	v_add_co_ci_u32_e64 v31, null, 0, 0, s9
	v_lshlrev_b32_e32 v32, 4, v26
	v_add_co_ci_u32_e64 v8, null, s7, 0, s6
	s_mul_i32 s9, s0, 24
	s_lshl_b32 s11, s0, 4
	s_mov_b64 s[6:7], 0
	s_branch .LBB211_9
.LBB211_8:                              ;   in Loop: Header=BB211_9 Depth=1
	s_or_b32 exec_lo, exec_lo, s0
	s_add_u32 s6, s6, s1
	s_addc_u32 s7, s7, 0
	v_add_co_u32 v5, vcc_lo, v5, s8
	v_cmp_ge_i64_e64 s0, s[6:7], s[4:5]
	v_cmp_lt_u64_e64 s14, 0xffff, s[6:7]
	v_add_co_ci_u32_e32 v6, vcc_lo, 0, v6, vcc_lo
	v_add_co_u32 v7, vcc_lo, v7, s8
	v_add_co_ci_u32_e32 v8, vcc_lo, 0, v8, vcc_lo
	s_delay_alu instid0(VALU_DEP_4)
	s_or_b32 s0, s0, s14
	s_add_u32 s12, s12, s10
	s_addc_u32 s13, s13, 0
	s_and_b32 vcc_lo, exec_lo, s0
	s_cbranch_vccnz .LBB211_25
.LBB211_9:                              ; =>This Inner Loop Header: Depth=1
	v_add_co_u32 v17, s0, v0, s6
	s_delay_alu instid0(VALU_DEP_1) | instskip(NEXT) | instid1(VALU_DEP_1)
	v_add_co_ci_u32_e64 v18, null, 0, s7, s0
	v_cmp_gt_i64_e32 vcc_lo, s[4:5], v[17:18]
	v_cmp_gt_u64_e64 s0, 0x10000, v[17:18]
	s_delay_alu instid0(VALU_DEP_1) | instskip(NEXT) | instid1(SALU_CYCLE_1)
	s_and_b32 s14, vcc_lo, s0
	s_and_saveexec_b32 s0, s14
	s_cbranch_execz .LBB211_11
; %bb.10:                               ;   in Loop: Header=BB211_9 Depth=1
	s_waitcnt vmcnt(0)
	v_add_co_u32 v15, s14, s12, v1
	s_delay_alu instid0(VALU_DEP_1)
	v_add_co_ci_u32_e64 v16, null, s13, 0, s14
	global_load_b64 v[15:16], v[15:16], off
.LBB211_11:                             ;   in Loop: Header=BB211_9 Depth=1
	s_or_b32 exec_lo, exec_lo, s0
	v_add_co_u32 v19, vcc_lo, v26, s6
	v_add_co_ci_u32_e32 v20, vcc_lo, s7, v29, vcc_lo
	s_delay_alu instid0(VALU_DEP_1) | instskip(SKIP_1) | instid1(VALU_DEP_1)
	v_cmp_gt_i64_e32 vcc_lo, s[4:5], v[19:20]
	v_cmp_gt_u64_e64 s0, 0x10000, v[19:20]
	s_and_b32 s14, vcc_lo, s0
	s_delay_alu instid0(SALU_CYCLE_1)
	s_and_saveexec_b32 s0, s14
	s_cbranch_execz .LBB211_13
; %bb.12:                               ;   in Loop: Header=BB211_9 Depth=1
	s_waitcnt vmcnt(0)
	v_add_co_u32 v13, s14, s12, v32
	s_delay_alu instid0(VALU_DEP_1)
	v_add_co_ci_u32_e64 v14, null, s13, 0, s14
	global_load_b64 v[13:14], v[13:14], off
.LBB211_13:                             ;   in Loop: Header=BB211_9 Depth=1
	s_or_b32 exec_lo, exec_lo, s0
	v_add_co_u32 v21, vcc_lo, v30, s6
	v_add_co_ci_u32_e32 v22, vcc_lo, s7, v31, vcc_lo
	s_delay_alu instid0(VALU_DEP_1) | instskip(SKIP_1) | instid1(VALU_DEP_1)
	v_cmp_gt_i64_e32 vcc_lo, s[4:5], v[21:22]
	v_cmp_gt_u64_e64 s0, 0x10000, v[21:22]
	s_and_b32 s14, vcc_lo, s0
	s_delay_alu instid0(SALU_CYCLE_1)
	s_and_saveexec_b32 s0, s14
	s_cbranch_execz .LBB211_15
; %bb.14:                               ;   in Loop: Header=BB211_9 Depth=1
	s_waitcnt vmcnt(0)
	v_add_co_u32 v11, vcc_lo, s12, v27
	v_add_co_ci_u32_e32 v12, vcc_lo, s13, v28, vcc_lo
	global_load_b64 v[11:12], v[11:12], off
.LBB211_15:                             ;   in Loop: Header=BB211_9 Depth=1
	s_or_b32 exec_lo, exec_lo, s0
	v_add_co_u32 v23, vcc_lo, v2, s6
	v_add_co_ci_u32_e32 v24, vcc_lo, s7, v25, vcc_lo
	s_delay_alu instid0(VALU_DEP_1) | instskip(SKIP_1) | instid1(VALU_DEP_1)
	v_cmp_gt_i64_e32 vcc_lo, s[4:5], v[23:24]
	v_cmp_gt_u64_e64 s0, 0x10000, v[23:24]
	s_and_b32 s14, vcc_lo, s0
	s_delay_alu instid0(SALU_CYCLE_1)
	s_and_saveexec_b32 s0, s14
	s_cbranch_execnz .LBB211_20
; %bb.16:                               ;   in Loop: Header=BB211_9 Depth=1
	s_or_b32 exec_lo, exec_lo, s0
	s_delay_alu instid0(SALU_CYCLE_1)
	s_mov_b32 s0, exec_lo
	v_cmpx_gt_u64_e64 s[2:3], v[17:18]
	s_cbranch_execnz .LBB211_21
.LBB211_17:                             ;   in Loop: Header=BB211_9 Depth=1
	s_or_b32 exec_lo, exec_lo, s0
	s_delay_alu instid0(SALU_CYCLE_1)
	s_mov_b32 s0, exec_lo
	v_cmpx_gt_u64_e64 s[2:3], v[19:20]
	s_cbranch_execnz .LBB211_22
.LBB211_18:                             ;   in Loop: Header=BB211_9 Depth=1
	s_or_b32 exec_lo, exec_lo, s0
	s_delay_alu instid0(SALU_CYCLE_1)
	s_mov_b32 s0, exec_lo
	v_cmpx_gt_u64_e64 s[2:3], v[21:22]
	s_cbranch_execnz .LBB211_23
.LBB211_19:                             ;   in Loop: Header=BB211_9 Depth=1
	s_or_b32 exec_lo, exec_lo, s0
	s_delay_alu instid0(SALU_CYCLE_1)
	s_mov_b32 s0, exec_lo
	v_cmpx_gt_u64_e64 s[2:3], v[23:24]
	s_cbranch_execz .LBB211_8
	s_branch .LBB211_24
.LBB211_20:                             ;   in Loop: Header=BB211_9 Depth=1
	s_waitcnt vmcnt(0)
	v_add_co_u32 v9, vcc_lo, s12, v3
	v_add_co_ci_u32_e32 v10, vcc_lo, s13, v4, vcc_lo
	global_load_b64 v[9:10], v[9:10], off
	s_or_b32 exec_lo, exec_lo, s0
	s_delay_alu instid0(SALU_CYCLE_1)
	s_mov_b32 s0, exec_lo
	v_cmpx_gt_u64_e64 s[2:3], v[17:18]
	s_cbranch_execz .LBB211_17
.LBB211_21:                             ;   in Loop: Header=BB211_9 Depth=1
	s_waitcnt vmcnt(0)
	v_trunc_f64_e32 v[17:18], v[15:16]
	s_delay_alu instid0(VALU_DEP_1) | instskip(NEXT) | instid1(VALU_DEP_1)
	v_ldexp_f64 v[33:34], v[17:18], 0xffffffe0
	v_floor_f64_e32 v[33:34], v[33:34]
	s_delay_alu instid0(VALU_DEP_1) | instskip(SKIP_1) | instid1(VALU_DEP_2)
	v_fma_f64 v[17:18], 0xc1f00000, v[33:34], v[17:18]
	v_cvt_i32_f64_e32 v34, v[33:34]
	v_cvt_u32_f64_e32 v33, v[17:18]
	global_store_b64 v[5:6], v[33:34], off
	s_or_b32 exec_lo, exec_lo, s0
	s_delay_alu instid0(SALU_CYCLE_1)
	s_mov_b32 s0, exec_lo
	v_cmpx_gt_u64_e64 s[2:3], v[19:20]
	s_cbranch_execz .LBB211_18
.LBB211_22:                             ;   in Loop: Header=BB211_9 Depth=1
	s_waitcnt vmcnt(0)
	v_trunc_f64_e32 v[17:18], v[13:14]
	s_delay_alu instid0(VALU_DEP_1) | instskip(NEXT) | instid1(VALU_DEP_1)
	v_ldexp_f64 v[19:20], v[17:18], 0xffffffe0
	v_floor_f64_e32 v[19:20], v[19:20]
	s_delay_alu instid0(VALU_DEP_1) | instskip(SKIP_1) | instid1(VALU_DEP_2)
	v_fma_f64 v[17:18], 0xc1f00000, v[19:20], v[17:18]
	v_cvt_i32_f64_e32 v19, v[19:20]
	v_cvt_u32_f64_e32 v18, v[17:18]
	global_store_b64 v[7:8], v[18:19], off
	s_or_b32 exec_lo, exec_lo, s0
	s_delay_alu instid0(SALU_CYCLE_1)
	s_mov_b32 s0, exec_lo
	v_cmpx_gt_u64_e64 s[2:3], v[21:22]
	s_cbranch_execz .LBB211_19
.LBB211_23:                             ;   in Loop: Header=BB211_9 Depth=1
	s_waitcnt vmcnt(0)
	v_trunc_f64_e32 v[17:18], v[11:12]
	s_delay_alu instid0(VALU_DEP_1) | instskip(NEXT) | instid1(VALU_DEP_1)
	v_ldexp_f64 v[19:20], v[17:18], 0xffffffe0
	v_floor_f64_e32 v[19:20], v[19:20]
	s_delay_alu instid0(VALU_DEP_1) | instskip(SKIP_3) | instid1(VALU_DEP_4)
	v_fma_f64 v[17:18], 0xc1f00000, v[19:20], v[17:18]
	v_cvt_i32_f64_e32 v19, v[19:20]
	v_add_co_u32 v20, vcc_lo, v5, s11
	v_add_co_ci_u32_e32 v21, vcc_lo, 0, v6, vcc_lo
	v_cvt_u32_f64_e32 v18, v[17:18]
	global_store_b64 v[20:21], v[18:19], off
	s_or_b32 exec_lo, exec_lo, s0
	s_delay_alu instid0(SALU_CYCLE_1)
	s_mov_b32 s0, exec_lo
	v_cmpx_gt_u64_e64 s[2:3], v[23:24]
	s_cbranch_execz .LBB211_8
.LBB211_24:                             ;   in Loop: Header=BB211_9 Depth=1
	s_waitcnt vmcnt(0)
	v_trunc_f64_e32 v[17:18], v[9:10]
	s_delay_alu instid0(VALU_DEP_1) | instskip(NEXT) | instid1(VALU_DEP_1)
	v_ldexp_f64 v[19:20], v[17:18], 0xffffffe0
	v_floor_f64_e32 v[19:20], v[19:20]
	s_delay_alu instid0(VALU_DEP_1) | instskip(SKIP_3) | instid1(VALU_DEP_4)
	v_fma_f64 v[17:18], 0xc1f00000, v[19:20], v[17:18]
	v_cvt_i32_f64_e32 v19, v[19:20]
	v_add_co_u32 v20, vcc_lo, v5, s9
	v_add_co_ci_u32_e32 v21, vcc_lo, 0, v6, vcc_lo
	v_cvt_u32_f64_e32 v18, v[17:18]
	global_store_b64 v[20:21], v[18:19], off
	s_branch .LBB211_8
.LBB211_25:
	s_nop 0
	s_sendmsg sendmsg(MSG_DEALLOC_VGPRS)
	s_endpgm
	.section	.rodata,"a",@progbits
	.p2align	6, 0x0
	.amdhsa_kernel _ZN2at6native12_GLOBAL__N_125multi_tensor_apply_kernelINS1_18TensorListMetadataILi2EEENS1_11CopyFunctorIlN3c107complexIdEELi2ELi1ELi1EEEJNS0_4CopyIlS8_EEEEEvT_T0_DpT1_
		.amdhsa_group_segment_fixed_size 0
		.amdhsa_private_segment_fixed_size 0
		.amdhsa_kernarg_size 3408
		.amdhsa_user_sgpr_count 15
		.amdhsa_user_sgpr_dispatch_ptr 0
		.amdhsa_user_sgpr_queue_ptr 0
		.amdhsa_user_sgpr_kernarg_segment_ptr 1
		.amdhsa_user_sgpr_dispatch_id 0
		.amdhsa_user_sgpr_private_segment_size 0
		.amdhsa_wavefront_size32 1
		.amdhsa_uses_dynamic_stack 0
		.amdhsa_enable_private_segment 0
		.amdhsa_system_sgpr_workgroup_id_x 1
		.amdhsa_system_sgpr_workgroup_id_y 0
		.amdhsa_system_sgpr_workgroup_id_z 0
		.amdhsa_system_sgpr_workgroup_info 0
		.amdhsa_system_vgpr_workitem_id 0
		.amdhsa_next_free_vgpr 35
		.amdhsa_next_free_sgpr 20
		.amdhsa_reserve_vcc 1
		.amdhsa_float_round_mode_32 0
		.amdhsa_float_round_mode_16_64 0
		.amdhsa_float_denorm_mode_32 3
		.amdhsa_float_denorm_mode_16_64 3
		.amdhsa_dx10_clamp 1
		.amdhsa_ieee_mode 1
		.amdhsa_fp16_overflow 0
		.amdhsa_workgroup_processor_mode 1
		.amdhsa_memory_ordered 1
		.amdhsa_forward_progress 0
		.amdhsa_shared_vgpr_count 0
		.amdhsa_exception_fp_ieee_invalid_op 0
		.amdhsa_exception_fp_denorm_src 0
		.amdhsa_exception_fp_ieee_div_zero 0
		.amdhsa_exception_fp_ieee_overflow 0
		.amdhsa_exception_fp_ieee_underflow 0
		.amdhsa_exception_fp_ieee_inexact 0
		.amdhsa_exception_int_div_zero 0
	.end_amdhsa_kernel
	.section	.text._ZN2at6native12_GLOBAL__N_125multi_tensor_apply_kernelINS1_18TensorListMetadataILi2EEENS1_11CopyFunctorIlN3c107complexIdEELi2ELi1ELi1EEEJNS0_4CopyIlS8_EEEEEvT_T0_DpT1_,"axG",@progbits,_ZN2at6native12_GLOBAL__N_125multi_tensor_apply_kernelINS1_18TensorListMetadataILi2EEENS1_11CopyFunctorIlN3c107complexIdEELi2ELi1ELi1EEEJNS0_4CopyIlS8_EEEEEvT_T0_DpT1_,comdat
.Lfunc_end211:
	.size	_ZN2at6native12_GLOBAL__N_125multi_tensor_apply_kernelINS1_18TensorListMetadataILi2EEENS1_11CopyFunctorIlN3c107complexIdEELi2ELi1ELi1EEEJNS0_4CopyIlS8_EEEEEvT_T0_DpT1_, .Lfunc_end211-_ZN2at6native12_GLOBAL__N_125multi_tensor_apply_kernelINS1_18TensorListMetadataILi2EEENS1_11CopyFunctorIlN3c107complexIdEELi2ELi1ELi1EEEJNS0_4CopyIlS8_EEEEEvT_T0_DpT1_
                                        ; -- End function
	.section	.AMDGPU.csdata,"",@progbits
; Kernel info:
; codeLenInByte = 1844
; NumSgprs: 22
; NumVgprs: 35
; ScratchSize: 0
; MemoryBound: 0
; FloatMode: 240
; IeeeMode: 1
; LDSByteSize: 0 bytes/workgroup (compile time only)
; SGPRBlocks: 2
; VGPRBlocks: 4
; NumSGPRsForWavesPerEU: 22
; NumVGPRsForWavesPerEU: 35
; Occupancy: 16
; WaveLimiterHint : 0
; COMPUTE_PGM_RSRC2:SCRATCH_EN: 0
; COMPUTE_PGM_RSRC2:USER_SGPR: 15
; COMPUTE_PGM_RSRC2:TRAP_HANDLER: 0
; COMPUTE_PGM_RSRC2:TGID_X_EN: 1
; COMPUTE_PGM_RSRC2:TGID_Y_EN: 0
; COMPUTE_PGM_RSRC2:TGID_Z_EN: 0
; COMPUTE_PGM_RSRC2:TIDIG_COMP_CNT: 0
	.section	.text._ZN2at6native12_GLOBAL__N_125multi_tensor_apply_kernelINS1_18TensorListMetadataILi2EEENS1_11CopyFunctorIlN3c107complexIfEELi2ELi1ELi1EEEJNS0_4CopyIlS8_EEEEEvT_T0_DpT1_,"axG",@progbits,_ZN2at6native12_GLOBAL__N_125multi_tensor_apply_kernelINS1_18TensorListMetadataILi2EEENS1_11CopyFunctorIlN3c107complexIfEELi2ELi1ELi1EEEJNS0_4CopyIlS8_EEEEEvT_T0_DpT1_,comdat
	.globl	_ZN2at6native12_GLOBAL__N_125multi_tensor_apply_kernelINS1_18TensorListMetadataILi2EEENS1_11CopyFunctorIlN3c107complexIfEELi2ELi1ELi1EEEJNS0_4CopyIlS8_EEEEEvT_T0_DpT1_ ; -- Begin function _ZN2at6native12_GLOBAL__N_125multi_tensor_apply_kernelINS1_18TensorListMetadataILi2EEENS1_11CopyFunctorIlN3c107complexIfEELi2ELi1ELi1EEEJNS0_4CopyIlS8_EEEEEvT_T0_DpT1_
	.p2align	8
	.type	_ZN2at6native12_GLOBAL__N_125multi_tensor_apply_kernelINS1_18TensorListMetadataILi2EEENS1_11CopyFunctorIlN3c107complexIfEELi2ELi1ELi1EEEJNS0_4CopyIlS8_EEEEEvT_T0_DpT1_,@function
_ZN2at6native12_GLOBAL__N_125multi_tensor_apply_kernelINS1_18TensorListMetadataILi2EEENS1_11CopyFunctorIlN3c107complexIfEELi2ELi1ELi1EEEJNS0_4CopyIlS8_EEEEEvT_T0_DpT1_: ; @_ZN2at6native12_GLOBAL__N_125multi_tensor_apply_kernelINS1_18TensorListMetadataILi2EEENS1_11CopyFunctorIlN3c107complexIfEELi2ELi1ELi1EEEJNS0_4CopyIlS8_EEEEEvT_T0_DpT1_
; %bb.0:
	v_mov_b32_e32 v1, s15
	s_add_u32 s2, s0, s15
	s_mul_hi_u32 s3, s15, 3
	s_mul_i32 s15, s15, 3
	s_addc_u32 s4, s1, 0
	global_load_u8 v1, v1, s[0:1] offset:1536
	s_add_u32 s2, s2, s15
	s_addc_u32 s3, s4, s3
	s_mov_b32 s17, 0
	s_load_b32 s2, s[2:3], 0x740
	s_mov_b32 s19, s17
	s_mov_b32 s21, s17
	s_waitcnt vmcnt(0)
	v_readfirstlane_b32 s5, v1
	s_delay_alu instid0(VALU_DEP_1)
	s_lshl_b32 s3, s5, 3
	s_clause 0x2
	s_load_b64 s[10:11], s[0:1], s3 offset:0x0
	s_load_b64 s[12:13], s[0:1], s3 offset:0x200
	;; [unrolled: 1-line block ×3, first 2 shown]
	s_waitcnt lgkmcnt(0)
	s_ashr_i32 s3, s2, 31
	s_delay_alu instid0(SALU_CYCLE_1)
	s_lshl_b64 s[4:5], s[2:3], 19
	s_lshl_b64 s[2:3], s[2:3], 16
	s_add_u32 s8, s10, s4
	s_addc_u32 s9, s11, s5
	s_add_u32 s14, s12, s4
	s_addc_u32 s15, s13, s5
	s_and_b32 s20, s6, 3
	s_and_b32 s18, s14, 31
	;; [unrolled: 1-line block ×3, first 2 shown]
	s_or_b64 s[18:19], s[18:19], s[20:21]
	s_delay_alu instid0(SALU_CYCLE_1)
	s_or_b64 s[16:17], s[16:17], s[18:19]
	s_sub_u32 s6, s6, s2
	s_subb_u32 s7, s7, s3
	s_cmp_eq_u64 s[16:17], 0
	s_mov_b32 s2, -1
	s_cbranch_scc0 .LBB212_5
; %bb.1:
	v_dual_mov_b32 v2, 0 :: v_dual_lshlrev_b32 v1, 2, v0
	s_mov_b32 s16, exec_lo
	s_delay_alu instid0(VALU_DEP_1)
	v_cmpx_gt_i64_e64 s[6:7], v[1:2]
	s_cbranch_execz .LBB212_4
; %bb.2:
	s_load_b32 s2, s[0:1], 0xc5c
	v_lshlrev_b32_e32 v3, 5, v0
	s_mov_b32 s17, 0
	s_waitcnt lgkmcnt(0)
	s_and_b32 s2, s2, 0xffff
	s_delay_alu instid0(SALU_CYCLE_1)
	v_add_lshl_u32 v1, v0, s2, 2
	s_lshl_b32 s18, s2, 2
	s_lshl_b32 s19, s2, 5
.LBB212_3:                              ; =>This Inner Loop Header: Depth=1
	v_add_co_u32 v4, s2, s8, v3
	s_delay_alu instid0(VALU_DEP_1)
	v_add_co_ci_u32_e64 v5, null, s9, 0, s2
	v_cmp_le_i64_e32 vcc_lo, s[6:7], v[1:2]
	v_cmp_lt_u64_e64 s2, 0xffff, v[1:2]
	v_add_co_u32 v12, s3, s14, v3
	s_clause 0x3
	global_load_b32 v6, v[4:5], off
	global_load_b32 v7, v[4:5], off offset:8
	global_load_b32 v8, v[4:5], off offset:16
	;; [unrolled: 1-line block ×3, first 2 shown]
	v_add_co_ci_u32_e64 v13, null, s15, 0, s3
	s_or_b32 s2, vcc_lo, s2
	s_add_u32 s8, s8, s19
	v_add_co_u32 v1, s3, v1, s18
	s_addc_u32 s9, s9, 0
	s_add_u32 s14, s14, s19
	v_add_co_ci_u32_e64 v2, s3, 0, v2, s3
	s_addc_u32 s15, s15, 0
	s_and_b32 s2, exec_lo, s2
	s_delay_alu instid0(SALU_CYCLE_1)
	s_or_b32 s17, s2, s17
	s_waitcnt vmcnt(3)
	v_trunc_f32_e32 v5, v6
	s_waitcnt vmcnt(2)
	v_trunc_f32_e32 v6, v7
	;; [unrolled: 2-line block ×4, first 2 shown]
	v_mul_f32_e64 v8, 0x2f800000, |v5|
	v_mul_f32_e64 v10, 0x2f800000, |v6|
	;; [unrolled: 1-line block ×3, first 2 shown]
	s_delay_alu instid0(VALU_DEP_4)
	v_mul_f32_e64 v16, 0x2f800000, |v4|
	v_ashrrev_i32_e32 v9, 31, v5
	v_floor_f32_e32 v8, v8
	v_floor_f32_e32 v10, v10
	;; [unrolled: 1-line block ×4, first 2 shown]
	v_ashrrev_i32_e32 v11, 31, v6
	v_fma_f32 v5, 0xcf800000, v8, |v5|
	v_fma_f32 v6, 0xcf800000, v10, |v6|
	v_ashrrev_i32_e32 v17, 31, v4
	v_fma_f32 v4, 0xcf800000, v16, |v4|
	v_ashrrev_i32_e32 v15, 31, v7
	v_cvt_u32_f32_e32 v5, v5
	v_fma_f32 v7, 0xcf800000, v14, |v7|
	v_cvt_u32_f32_e32 v8, v8
	v_cvt_u32_f32_e32 v6, v6
	;; [unrolled: 1-line block ×4, first 2 shown]
	v_xor_b32_e32 v5, v5, v9
	v_cvt_u32_f32_e32 v7, v7
	v_xor_b32_e32 v8, v8, v9
	v_cvt_u32_f32_e32 v14, v14
	v_xor_b32_e32 v6, v6, v11
	v_xor_b32_e32 v10, v10, v11
	;; [unrolled: 1-line block ×3, first 2 shown]
	v_sub_co_u32 v4, vcc_lo, v5, v9
	v_cvt_u32_f32_e32 v16, v16
	v_xor_b32_e32 v18, v7, v15
	v_sub_co_ci_u32_e32 v5, vcc_lo, v8, v9, vcc_lo
	v_xor_b32_e32 v14, v14, v15
	v_sub_co_u32 v6, vcc_lo, v6, v11
	v_sub_co_ci_u32_e32 v7, vcc_lo, v10, v11, vcc_lo
	v_xor_b32_e32 v16, v16, v17
	v_sub_co_u32 v8, vcc_lo, v18, v15
	v_sub_co_ci_u32_e32 v9, vcc_lo, v14, v15, vcc_lo
	v_sub_co_u32 v10, vcc_lo, v19, v17
	s_delay_alu instid0(VALU_DEP_4)
	v_sub_co_ci_u32_e32 v11, vcc_lo, v16, v17, vcc_lo
	s_clause 0x1
	global_store_b128 v[12:13], v[4:7], off
	global_store_b128 v[12:13], v[8:11], off offset:16
	s_and_not1_b32 exec_lo, exec_lo, s17
	s_cbranch_execnz .LBB212_3
.LBB212_4:
	s_or_b32 exec_lo, exec_lo, s16
	s_mov_b32 s2, 0
.LBB212_5:
	s_delay_alu instid0(SALU_CYCLE_1)
	s_and_not1_b32 vcc_lo, exec_lo, s2
	s_cbranch_vccnz .LBB212_25
; %bb.6:
	v_cmp_lt_i64_e64 s2, s[6:7], 1
	s_delay_alu instid0(VALU_DEP_1)
	s_and_b32 vcc_lo, exec_lo, s2
	s_cbranch_vccnz .LBB212_25
; %bb.7:
	s_load_b32 s0, s[0:1], 0xc5c
	v_dual_mov_b32 v1, 0 :: v_dual_lshlrev_b32 v2, 3, v0
	v_cmp_gt_u64_e64 s2, 0x10000, s[6:7]
	s_mov_b32 s3, 0
	s_delay_alu instid0(VALU_DEP_2) | instskip(NEXT) | instid1(VALU_DEP_3)
	v_mov_b32_e32 v3, v1
	v_add_co_u32 v8, s1, s10, v2
	s_delay_alu instid0(VALU_DEP_1) | instskip(SKIP_1) | instid1(VALU_DEP_1)
	v_add_co_ci_u32_e64 v9, null, s11, 0, s1
	v_add_co_u32 v10, s1, s12, v2
	v_add_co_ci_u32_e64 v11, null, s13, 0, s1
	v_mov_b32_e32 v24, v1
	v_mov_b32_e32 v25, v1
	v_mov_b32_e32 v26, v1
	v_mov_b32_e32 v27, v1
	s_waitcnt lgkmcnt(0)
	s_and_b32 s1, s0, 0xffff
	s_and_b32 s0, s2, exec_lo
	v_mad_u64_u32 v[4:5], null, s1, 24, v[2:3]
	s_cselect_b32 s9, s7, 0
	s_cselect_b32 s8, s6, 0x10000
	s_lshl_b32 s0, s1, 4
	s_lshl_b32 s2, s1, 2
	v_add_co_u32 v2, s0, s0, v2
	s_delay_alu instid0(VALU_DEP_2) | instskip(NEXT) | instid1(VALU_DEP_3)
	v_add_co_u32 v12, vcc_lo, s10, v4
	v_add_co_ci_u32_e32 v13, vcc_lo, s11, v5, vcc_lo
	v_add_co_u32 v14, vcc_lo, s12, v4
	v_add_lshl_u32 v4, v0, s1, 3
	v_add_co_ci_u32_e64 v3, null, 0, 0, s0
	v_add_co_ci_u32_e32 v15, vcc_lo, s13, v5, vcc_lo
	v_add_co_u32 v16, vcc_lo, s10, v2
	s_delay_alu instid0(VALU_DEP_4) | instskip(NEXT) | instid1(VALU_DEP_4)
	v_add_co_u32 v20, s0, s10, v4
	v_add_co_ci_u32_e32 v17, vcc_lo, s11, v3, vcc_lo
	v_add_co_u32 v18, vcc_lo, s12, v2
	v_add_co_ci_u32_e64 v21, null, s11, 0, s0
	v_add_co_u32 v22, s0, s12, v4
	v_add_co_ci_u32_e32 v19, vcc_lo, s13, v3, vcc_lo
	v_add_co_ci_u32_e64 v23, null, s13, 0, s0
	s_lshl_b32 s14, s1, 1
	s_mul_i32 s15, s1, 3
	s_lshl_b32 s12, s1, 5
	s_mov_b64 s[10:11], s[2:3]
	s_branch .LBB212_9
.LBB212_8:                              ;   in Loop: Header=BB212_9 Depth=1
	s_or_b32 exec_lo, exec_lo, s0
	v_add_co_u32 v8, vcc_lo, v8, s12
	v_add_co_ci_u32_e32 v9, vcc_lo, 0, v9, vcc_lo
	v_add_co_u32 v10, vcc_lo, v10, s12
	v_add_co_ci_u32_e32 v11, vcc_lo, 0, v11, vcc_lo
	v_add_co_u32 v0, vcc_lo, v0, s2
	v_add_co_ci_u32_e32 v1, vcc_lo, 0, v1, vcc_lo
	v_add_co_u32 v12, vcc_lo, v12, s12
	v_add_co_ci_u32_e32 v13, vcc_lo, 0, v13, vcc_lo
	v_add_co_u32 v14, vcc_lo, v14, s12
	v_add_co_ci_u32_e32 v15, vcc_lo, 0, v15, vcc_lo
	v_add_co_u32 v16, vcc_lo, v16, s12
	v_add_co_ci_u32_e32 v17, vcc_lo, 0, v17, vcc_lo
	v_add_co_u32 v18, vcc_lo, v18, s12
	v_add_co_ci_u32_e32 v19, vcc_lo, 0, v19, vcc_lo
	v_cmp_ge_i64_e64 s0, s[10:11], s[6:7]
	v_cmp_lt_u64_e64 s3, 0xffff, s[10:11]
	v_add_co_u32 v20, vcc_lo, v20, s12
	v_add_co_ci_u32_e32 v21, vcc_lo, 0, v21, vcc_lo
	v_add_co_u32 v22, vcc_lo, v22, s12
	v_add_co_ci_u32_e32 v23, vcc_lo, 0, v23, vcc_lo
	s_or_b32 s0, s0, s3
	s_add_u32 s10, s10, s2
	s_addc_u32 s11, s11, 0
	s_and_b32 vcc_lo, exec_lo, s0
	s_cbranch_vccnz .LBB212_25
.LBB212_9:                              ; =>This Inner Loop Header: Depth=1
	v_cmp_gt_i64_e32 vcc_lo, s[6:7], v[0:1]
	v_cmp_gt_u64_e64 s0, 0x10000, v[0:1]
	s_delay_alu instid0(VALU_DEP_1) | instskip(NEXT) | instid1(SALU_CYCLE_1)
	s_and_b32 s3, vcc_lo, s0
	s_and_saveexec_b32 s0, s3
	s_cbranch_execz .LBB212_11
; %bb.10:                               ;   in Loop: Header=BB212_9 Depth=1
	v_add_co_u32 v2, vcc_lo, v8, s4
	v_add_co_ci_u32_e32 v3, vcc_lo, s5, v9, vcc_lo
	global_load_b32 v27, v[2:3], off
.LBB212_11:                             ;   in Loop: Header=BB212_9 Depth=1
	s_or_b32 exec_lo, exec_lo, s0
	v_add_co_u32 v6, vcc_lo, s1, v0
	v_add_co_ci_u32_e32 v7, vcc_lo, 0, v1, vcc_lo
	s_delay_alu instid0(VALU_DEP_1) | instskip(SKIP_1) | instid1(VALU_DEP_1)
	v_cmp_gt_i64_e32 vcc_lo, s[6:7], v[6:7]
	v_cmp_gt_u64_e64 s0, 0x10000, v[6:7]
	s_and_b32 s3, vcc_lo, s0
	s_delay_alu instid0(SALU_CYCLE_1)
	s_and_saveexec_b32 s0, s3
	s_cbranch_execz .LBB212_13
; %bb.12:                               ;   in Loop: Header=BB212_9 Depth=1
	v_add_co_u32 v2, vcc_lo, v20, s4
	v_add_co_ci_u32_e32 v3, vcc_lo, s5, v21, vcc_lo
	global_load_b32 v26, v[2:3], off
.LBB212_13:                             ;   in Loop: Header=BB212_9 Depth=1
	s_or_b32 exec_lo, exec_lo, s0
	v_add_co_u32 v4, vcc_lo, s14, v0
	v_add_co_ci_u32_e32 v5, vcc_lo, 0, v1, vcc_lo
	s_delay_alu instid0(VALU_DEP_1) | instskip(SKIP_1) | instid1(VALU_DEP_1)
	v_cmp_gt_i64_e32 vcc_lo, s[6:7], v[4:5]
	v_cmp_gt_u64_e64 s0, 0x10000, v[4:5]
	s_and_b32 s3, vcc_lo, s0
	s_delay_alu instid0(SALU_CYCLE_1)
	;; [unrolled: 15-line block ×3, first 2 shown]
	s_and_saveexec_b32 s0, s3
	s_cbranch_execnz .LBB212_20
; %bb.16:                               ;   in Loop: Header=BB212_9 Depth=1
	s_or_b32 exec_lo, exec_lo, s0
	s_delay_alu instid0(SALU_CYCLE_1)
	s_mov_b32 s0, exec_lo
	v_cmpx_gt_u64_e64 s[8:9], v[0:1]
	s_cbranch_execnz .LBB212_21
.LBB212_17:                             ;   in Loop: Header=BB212_9 Depth=1
	s_or_b32 exec_lo, exec_lo, s0
	s_delay_alu instid0(SALU_CYCLE_1)
	s_mov_b32 s0, exec_lo
	v_cmpx_gt_u64_e64 s[8:9], v[6:7]
	s_cbranch_execnz .LBB212_22
.LBB212_18:                             ;   in Loop: Header=BB212_9 Depth=1
	s_or_b32 exec_lo, exec_lo, s0
	s_delay_alu instid0(SALU_CYCLE_1)
	s_mov_b32 s0, exec_lo
	v_cmpx_gt_u64_e64 s[8:9], v[4:5]
	s_cbranch_execnz .LBB212_23
.LBB212_19:                             ;   in Loop: Header=BB212_9 Depth=1
	s_or_b32 exec_lo, exec_lo, s0
	s_delay_alu instid0(SALU_CYCLE_1)
	s_mov_b32 s0, exec_lo
	v_cmpx_gt_u64_e64 s[8:9], v[2:3]
	s_cbranch_execz .LBB212_8
	s_branch .LBB212_24
.LBB212_20:                             ;   in Loop: Header=BB212_9 Depth=1
	v_add_co_u32 v28, vcc_lo, v12, s4
	v_add_co_ci_u32_e32 v29, vcc_lo, s5, v13, vcc_lo
	global_load_b32 v24, v[28:29], off
	s_or_b32 exec_lo, exec_lo, s0
	s_delay_alu instid0(SALU_CYCLE_1)
	s_mov_b32 s0, exec_lo
	v_cmpx_gt_u64_e64 s[8:9], v[0:1]
	s_cbranch_execz .LBB212_17
.LBB212_21:                             ;   in Loop: Header=BB212_9 Depth=1
	s_waitcnt vmcnt(0)
	v_trunc_f32_e32 v28, v27
	s_delay_alu instid0(VALU_DEP_1) | instskip(SKIP_1) | instid1(VALU_DEP_2)
	v_mul_f32_e64 v29, 0x2f800000, |v28|
	v_ashrrev_i32_e32 v31, 31, v28
	v_floor_f32_e32 v29, v29
	s_delay_alu instid0(VALU_DEP_1) | instskip(SKIP_1) | instid1(VALU_DEP_2)
	v_fma_f32 v30, 0xcf800000, v29, |v28|
	v_cvt_u32_f32_e32 v28, v29
	v_cvt_u32_f32_e32 v29, v30
	s_delay_alu instid0(VALU_DEP_2) | instskip(SKIP_1) | instid1(VALU_DEP_3)
	v_xor_b32_e32 v32, v28, v31
	v_add_co_u32 v28, vcc_lo, v10, s4
	v_xor_b32_e32 v30, v29, v31
	v_add_co_ci_u32_e32 v29, vcc_lo, s5, v11, vcc_lo
	s_delay_alu instid0(VALU_DEP_2) | instskip(SKIP_3) | instid1(SALU_CYCLE_1)
	v_sub_co_u32 v30, vcc_lo, v30, v31
	v_sub_co_ci_u32_e32 v31, vcc_lo, v32, v31, vcc_lo
	global_store_b64 v[28:29], v[30:31], off
	s_or_b32 exec_lo, exec_lo, s0
	s_mov_b32 s0, exec_lo
	v_cmpx_gt_u64_e64 s[8:9], v[6:7]
	s_cbranch_execz .LBB212_18
.LBB212_22:                             ;   in Loop: Header=BB212_9 Depth=1
	s_waitcnt vmcnt(0)
	v_trunc_f32_e32 v6, v26
	s_delay_alu instid0(VALU_DEP_1) | instskip(SKIP_1) | instid1(VALU_DEP_2)
	v_mul_f32_e64 v7, 0x2f800000, |v6|
	v_ashrrev_i32_e32 v29, 31, v6
	v_floor_f32_e32 v7, v7
	s_delay_alu instid0(VALU_DEP_1) | instskip(SKIP_1) | instid1(VALU_DEP_2)
	v_fma_f32 v28, 0xcf800000, v7, |v6|
	v_cvt_u32_f32_e32 v7, v7
	v_cvt_u32_f32_e32 v6, v28
	s_delay_alu instid0(VALU_DEP_2) | instskip(NEXT) | instid1(VALU_DEP_2)
	v_xor_b32_e32 v7, v7, v29
	v_xor_b32_e32 v6, v6, v29
	s_delay_alu instid0(VALU_DEP_1) | instskip(NEXT) | instid1(VALU_DEP_3)
	v_sub_co_u32 v6, vcc_lo, v6, v29
	v_sub_co_ci_u32_e32 v7, vcc_lo, v7, v29, vcc_lo
	v_add_co_u32 v28, vcc_lo, v22, s4
	v_add_co_ci_u32_e32 v29, vcc_lo, s5, v23, vcc_lo
	global_store_b64 v[28:29], v[6:7], off
	s_or_b32 exec_lo, exec_lo, s0
	s_delay_alu instid0(SALU_CYCLE_1)
	s_mov_b32 s0, exec_lo
	v_cmpx_gt_u64_e64 s[8:9], v[4:5]
	s_cbranch_execz .LBB212_19
.LBB212_23:                             ;   in Loop: Header=BB212_9 Depth=1
	s_waitcnt vmcnt(0)
	v_trunc_f32_e32 v4, v25
	s_delay_alu instid0(VALU_DEP_1) | instskip(SKIP_1) | instid1(VALU_DEP_2)
	v_mul_f32_e64 v5, 0x2f800000, |v4|
	v_ashrrev_i32_e32 v7, 31, v4
	v_floor_f32_e32 v5, v5
	s_delay_alu instid0(VALU_DEP_1) | instskip(SKIP_1) | instid1(VALU_DEP_2)
	v_fma_f32 v6, 0xcf800000, v5, |v4|
	v_cvt_u32_f32_e32 v5, v5
	v_cvt_u32_f32_e32 v4, v6
	s_delay_alu instid0(VALU_DEP_2) | instskip(NEXT) | instid1(VALU_DEP_2)
	v_xor_b32_e32 v5, v5, v7
	v_xor_b32_e32 v4, v4, v7
	s_delay_alu instid0(VALU_DEP_1) | instskip(NEXT) | instid1(VALU_DEP_3)
	v_sub_co_u32 v4, vcc_lo, v4, v7
	v_sub_co_ci_u32_e32 v5, vcc_lo, v5, v7, vcc_lo
	v_add_co_u32 v6, vcc_lo, v18, s4
	v_add_co_ci_u32_e32 v7, vcc_lo, s5, v19, vcc_lo
	global_store_b64 v[6:7], v[4:5], off
	s_or_b32 exec_lo, exec_lo, s0
	s_delay_alu instid0(SALU_CYCLE_1)
	s_mov_b32 s0, exec_lo
	v_cmpx_gt_u64_e64 s[8:9], v[2:3]
	s_cbranch_execz .LBB212_8
.LBB212_24:                             ;   in Loop: Header=BB212_9 Depth=1
	s_waitcnt vmcnt(0)
	v_trunc_f32_e32 v2, v24
	s_delay_alu instid0(VALU_DEP_1) | instskip(SKIP_1) | instid1(VALU_DEP_2)
	v_mul_f32_e64 v3, 0x2f800000, |v2|
	v_ashrrev_i32_e32 v5, 31, v2
	v_floor_f32_e32 v3, v3
	s_delay_alu instid0(VALU_DEP_1) | instskip(SKIP_1) | instid1(VALU_DEP_2)
	v_fma_f32 v4, 0xcf800000, v3, |v2|
	v_cvt_u32_f32_e32 v3, v3
	v_cvt_u32_f32_e32 v2, v4
	s_delay_alu instid0(VALU_DEP_2) | instskip(NEXT) | instid1(VALU_DEP_2)
	v_xor_b32_e32 v3, v3, v5
	v_xor_b32_e32 v2, v2, v5
	s_delay_alu instid0(VALU_DEP_1) | instskip(NEXT) | instid1(VALU_DEP_3)
	v_sub_co_u32 v2, vcc_lo, v2, v5
	v_sub_co_ci_u32_e32 v3, vcc_lo, v3, v5, vcc_lo
	v_add_co_u32 v4, vcc_lo, v14, s4
	v_add_co_ci_u32_e32 v5, vcc_lo, s5, v15, vcc_lo
	global_store_b64 v[4:5], v[2:3], off
	s_branch .LBB212_8
.LBB212_25:
	s_nop 0
	s_sendmsg sendmsg(MSG_DEALLOC_VGPRS)
	s_endpgm
	.section	.rodata,"a",@progbits
	.p2align	6, 0x0
	.amdhsa_kernel _ZN2at6native12_GLOBAL__N_125multi_tensor_apply_kernelINS1_18TensorListMetadataILi2EEENS1_11CopyFunctorIlN3c107complexIfEELi2ELi1ELi1EEEJNS0_4CopyIlS8_EEEEEvT_T0_DpT1_
		.amdhsa_group_segment_fixed_size 0
		.amdhsa_private_segment_fixed_size 0
		.amdhsa_kernarg_size 3408
		.amdhsa_user_sgpr_count 15
		.amdhsa_user_sgpr_dispatch_ptr 0
		.amdhsa_user_sgpr_queue_ptr 0
		.amdhsa_user_sgpr_kernarg_segment_ptr 1
		.amdhsa_user_sgpr_dispatch_id 0
		.amdhsa_user_sgpr_private_segment_size 0
		.amdhsa_wavefront_size32 1
		.amdhsa_uses_dynamic_stack 0
		.amdhsa_enable_private_segment 0
		.amdhsa_system_sgpr_workgroup_id_x 1
		.amdhsa_system_sgpr_workgroup_id_y 0
		.amdhsa_system_sgpr_workgroup_id_z 0
		.amdhsa_system_sgpr_workgroup_info 0
		.amdhsa_system_vgpr_workitem_id 0
		.amdhsa_next_free_vgpr 33
		.amdhsa_next_free_sgpr 22
		.amdhsa_reserve_vcc 1
		.amdhsa_float_round_mode_32 0
		.amdhsa_float_round_mode_16_64 0
		.amdhsa_float_denorm_mode_32 3
		.amdhsa_float_denorm_mode_16_64 3
		.amdhsa_dx10_clamp 1
		.amdhsa_ieee_mode 1
		.amdhsa_fp16_overflow 0
		.amdhsa_workgroup_processor_mode 1
		.amdhsa_memory_ordered 1
		.amdhsa_forward_progress 0
		.amdhsa_shared_vgpr_count 0
		.amdhsa_exception_fp_ieee_invalid_op 0
		.amdhsa_exception_fp_denorm_src 0
		.amdhsa_exception_fp_ieee_div_zero 0
		.amdhsa_exception_fp_ieee_overflow 0
		.amdhsa_exception_fp_ieee_underflow 0
		.amdhsa_exception_fp_ieee_inexact 0
		.amdhsa_exception_int_div_zero 0
	.end_amdhsa_kernel
	.section	.text._ZN2at6native12_GLOBAL__N_125multi_tensor_apply_kernelINS1_18TensorListMetadataILi2EEENS1_11CopyFunctorIlN3c107complexIfEELi2ELi1ELi1EEEJNS0_4CopyIlS8_EEEEEvT_T0_DpT1_,"axG",@progbits,_ZN2at6native12_GLOBAL__N_125multi_tensor_apply_kernelINS1_18TensorListMetadataILi2EEENS1_11CopyFunctorIlN3c107complexIfEELi2ELi1ELi1EEEJNS0_4CopyIlS8_EEEEEvT_T0_DpT1_,comdat
.Lfunc_end212:
	.size	_ZN2at6native12_GLOBAL__N_125multi_tensor_apply_kernelINS1_18TensorListMetadataILi2EEENS1_11CopyFunctorIlN3c107complexIfEELi2ELi1ELi1EEEJNS0_4CopyIlS8_EEEEEvT_T0_DpT1_, .Lfunc_end212-_ZN2at6native12_GLOBAL__N_125multi_tensor_apply_kernelINS1_18TensorListMetadataILi2EEENS1_11CopyFunctorIlN3c107complexIfEELi2ELi1ELi1EEEJNS0_4CopyIlS8_EEEEEvT_T0_DpT1_
                                        ; -- End function
	.section	.AMDGPU.csdata,"",@progbits
; Kernel info:
; codeLenInByte = 2052
; NumSgprs: 24
; NumVgprs: 33
; ScratchSize: 0
; MemoryBound: 0
; FloatMode: 240
; IeeeMode: 1
; LDSByteSize: 0 bytes/workgroup (compile time only)
; SGPRBlocks: 2
; VGPRBlocks: 4
; NumSGPRsForWavesPerEU: 24
; NumVGPRsForWavesPerEU: 33
; Occupancy: 16
; WaveLimiterHint : 0
; COMPUTE_PGM_RSRC2:SCRATCH_EN: 0
; COMPUTE_PGM_RSRC2:USER_SGPR: 15
; COMPUTE_PGM_RSRC2:TRAP_HANDLER: 0
; COMPUTE_PGM_RSRC2:TGID_X_EN: 1
; COMPUTE_PGM_RSRC2:TGID_Y_EN: 0
; COMPUTE_PGM_RSRC2:TGID_Z_EN: 0
; COMPUTE_PGM_RSRC2:TIDIG_COMP_CNT: 0
	.section	.text._ZN2at6native12_GLOBAL__N_125multi_tensor_apply_kernelINS1_18TensorListMetadataILi2EEENS1_11CopyFunctorIlN3c104HalfELi2ELi1ELi1EEEJNS0_4CopyIlS7_EEEEEvT_T0_DpT1_,"axG",@progbits,_ZN2at6native12_GLOBAL__N_125multi_tensor_apply_kernelINS1_18TensorListMetadataILi2EEENS1_11CopyFunctorIlN3c104HalfELi2ELi1ELi1EEEJNS0_4CopyIlS7_EEEEEvT_T0_DpT1_,comdat
	.globl	_ZN2at6native12_GLOBAL__N_125multi_tensor_apply_kernelINS1_18TensorListMetadataILi2EEENS1_11CopyFunctorIlN3c104HalfELi2ELi1ELi1EEEJNS0_4CopyIlS7_EEEEEvT_T0_DpT1_ ; -- Begin function _ZN2at6native12_GLOBAL__N_125multi_tensor_apply_kernelINS1_18TensorListMetadataILi2EEENS1_11CopyFunctorIlN3c104HalfELi2ELi1ELi1EEEJNS0_4CopyIlS7_EEEEEvT_T0_DpT1_
	.p2align	8
	.type	_ZN2at6native12_GLOBAL__N_125multi_tensor_apply_kernelINS1_18TensorListMetadataILi2EEENS1_11CopyFunctorIlN3c104HalfELi2ELi1ELi1EEEJNS0_4CopyIlS7_EEEEEvT_T0_DpT1_,@function
_ZN2at6native12_GLOBAL__N_125multi_tensor_apply_kernelINS1_18TensorListMetadataILi2EEENS1_11CopyFunctorIlN3c104HalfELi2ELi1ELi1EEEJNS0_4CopyIlS7_EEEEEvT_T0_DpT1_: ; @_ZN2at6native12_GLOBAL__N_125multi_tensor_apply_kernelINS1_18TensorListMetadataILi2EEENS1_11CopyFunctorIlN3c104HalfELi2ELi1ELi1EEEJNS0_4CopyIlS7_EEEEEvT_T0_DpT1_
; %bb.0:
	v_mov_b32_e32 v1, s15
	s_add_u32 s2, s0, s15
	s_mul_hi_u32 s3, s15, 3
	s_mul_i32 s15, s15, 3
	s_addc_u32 s4, s1, 0
	global_load_u8 v1, v1, s[0:1] offset:1536
	s_add_u32 s2, s2, s15
	s_addc_u32 s3, s4, s3
	s_mov_b32 s15, 0
	s_load_b32 s8, s[2:3], 0x740
	s_waitcnt lgkmcnt(0)
	s_ashr_i32 s9, s8, 31
	s_delay_alu instid0(SALU_CYCLE_1) | instskip(SKIP_3) | instid1(VALU_DEP_1)
	s_lshl_b64 s[10:11], s[8:9], 17
	s_lshl_b64 s[16:17], s[8:9], 16
	s_waitcnt vmcnt(0)
	v_readfirstlane_b32 s5, v1
	s_lshl_b32 s4, s5, 3
	s_clause 0x2
	s_load_b64 s[2:3], s[0:1], s4 offset:0x0
	s_load_b64 s[6:7], s[0:1], s4 offset:0x200
	s_load_b64 s[4:5], s[0:1], s4 offset:0x400
	s_waitcnt lgkmcnt(0)
	s_add_u32 s12, s2, s10
	s_addc_u32 s13, s3, s11
	s_and_b32 s18, s6, 31
	s_and_b32 s19, s4, 3
	;; [unrolled: 1-line block ×3, first 2 shown]
	s_or_b32 s18, s19, s18
	s_mov_b32 s19, s15
	s_delay_alu instid0(SALU_CYCLE_1)
	s_or_b64 s[14:15], s[14:15], s[18:19]
	s_sub_u32 s4, s4, s16
	s_subb_u32 s5, s5, s17
	s_cmp_eq_u64 s[14:15], 0
	s_mov_b32 s14, -1
	s_cbranch_scc0 .LBB213_5
; %bb.1:
	v_dual_mov_b32 v2, 0 :: v_dual_lshlrev_b32 v1, 2, v0
	s_mov_b32 s14, exec_lo
	s_delay_alu instid0(VALU_DEP_1)
	v_cmpx_gt_i64_e64 s[4:5], v[1:2]
	s_cbranch_execz .LBB213_4
; %bb.2:
	s_load_b32 s15, s[0:1], 0xc5c
	v_lshlrev_b32_e32 v4, 5, v0
	v_lshlrev_b32_e32 v3, 3, v0
	s_waitcnt lgkmcnt(0)
	s_and_b32 s16, s15, 0xffff
	s_delay_alu instid0(SALU_CYCLE_1)
	s_lshl_b32 s15, s16, 2
	s_add_u32 s17, s2, s10
	s_addc_u32 s11, s3, s11
	s_lshl_b64 s[2:3], s[8:9], 19
	s_lshl_b32 s10, s16, 3
	s_add_u32 s2, s6, s2
	s_addc_u32 s3, s7, s3
	v_add_co_u32 v5, s2, s2, v4
	s_delay_alu instid0(VALU_DEP_1) | instskip(SKIP_1) | instid1(VALU_DEP_3)
	v_add_co_ci_u32_e64 v6, null, s3, 0, s2
	v_add_co_u32 v3, s2, s17, v3
	v_add_co_u32 v5, vcc_lo, v5, 16
	v_add_lshl_u32 v1, v0, s16, 2
	v_add_co_ci_u32_e64 v4, null, s11, 0, s2
	v_add_co_ci_u32_e32 v6, vcc_lo, 0, v6, vcc_lo
	s_mov_b32 s11, 0
	s_lshl_b32 s16, s16, 5
	s_set_inst_prefetch_distance 0x1
	.p2align	6
.LBB213_3:                              ; =>This Inner Loop Header: Depth=1
	global_load_b64 v[7:8], v[3:4], off
	v_cmp_le_i64_e32 vcc_lo, s[4:5], v[1:2]
	v_cmp_lt_u64_e64 s2, 0xffff, v[1:2]
	v_add_co_u32 v1, s3, v1, s15
	s_delay_alu instid0(VALU_DEP_1) | instskip(SKIP_1) | instid1(VALU_DEP_4)
	v_add_co_ci_u32_e64 v2, s3, 0, v2, s3
	v_add_co_u32 v3, s3, v3, s10
	s_or_b32 s2, vcc_lo, s2
	v_add_co_ci_u32_e64 v4, s3, 0, v4, s3
	s_and_b32 s2, exec_lo, s2
	s_delay_alu instid0(SALU_CYCLE_1)
	s_or_b32 s11, s2, s11
	s_waitcnt vmcnt(0)
	v_lshrrev_b32_e32 v9, 16, v7
	v_lshrrev_b32_e32 v10, 16, v8
	v_cvt_f32_f16_e32 v7, v7
	v_cvt_f32_f16_e32 v8, v8
	s_delay_alu instid0(VALU_DEP_4) | instskip(NEXT) | instid1(VALU_DEP_4)
	v_cvt_f32_f16_e32 v9, v9
	v_cvt_f32_f16_e32 v10, v10
	s_delay_alu instid0(VALU_DEP_4) | instskip(NEXT) | instid1(VALU_DEP_4)
	v_cvt_i32_f32_e32 v7, v7
	v_cvt_i32_f32_e32 v11, v8
	s_delay_alu instid0(VALU_DEP_4) | instskip(NEXT) | instid1(VALU_DEP_4)
	v_cvt_i32_f32_e32 v9, v9
	v_cvt_i32_f32_e32 v13, v10
	s_delay_alu instid0(VALU_DEP_4) | instskip(NEXT) | instid1(VALU_DEP_4)
	v_ashrrev_i32_e32 v8, 31, v7
	v_ashrrev_i32_e32 v12, 31, v11
	s_delay_alu instid0(VALU_DEP_4) | instskip(NEXT) | instid1(VALU_DEP_4)
	v_ashrrev_i32_e32 v10, 31, v9
	v_ashrrev_i32_e32 v14, 31, v13
	s_clause 0x1
	global_store_b128 v[5:6], v[7:10], off offset:-16
	global_store_b128 v[5:6], v[11:14], off
	v_add_co_u32 v5, vcc_lo, v5, s16
	v_add_co_ci_u32_e32 v6, vcc_lo, 0, v6, vcc_lo
	s_and_not1_b32 exec_lo, exec_lo, s11
	s_cbranch_execnz .LBB213_3
.LBB213_4:
	s_set_inst_prefetch_distance 0x2
	s_or_b32 exec_lo, exec_lo, s14
	s_mov_b32 s14, 0
.LBB213_5:
	s_delay_alu instid0(SALU_CYCLE_1)
	s_and_not1_b32 vcc_lo, exec_lo, s14
	s_cbranch_vccnz .LBB213_25
; %bb.6:
	v_cmp_lt_i64_e64 s2, s[4:5], 1
	s_delay_alu instid0(VALU_DEP_1)
	s_and_b32 vcc_lo, exec_lo, s2
	s_cbranch_vccnz .LBB213_25
; %bb.7:
	s_load_b32 s0, s[0:1], 0xc5c
	v_cmp_gt_u64_e64 s1, 0x10000, s[4:5]
	v_dual_mov_b32 v2, 0 :: v_dual_lshlrev_b32 v5, 3, v0
	v_lshlrev_b32_e32 v1, 1, v0
                                        ; implicit-def: $vgpr25
                                        ; implicit-def: $vgpr26
                                        ; implicit-def: $vgpr27
                                        ; implicit-def: $vgpr28
	s_waitcnt lgkmcnt(0)
	s_and_b32 s0, s0, 0xffff
	s_delay_alu instid0(VALU_DEP_3)
	s_and_b32 s1, s1, exec_lo
	s_cselect_b32 s3, s5, 0
	s_cselect_b32 s2, s4, 0x10000
	s_lshl_b64 s[8:9], s[8:9], 19
	s_lshl_b32 s11, s0, 1
	s_lshl_b32 s1, s0, 2
	;; [unrolled: 1-line block ×3, first 2 shown]
	s_add_u32 s6, s6, s8
	s_addc_u32 s7, s7, s9
	v_add_co_u32 v5, s9, s6, v5
	s_delay_alu instid0(VALU_DEP_1) | instskip(SKIP_3) | instid1(VALU_DEP_2)
	v_add_co_ci_u32_e64 v6, null, s7, 0, s9
	v_add_co_u32 v18, s9, v0, s0
	s_mul_i32 s14, s0, 3
	v_mad_u64_u32 v[3:4], null, s0, 6, v[1:2]
	v_lshlrev_b32_e32 v7, 3, v18
	v_add_co_u32 v2, s8, s14, v0
	v_add_co_u32 v19, s14, s1, v1
	v_add_co_ci_u32_e64 v21, null, 0, 0, s9
	v_add_co_u32 v22, s9, s11, v0
	v_add_co_u32 v7, s6, s6, v7
	v_add_co_ci_u32_e64 v17, null, 0, 0, s8
	v_add_co_ci_u32_e64 v20, null, 0, 0, s14
	;; [unrolled: 1-line block ×3, first 2 shown]
	v_lshlrev_b32_e32 v24, 1, v18
	v_add_co_ci_u32_e64 v8, null, s7, 0, s6
	s_lshl_b32 s8, s0, 5
	s_mul_i32 s9, s0, 24
	s_lshl_b32 s11, s0, 4
	s_mov_b64 s[6:7], 0
	s_branch .LBB213_9
.LBB213_8:                              ;   in Loop: Header=BB213_9 Depth=1
	s_or_b32 exec_lo, exec_lo, s0
	s_add_u32 s6, s6, s1
	s_addc_u32 s7, s7, 0
	v_add_co_u32 v5, vcc_lo, v5, s8
	v_cmp_ge_i64_e64 s0, s[6:7], s[4:5]
	v_cmp_lt_u64_e64 s14, 0xffff, s[6:7]
	v_add_co_ci_u32_e32 v6, vcc_lo, 0, v6, vcc_lo
	v_add_co_u32 v7, vcc_lo, v7, s8
	v_add_co_ci_u32_e32 v8, vcc_lo, 0, v8, vcc_lo
	s_delay_alu instid0(VALU_DEP_4)
	s_or_b32 s0, s0, s14
	s_add_u32 s12, s12, s10
	s_addc_u32 s13, s13, 0
	s_and_b32 vcc_lo, exec_lo, s0
	s_cbranch_vccnz .LBB213_25
.LBB213_9:                              ; =>This Inner Loop Header: Depth=1
	v_add_co_u32 v9, s0, v0, s6
	s_delay_alu instid0(VALU_DEP_1) | instskip(NEXT) | instid1(VALU_DEP_1)
	v_add_co_ci_u32_e64 v10, null, 0, s7, s0
	v_cmp_gt_i64_e32 vcc_lo, s[4:5], v[9:10]
	v_cmp_gt_u64_e64 s0, 0x10000, v[9:10]
	s_delay_alu instid0(VALU_DEP_1) | instskip(NEXT) | instid1(SALU_CYCLE_1)
	s_and_b32 s14, vcc_lo, s0
	s_and_saveexec_b32 s0, s14
	s_cbranch_execz .LBB213_11
; %bb.10:                               ;   in Loop: Header=BB213_9 Depth=1
	v_add_co_u32 v11, s14, s12, v1
	s_delay_alu instid0(VALU_DEP_1)
	v_add_co_ci_u32_e64 v12, null, s13, 0, s14
	global_load_u16 v28, v[11:12], off
.LBB213_11:                             ;   in Loop: Header=BB213_9 Depth=1
	s_or_b32 exec_lo, exec_lo, s0
	v_add_co_u32 v11, vcc_lo, v18, s6
	v_add_co_ci_u32_e32 v12, vcc_lo, s7, v21, vcc_lo
	s_delay_alu instid0(VALU_DEP_1) | instskip(SKIP_1) | instid1(VALU_DEP_1)
	v_cmp_gt_i64_e32 vcc_lo, s[4:5], v[11:12]
	v_cmp_gt_u64_e64 s0, 0x10000, v[11:12]
	s_and_b32 s14, vcc_lo, s0
	s_delay_alu instid0(SALU_CYCLE_1)
	s_and_saveexec_b32 s0, s14
	s_cbranch_execz .LBB213_13
; %bb.12:                               ;   in Loop: Header=BB213_9 Depth=1
	v_add_co_u32 v13, s14, s12, v24
	s_delay_alu instid0(VALU_DEP_1)
	v_add_co_ci_u32_e64 v14, null, s13, 0, s14
	global_load_u16 v27, v[13:14], off
.LBB213_13:                             ;   in Loop: Header=BB213_9 Depth=1
	s_or_b32 exec_lo, exec_lo, s0
	v_add_co_u32 v13, vcc_lo, v22, s6
	v_add_co_ci_u32_e32 v14, vcc_lo, s7, v23, vcc_lo
	s_delay_alu instid0(VALU_DEP_1) | instskip(SKIP_1) | instid1(VALU_DEP_1)
	v_cmp_gt_i64_e32 vcc_lo, s[4:5], v[13:14]
	v_cmp_gt_u64_e64 s0, 0x10000, v[13:14]
	s_and_b32 s14, vcc_lo, s0
	s_delay_alu instid0(SALU_CYCLE_1)
	s_and_saveexec_b32 s0, s14
	s_cbranch_execz .LBB213_15
; %bb.14:                               ;   in Loop: Header=BB213_9 Depth=1
	v_add_co_u32 v15, vcc_lo, s12, v19
	v_add_co_ci_u32_e32 v16, vcc_lo, s13, v20, vcc_lo
	global_load_u16 v26, v[15:16], off
.LBB213_15:                             ;   in Loop: Header=BB213_9 Depth=1
	s_or_b32 exec_lo, exec_lo, s0
	v_add_co_u32 v15, vcc_lo, v2, s6
	v_add_co_ci_u32_e32 v16, vcc_lo, s7, v17, vcc_lo
	s_delay_alu instid0(VALU_DEP_1) | instskip(SKIP_1) | instid1(VALU_DEP_1)
	v_cmp_gt_i64_e32 vcc_lo, s[4:5], v[15:16]
	v_cmp_gt_u64_e64 s0, 0x10000, v[15:16]
	s_and_b32 s14, vcc_lo, s0
	s_delay_alu instid0(SALU_CYCLE_1)
	s_and_saveexec_b32 s0, s14
	s_cbranch_execnz .LBB213_20
; %bb.16:                               ;   in Loop: Header=BB213_9 Depth=1
	s_or_b32 exec_lo, exec_lo, s0
	s_delay_alu instid0(SALU_CYCLE_1)
	s_mov_b32 s0, exec_lo
	v_cmpx_gt_u64_e64 s[2:3], v[9:10]
	s_cbranch_execnz .LBB213_21
.LBB213_17:                             ;   in Loop: Header=BB213_9 Depth=1
	s_or_b32 exec_lo, exec_lo, s0
	s_delay_alu instid0(SALU_CYCLE_1)
	s_mov_b32 s0, exec_lo
	v_cmpx_gt_u64_e64 s[2:3], v[11:12]
	s_cbranch_execnz .LBB213_22
.LBB213_18:                             ;   in Loop: Header=BB213_9 Depth=1
	s_or_b32 exec_lo, exec_lo, s0
	s_delay_alu instid0(SALU_CYCLE_1)
	s_mov_b32 s0, exec_lo
	v_cmpx_gt_u64_e64 s[2:3], v[13:14]
	s_cbranch_execnz .LBB213_23
.LBB213_19:                             ;   in Loop: Header=BB213_9 Depth=1
	s_or_b32 exec_lo, exec_lo, s0
	s_delay_alu instid0(SALU_CYCLE_1)
	s_mov_b32 s0, exec_lo
	v_cmpx_gt_u64_e64 s[2:3], v[15:16]
	s_cbranch_execz .LBB213_8
	s_branch .LBB213_24
.LBB213_20:                             ;   in Loop: Header=BB213_9 Depth=1
	v_add_co_u32 v29, vcc_lo, s12, v3
	v_add_co_ci_u32_e32 v30, vcc_lo, s13, v4, vcc_lo
	global_load_u16 v25, v[29:30], off
	s_or_b32 exec_lo, exec_lo, s0
	s_delay_alu instid0(SALU_CYCLE_1)
	s_mov_b32 s0, exec_lo
	v_cmpx_gt_u64_e64 s[2:3], v[9:10]
	s_cbranch_execz .LBB213_17
.LBB213_21:                             ;   in Loop: Header=BB213_9 Depth=1
	s_waitcnt vmcnt(0)
	v_cvt_f32_f16_e32 v9, v28
	s_delay_alu instid0(VALU_DEP_1) | instskip(NEXT) | instid1(VALU_DEP_1)
	v_cvt_i32_f32_e32 v9, v9
	v_ashrrev_i32_e32 v10, 31, v9
	global_store_b64 v[5:6], v[9:10], off
	s_or_b32 exec_lo, exec_lo, s0
	s_delay_alu instid0(SALU_CYCLE_1)
	s_mov_b32 s0, exec_lo
	v_cmpx_gt_u64_e64 s[2:3], v[11:12]
	s_cbranch_execz .LBB213_18
.LBB213_22:                             ;   in Loop: Header=BB213_9 Depth=1
	s_waitcnt vmcnt(0)
	v_cvt_f32_f16_e32 v9, v27
	s_delay_alu instid0(VALU_DEP_1) | instskip(NEXT) | instid1(VALU_DEP_1)
	v_cvt_i32_f32_e32 v9, v9
	v_ashrrev_i32_e32 v10, 31, v9
	global_store_b64 v[7:8], v[9:10], off
	s_or_b32 exec_lo, exec_lo, s0
	s_delay_alu instid0(SALU_CYCLE_1)
	s_mov_b32 s0, exec_lo
	v_cmpx_gt_u64_e64 s[2:3], v[13:14]
	s_cbranch_execz .LBB213_19
.LBB213_23:                             ;   in Loop: Header=BB213_9 Depth=1
	s_waitcnt vmcnt(0)
	v_cvt_f32_f16_e32 v9, v26
	v_add_co_u32 v11, vcc_lo, v5, s11
	v_add_co_ci_u32_e32 v12, vcc_lo, 0, v6, vcc_lo
	s_delay_alu instid0(VALU_DEP_3) | instskip(NEXT) | instid1(VALU_DEP_1)
	v_cvt_i32_f32_e32 v9, v9
	v_ashrrev_i32_e32 v10, 31, v9
	global_store_b64 v[11:12], v[9:10], off
	s_or_b32 exec_lo, exec_lo, s0
	s_delay_alu instid0(SALU_CYCLE_1)
	s_mov_b32 s0, exec_lo
	v_cmpx_gt_u64_e64 s[2:3], v[15:16]
	s_cbranch_execz .LBB213_8
.LBB213_24:                             ;   in Loop: Header=BB213_9 Depth=1
	s_waitcnt vmcnt(0)
	v_cvt_f32_f16_e32 v9, v25
	v_add_co_u32 v11, vcc_lo, v5, s9
	v_add_co_ci_u32_e32 v12, vcc_lo, 0, v6, vcc_lo
	s_delay_alu instid0(VALU_DEP_3) | instskip(NEXT) | instid1(VALU_DEP_1)
	v_cvt_i32_f32_e32 v9, v9
	v_ashrrev_i32_e32 v10, 31, v9
	global_store_b64 v[11:12], v[9:10], off
	s_branch .LBB213_8
.LBB213_25:
	s_nop 0
	s_sendmsg sendmsg(MSG_DEALLOC_VGPRS)
	s_endpgm
	.section	.rodata,"a",@progbits
	.p2align	6, 0x0
	.amdhsa_kernel _ZN2at6native12_GLOBAL__N_125multi_tensor_apply_kernelINS1_18TensorListMetadataILi2EEENS1_11CopyFunctorIlN3c104HalfELi2ELi1ELi1EEEJNS0_4CopyIlS7_EEEEEvT_T0_DpT1_
		.amdhsa_group_segment_fixed_size 0
		.amdhsa_private_segment_fixed_size 0
		.amdhsa_kernarg_size 3408
		.amdhsa_user_sgpr_count 15
		.amdhsa_user_sgpr_dispatch_ptr 0
		.amdhsa_user_sgpr_queue_ptr 0
		.amdhsa_user_sgpr_kernarg_segment_ptr 1
		.amdhsa_user_sgpr_dispatch_id 0
		.amdhsa_user_sgpr_private_segment_size 0
		.amdhsa_wavefront_size32 1
		.amdhsa_uses_dynamic_stack 0
		.amdhsa_enable_private_segment 0
		.amdhsa_system_sgpr_workgroup_id_x 1
		.amdhsa_system_sgpr_workgroup_id_y 0
		.amdhsa_system_sgpr_workgroup_id_z 0
		.amdhsa_system_sgpr_workgroup_info 0
		.amdhsa_system_vgpr_workitem_id 0
		.amdhsa_next_free_vgpr 31
		.amdhsa_next_free_sgpr 20
		.amdhsa_reserve_vcc 1
		.amdhsa_float_round_mode_32 0
		.amdhsa_float_round_mode_16_64 0
		.amdhsa_float_denorm_mode_32 3
		.amdhsa_float_denorm_mode_16_64 3
		.amdhsa_dx10_clamp 1
		.amdhsa_ieee_mode 1
		.amdhsa_fp16_overflow 0
		.amdhsa_workgroup_processor_mode 1
		.amdhsa_memory_ordered 1
		.amdhsa_forward_progress 0
		.amdhsa_shared_vgpr_count 0
		.amdhsa_exception_fp_ieee_invalid_op 0
		.amdhsa_exception_fp_denorm_src 0
		.amdhsa_exception_fp_ieee_div_zero 0
		.amdhsa_exception_fp_ieee_overflow 0
		.amdhsa_exception_fp_ieee_underflow 0
		.amdhsa_exception_fp_ieee_inexact 0
		.amdhsa_exception_int_div_zero 0
	.end_amdhsa_kernel
	.section	.text._ZN2at6native12_GLOBAL__N_125multi_tensor_apply_kernelINS1_18TensorListMetadataILi2EEENS1_11CopyFunctorIlN3c104HalfELi2ELi1ELi1EEEJNS0_4CopyIlS7_EEEEEvT_T0_DpT1_,"axG",@progbits,_ZN2at6native12_GLOBAL__N_125multi_tensor_apply_kernelINS1_18TensorListMetadataILi2EEENS1_11CopyFunctorIlN3c104HalfELi2ELi1ELi1EEEJNS0_4CopyIlS7_EEEEEvT_T0_DpT1_,comdat
.Lfunc_end213:
	.size	_ZN2at6native12_GLOBAL__N_125multi_tensor_apply_kernelINS1_18TensorListMetadataILi2EEENS1_11CopyFunctorIlN3c104HalfELi2ELi1ELi1EEEJNS0_4CopyIlS7_EEEEEvT_T0_DpT1_, .Lfunc_end213-_ZN2at6native12_GLOBAL__N_125multi_tensor_apply_kernelINS1_18TensorListMetadataILi2EEENS1_11CopyFunctorIlN3c104HalfELi2ELi1ELi1EEEJNS0_4CopyIlS7_EEEEEvT_T0_DpT1_
                                        ; -- End function
	.section	.AMDGPU.csdata,"",@progbits
; Kernel info:
; codeLenInByte = 1524
; NumSgprs: 22
; NumVgprs: 31
; ScratchSize: 0
; MemoryBound: 0
; FloatMode: 240
; IeeeMode: 1
; LDSByteSize: 0 bytes/workgroup (compile time only)
; SGPRBlocks: 2
; VGPRBlocks: 3
; NumSGPRsForWavesPerEU: 22
; NumVGPRsForWavesPerEU: 31
; Occupancy: 16
; WaveLimiterHint : 0
; COMPUTE_PGM_RSRC2:SCRATCH_EN: 0
; COMPUTE_PGM_RSRC2:USER_SGPR: 15
; COMPUTE_PGM_RSRC2:TRAP_HANDLER: 0
; COMPUTE_PGM_RSRC2:TGID_X_EN: 1
; COMPUTE_PGM_RSRC2:TGID_Y_EN: 0
; COMPUTE_PGM_RSRC2:TGID_Z_EN: 0
; COMPUTE_PGM_RSRC2:TIDIG_COMP_CNT: 0
	.section	.text._ZN2at6native12_GLOBAL__N_125multi_tensor_apply_kernelINS1_18TensorListMetadataILi2EEENS1_11CopyFunctorIlN3c108BFloat16ELi2ELi1ELi1EEEJNS0_4CopyIlS7_EEEEEvT_T0_DpT1_,"axG",@progbits,_ZN2at6native12_GLOBAL__N_125multi_tensor_apply_kernelINS1_18TensorListMetadataILi2EEENS1_11CopyFunctorIlN3c108BFloat16ELi2ELi1ELi1EEEJNS0_4CopyIlS7_EEEEEvT_T0_DpT1_,comdat
	.globl	_ZN2at6native12_GLOBAL__N_125multi_tensor_apply_kernelINS1_18TensorListMetadataILi2EEENS1_11CopyFunctorIlN3c108BFloat16ELi2ELi1ELi1EEEJNS0_4CopyIlS7_EEEEEvT_T0_DpT1_ ; -- Begin function _ZN2at6native12_GLOBAL__N_125multi_tensor_apply_kernelINS1_18TensorListMetadataILi2EEENS1_11CopyFunctorIlN3c108BFloat16ELi2ELi1ELi1EEEJNS0_4CopyIlS7_EEEEEvT_T0_DpT1_
	.p2align	8
	.type	_ZN2at6native12_GLOBAL__N_125multi_tensor_apply_kernelINS1_18TensorListMetadataILi2EEENS1_11CopyFunctorIlN3c108BFloat16ELi2ELi1ELi1EEEJNS0_4CopyIlS7_EEEEEvT_T0_DpT1_,@function
_ZN2at6native12_GLOBAL__N_125multi_tensor_apply_kernelINS1_18TensorListMetadataILi2EEENS1_11CopyFunctorIlN3c108BFloat16ELi2ELi1ELi1EEEJNS0_4CopyIlS7_EEEEEvT_T0_DpT1_: ; @_ZN2at6native12_GLOBAL__N_125multi_tensor_apply_kernelINS1_18TensorListMetadataILi2EEENS1_11CopyFunctorIlN3c108BFloat16ELi2ELi1ELi1EEEJNS0_4CopyIlS7_EEEEEvT_T0_DpT1_
; %bb.0:
	v_mov_b32_e32 v1, s15
	s_add_u32 s2, s0, s15
	s_mul_hi_u32 s3, s15, 3
	s_mul_i32 s15, s15, 3
	s_addc_u32 s4, s1, 0
	global_load_u8 v1, v1, s[0:1] offset:1536
	s_add_u32 s2, s2, s15
	s_addc_u32 s3, s4, s3
	s_mov_b32 s15, 0
	s_load_b32 s8, s[2:3], 0x740
	s_waitcnt lgkmcnt(0)
	s_ashr_i32 s9, s8, 31
	s_delay_alu instid0(SALU_CYCLE_1) | instskip(SKIP_3) | instid1(VALU_DEP_1)
	s_lshl_b64 s[10:11], s[8:9], 17
	s_lshl_b64 s[16:17], s[8:9], 16
	s_waitcnt vmcnt(0)
	v_readfirstlane_b32 s5, v1
	s_lshl_b32 s4, s5, 3
	s_clause 0x2
	s_load_b64 s[2:3], s[0:1], s4 offset:0x0
	s_load_b64 s[6:7], s[0:1], s4 offset:0x200
	s_load_b64 s[4:5], s[0:1], s4 offset:0x400
	s_waitcnt lgkmcnt(0)
	s_add_u32 s12, s2, s10
	s_addc_u32 s13, s3, s11
	s_and_b32 s18, s6, 31
	s_and_b32 s19, s4, 3
	;; [unrolled: 1-line block ×3, first 2 shown]
	s_or_b32 s18, s19, s18
	s_mov_b32 s19, s15
	s_delay_alu instid0(SALU_CYCLE_1)
	s_or_b64 s[14:15], s[14:15], s[18:19]
	s_sub_u32 s4, s4, s16
	s_subb_u32 s5, s5, s17
	s_cmp_eq_u64 s[14:15], 0
	s_mov_b32 s14, -1
	s_cbranch_scc0 .LBB214_5
; %bb.1:
	v_dual_mov_b32 v2, 0 :: v_dual_lshlrev_b32 v1, 2, v0
	s_mov_b32 s14, exec_lo
	s_delay_alu instid0(VALU_DEP_1)
	v_cmpx_gt_i64_e64 s[4:5], v[1:2]
	s_cbranch_execz .LBB214_4
; %bb.2:
	s_load_b32 s15, s[0:1], 0xc5c
	v_lshlrev_b32_e32 v4, 5, v0
	v_lshlrev_b32_e32 v3, 3, v0
	s_waitcnt lgkmcnt(0)
	s_and_b32 s16, s15, 0xffff
	s_add_u32 s15, s2, s10
	s_addc_u32 s17, s3, s11
	s_lshl_b64 s[2:3], s[8:9], 19
	s_lshl_b32 s10, s16, 3
	s_lshl_b32 s11, s16, 2
	s_add_u32 s2, s6, s2
	s_addc_u32 s3, s7, s3
	v_add_co_u32 v5, s2, s2, v4
	s_delay_alu instid0(VALU_DEP_1) | instskip(SKIP_1) | instid1(VALU_DEP_3)
	v_add_co_ci_u32_e64 v6, null, s3, 0, s2
	v_add_co_u32 v3, s2, s15, v3
	v_add_co_u32 v5, vcc_lo, v5, 16
	v_add_lshl_u32 v1, v0, s16, 2
	v_add_co_ci_u32_e64 v4, null, s17, 0, s2
	v_add_co_ci_u32_e32 v6, vcc_lo, 0, v6, vcc_lo
	s_mov_b32 s15, 0
	s_lshl_b32 s16, s16, 5
.LBB214_3:                              ; =>This Inner Loop Header: Depth=1
	global_load_b64 v[7:8], v[3:4], off
	v_cmp_le_i64_e32 vcc_lo, s[4:5], v[1:2]
	v_cmp_lt_u64_e64 s2, 0xffff, v[1:2]
	v_add_co_u32 v3, s3, v3, s10
	s_delay_alu instid0(VALU_DEP_1) | instskip(SKIP_1) | instid1(VALU_DEP_4)
	v_add_co_ci_u32_e64 v4, s3, 0, v4, s3
	v_add_co_u32 v1, s3, v1, s11
	s_or_b32 s2, vcc_lo, s2
	v_add_co_ci_u32_e64 v2, s3, 0, v2, s3
	s_and_b32 s2, exec_lo, s2
	s_delay_alu instid0(SALU_CYCLE_1)
	s_or_b32 s15, s2, s15
	s_waitcnt vmcnt(0)
	v_lshlrev_b32_e32 v9, 16, v7
	v_and_b32_e32 v10, 0xffff0000, v7
	v_alignbit_b32 v7, v8, v7, 16
	v_and_b32_e32 v8, 0xffff0000, v8
	s_delay_alu instid0(VALU_DEP_4) | instskip(NEXT) | instid1(VALU_DEP_4)
	v_trunc_f32_e32 v9, v9
	v_trunc_f32_e32 v10, v10
	s_delay_alu instid0(VALU_DEP_4) | instskip(NEXT) | instid1(VALU_DEP_4)
	v_and_b32_e32 v7, 0xffff0000, v7
	v_trunc_f32_e32 v8, v8
	s_delay_alu instid0(VALU_DEP_4) | instskip(NEXT) | instid1(VALU_DEP_4)
	v_mul_f32_e64 v11, 0x2f800000, |v9|
	v_mul_f32_e64 v13, 0x2f800000, |v10|
	s_delay_alu instid0(VALU_DEP_4) | instskip(NEXT) | instid1(VALU_DEP_4)
	v_trunc_f32_e32 v7, v7
	v_mul_f32_e64 v15, 0x2f800000, |v8|
	v_ashrrev_i32_e32 v12, 31, v9
	v_floor_f32_e32 v11, v11
	v_floor_f32_e32 v13, v13
	v_mul_f32_e64 v17, 0x2f800000, |v7|
	v_floor_f32_e32 v15, v15
	v_ashrrev_i32_e32 v14, 31, v10
	v_fma_f32 v9, 0xcf800000, v11, |v9|
	v_fma_f32 v10, 0xcf800000, v13, |v10|
	v_floor_f32_e32 v17, v17
	v_ashrrev_i32_e32 v16, 31, v8
	v_fma_f32 v8, 0xcf800000, v15, |v8|
	v_cvt_u32_f32_e32 v9, v9
	v_cvt_u32_f32_e32 v11, v11
	;; [unrolled: 1-line block ×3, first 2 shown]
	v_ashrrev_i32_e32 v18, 31, v7
	v_fma_f32 v7, 0xcf800000, v17, |v7|
	v_cvt_u32_f32_e32 v13, v13
	v_xor_b32_e32 v9, v9, v12
	v_cvt_u32_f32_e32 v8, v8
	v_xor_b32_e32 v11, v11, v12
	;; [unrolled: 2-line block ×4, first 2 shown]
	v_sub_co_u32 v7, vcc_lo, v9, v12
	v_cvt_u32_f32_e32 v17, v17
	v_xor_b32_e32 v20, v8, v16
	v_sub_co_ci_u32_e32 v8, vcc_lo, v11, v12, vcc_lo
	v_xor_b32_e32 v15, v15, v16
	v_sub_co_u32 v9, vcc_lo, v10, v14
	v_xor_b32_e32 v11, v19, v18
	v_sub_co_ci_u32_e32 v10, vcc_lo, v13, v14, vcc_lo
	v_xor_b32_e32 v17, v17, v18
	v_sub_co_u32 v13, vcc_lo, v20, v16
	v_sub_co_ci_u32_e32 v14, vcc_lo, v15, v16, vcc_lo
	v_sub_co_u32 v11, vcc_lo, v11, v18
	s_delay_alu instid0(VALU_DEP_4)
	v_sub_co_ci_u32_e32 v12, vcc_lo, v17, v18, vcc_lo
	s_clause 0x1
	global_store_b128 v[5:6], v[7:10], off offset:-16
	global_store_b128 v[5:6], v[11:14], off
	v_add_co_u32 v5, vcc_lo, v5, s16
	v_add_co_ci_u32_e32 v6, vcc_lo, 0, v6, vcc_lo
	s_and_not1_b32 exec_lo, exec_lo, s15
	s_cbranch_execnz .LBB214_3
.LBB214_4:
	s_or_b32 exec_lo, exec_lo, s14
	s_mov_b32 s14, 0
.LBB214_5:
	s_delay_alu instid0(SALU_CYCLE_1)
	s_and_not1_b32 vcc_lo, exec_lo, s14
	s_cbranch_vccnz .LBB214_25
; %bb.6:
	v_cmp_lt_i64_e64 s2, s[4:5], 1
	s_delay_alu instid0(VALU_DEP_1)
	s_and_b32 vcc_lo, exec_lo, s2
	s_cbranch_vccnz .LBB214_25
; %bb.7:
	s_load_b32 s0, s[0:1], 0xc5c
	v_cmp_gt_u64_e64 s1, 0x10000, s[4:5]
	v_dual_mov_b32 v2, 0 :: v_dual_lshlrev_b32 v5, 3, v0
	v_lshlrev_b32_e32 v1, 1, v0
                                        ; implicit-def: $vgpr25
                                        ; implicit-def: $vgpr26
                                        ; implicit-def: $vgpr27
                                        ; implicit-def: $vgpr28
	s_waitcnt lgkmcnt(0)
	s_and_b32 s0, s0, 0xffff
	s_delay_alu instid0(VALU_DEP_3)
	s_and_b32 s1, s1, exec_lo
	s_cselect_b32 s3, s5, 0
	s_cselect_b32 s2, s4, 0x10000
	s_lshl_b64 s[8:9], s[8:9], 19
	s_lshl_b32 s11, s0, 1
	s_lshl_b32 s1, s0, 2
	;; [unrolled: 1-line block ×3, first 2 shown]
	s_add_u32 s6, s6, s8
	s_addc_u32 s7, s7, s9
	v_add_co_u32 v5, s9, s6, v5
	s_delay_alu instid0(VALU_DEP_1) | instskip(SKIP_3) | instid1(VALU_DEP_2)
	v_add_co_ci_u32_e64 v6, null, s7, 0, s9
	v_add_co_u32 v18, s9, v0, s0
	s_mul_i32 s14, s0, 3
	v_mad_u64_u32 v[3:4], null, s0, 6, v[1:2]
	v_lshlrev_b32_e32 v7, 3, v18
	v_add_co_u32 v2, s8, s14, v0
	v_add_co_u32 v19, s14, s1, v1
	v_add_co_ci_u32_e64 v21, null, 0, 0, s9
	v_add_co_u32 v22, s9, s11, v0
	v_add_co_u32 v7, s6, s6, v7
	v_add_co_ci_u32_e64 v17, null, 0, 0, s8
	v_add_co_ci_u32_e64 v20, null, 0, 0, s14
	;; [unrolled: 1-line block ×3, first 2 shown]
	v_lshlrev_b32_e32 v24, 1, v18
	v_add_co_ci_u32_e64 v8, null, s7, 0, s6
	s_lshl_b32 s8, s0, 5
	s_mul_i32 s9, s0, 24
	s_lshl_b32 s11, s0, 4
	s_mov_b64 s[6:7], 0
	s_branch .LBB214_9
.LBB214_8:                              ;   in Loop: Header=BB214_9 Depth=1
	s_or_b32 exec_lo, exec_lo, s0
	s_add_u32 s6, s6, s1
	s_addc_u32 s7, s7, 0
	v_add_co_u32 v5, vcc_lo, v5, s8
	v_cmp_ge_i64_e64 s0, s[6:7], s[4:5]
	v_cmp_lt_u64_e64 s14, 0xffff, s[6:7]
	v_add_co_ci_u32_e32 v6, vcc_lo, 0, v6, vcc_lo
	v_add_co_u32 v7, vcc_lo, v7, s8
	v_add_co_ci_u32_e32 v8, vcc_lo, 0, v8, vcc_lo
	s_delay_alu instid0(VALU_DEP_4)
	s_or_b32 s0, s0, s14
	s_add_u32 s12, s12, s10
	s_addc_u32 s13, s13, 0
	s_and_b32 vcc_lo, exec_lo, s0
	s_cbranch_vccnz .LBB214_25
.LBB214_9:                              ; =>This Inner Loop Header: Depth=1
	v_add_co_u32 v15, s0, v0, s6
	s_delay_alu instid0(VALU_DEP_1) | instskip(NEXT) | instid1(VALU_DEP_1)
	v_add_co_ci_u32_e64 v16, null, 0, s7, s0
	v_cmp_gt_i64_e32 vcc_lo, s[4:5], v[15:16]
	v_cmp_gt_u64_e64 s0, 0x10000, v[15:16]
	s_delay_alu instid0(VALU_DEP_1) | instskip(NEXT) | instid1(SALU_CYCLE_1)
	s_and_b32 s14, vcc_lo, s0
	s_and_saveexec_b32 s0, s14
	s_cbranch_execz .LBB214_11
; %bb.10:                               ;   in Loop: Header=BB214_9 Depth=1
	v_add_co_u32 v9, s14, s12, v1
	s_delay_alu instid0(VALU_DEP_1)
	v_add_co_ci_u32_e64 v10, null, s13, 0, s14
	global_load_u16 v28, v[9:10], off
.LBB214_11:                             ;   in Loop: Header=BB214_9 Depth=1
	s_or_b32 exec_lo, exec_lo, s0
	v_add_co_u32 v13, vcc_lo, v18, s6
	v_add_co_ci_u32_e32 v14, vcc_lo, s7, v21, vcc_lo
	s_delay_alu instid0(VALU_DEP_1) | instskip(SKIP_1) | instid1(VALU_DEP_1)
	v_cmp_gt_i64_e32 vcc_lo, s[4:5], v[13:14]
	v_cmp_gt_u64_e64 s0, 0x10000, v[13:14]
	s_and_b32 s14, vcc_lo, s0
	s_delay_alu instid0(SALU_CYCLE_1)
	s_and_saveexec_b32 s0, s14
	s_cbranch_execz .LBB214_13
; %bb.12:                               ;   in Loop: Header=BB214_9 Depth=1
	v_add_co_u32 v9, s14, s12, v24
	s_delay_alu instid0(VALU_DEP_1)
	v_add_co_ci_u32_e64 v10, null, s13, 0, s14
	global_load_u16 v27, v[9:10], off
.LBB214_13:                             ;   in Loop: Header=BB214_9 Depth=1
	s_or_b32 exec_lo, exec_lo, s0
	v_add_co_u32 v11, vcc_lo, v22, s6
	v_add_co_ci_u32_e32 v12, vcc_lo, s7, v23, vcc_lo
	s_delay_alu instid0(VALU_DEP_1) | instskip(SKIP_1) | instid1(VALU_DEP_1)
	v_cmp_gt_i64_e32 vcc_lo, s[4:5], v[11:12]
	v_cmp_gt_u64_e64 s0, 0x10000, v[11:12]
	s_and_b32 s14, vcc_lo, s0
	s_delay_alu instid0(SALU_CYCLE_1)
	s_and_saveexec_b32 s0, s14
	s_cbranch_execz .LBB214_15
; %bb.14:                               ;   in Loop: Header=BB214_9 Depth=1
	v_add_co_u32 v9, vcc_lo, s12, v19
	v_add_co_ci_u32_e32 v10, vcc_lo, s13, v20, vcc_lo
	global_load_u16 v26, v[9:10], off
.LBB214_15:                             ;   in Loop: Header=BB214_9 Depth=1
	s_or_b32 exec_lo, exec_lo, s0
	v_add_co_u32 v9, vcc_lo, v2, s6
	v_add_co_ci_u32_e32 v10, vcc_lo, s7, v17, vcc_lo
	s_delay_alu instid0(VALU_DEP_1) | instskip(SKIP_1) | instid1(VALU_DEP_1)
	v_cmp_gt_i64_e32 vcc_lo, s[4:5], v[9:10]
	v_cmp_gt_u64_e64 s0, 0x10000, v[9:10]
	s_and_b32 s14, vcc_lo, s0
	s_delay_alu instid0(SALU_CYCLE_1)
	s_and_saveexec_b32 s0, s14
	s_cbranch_execnz .LBB214_20
; %bb.16:                               ;   in Loop: Header=BB214_9 Depth=1
	s_or_b32 exec_lo, exec_lo, s0
	s_delay_alu instid0(SALU_CYCLE_1)
	s_mov_b32 s0, exec_lo
	v_cmpx_gt_u64_e64 s[2:3], v[15:16]
	s_cbranch_execnz .LBB214_21
.LBB214_17:                             ;   in Loop: Header=BB214_9 Depth=1
	s_or_b32 exec_lo, exec_lo, s0
	s_delay_alu instid0(SALU_CYCLE_1)
	s_mov_b32 s0, exec_lo
	v_cmpx_gt_u64_e64 s[2:3], v[13:14]
	s_cbranch_execnz .LBB214_22
.LBB214_18:                             ;   in Loop: Header=BB214_9 Depth=1
	s_or_b32 exec_lo, exec_lo, s0
	s_delay_alu instid0(SALU_CYCLE_1)
	s_mov_b32 s0, exec_lo
	v_cmpx_gt_u64_e64 s[2:3], v[11:12]
	s_cbranch_execnz .LBB214_23
.LBB214_19:                             ;   in Loop: Header=BB214_9 Depth=1
	s_or_b32 exec_lo, exec_lo, s0
	s_delay_alu instid0(SALU_CYCLE_1)
	s_mov_b32 s0, exec_lo
	v_cmpx_gt_u64_e64 s[2:3], v[9:10]
	s_cbranch_execz .LBB214_8
	s_branch .LBB214_24
.LBB214_20:                             ;   in Loop: Header=BB214_9 Depth=1
	v_add_co_u32 v29, vcc_lo, s12, v3
	v_add_co_ci_u32_e32 v30, vcc_lo, s13, v4, vcc_lo
	global_load_u16 v25, v[29:30], off
	s_or_b32 exec_lo, exec_lo, s0
	s_delay_alu instid0(SALU_CYCLE_1)
	s_mov_b32 s0, exec_lo
	v_cmpx_gt_u64_e64 s[2:3], v[15:16]
	s_cbranch_execz .LBB214_17
.LBB214_21:                             ;   in Loop: Header=BB214_9 Depth=1
	s_waitcnt vmcnt(0)
	v_lshlrev_b32_e32 v15, 16, v28
	s_delay_alu instid0(VALU_DEP_1) | instskip(NEXT) | instid1(VALU_DEP_1)
	v_trunc_f32_e32 v15, v15
	v_mul_f32_e64 v16, 0x2f800000, |v15|
	v_ashrrev_i32_e32 v30, 31, v15
	s_delay_alu instid0(VALU_DEP_2) | instskip(NEXT) | instid1(VALU_DEP_1)
	v_floor_f32_e32 v16, v16
	v_fma_f32 v29, 0xcf800000, v16, |v15|
	v_cvt_u32_f32_e32 v16, v16
	s_delay_alu instid0(VALU_DEP_2) | instskip(NEXT) | instid1(VALU_DEP_2)
	v_cvt_u32_f32_e32 v15, v29
	v_xor_b32_e32 v16, v16, v30
	s_delay_alu instid0(VALU_DEP_2) | instskip(NEXT) | instid1(VALU_DEP_1)
	v_xor_b32_e32 v15, v15, v30
	v_sub_co_u32 v15, vcc_lo, v15, v30
	s_delay_alu instid0(VALU_DEP_3) | instskip(SKIP_2) | instid1(SALU_CYCLE_1)
	v_sub_co_ci_u32_e32 v16, vcc_lo, v16, v30, vcc_lo
	global_store_b64 v[5:6], v[15:16], off
	s_or_b32 exec_lo, exec_lo, s0
	s_mov_b32 s0, exec_lo
	v_cmpx_gt_u64_e64 s[2:3], v[13:14]
	s_cbranch_execz .LBB214_18
.LBB214_22:                             ;   in Loop: Header=BB214_9 Depth=1
	s_waitcnt vmcnt(0)
	v_lshlrev_b32_e32 v13, 16, v27
	s_delay_alu instid0(VALU_DEP_1) | instskip(NEXT) | instid1(VALU_DEP_1)
	v_trunc_f32_e32 v13, v13
	v_mul_f32_e64 v14, 0x2f800000, |v13|
	v_ashrrev_i32_e32 v16, 31, v13
	s_delay_alu instid0(VALU_DEP_2) | instskip(NEXT) | instid1(VALU_DEP_1)
	v_floor_f32_e32 v14, v14
	v_fma_f32 v15, 0xcf800000, v14, |v13|
	v_cvt_u32_f32_e32 v14, v14
	s_delay_alu instid0(VALU_DEP_2) | instskip(NEXT) | instid1(VALU_DEP_2)
	v_cvt_u32_f32_e32 v13, v15
	v_xor_b32_e32 v14, v14, v16
	s_delay_alu instid0(VALU_DEP_2) | instskip(NEXT) | instid1(VALU_DEP_1)
	v_xor_b32_e32 v13, v13, v16
	v_sub_co_u32 v13, vcc_lo, v13, v16
	s_delay_alu instid0(VALU_DEP_3) | instskip(SKIP_2) | instid1(SALU_CYCLE_1)
	v_sub_co_ci_u32_e32 v14, vcc_lo, v14, v16, vcc_lo
	global_store_b64 v[7:8], v[13:14], off
	s_or_b32 exec_lo, exec_lo, s0
	s_mov_b32 s0, exec_lo
	v_cmpx_gt_u64_e64 s[2:3], v[11:12]
	s_cbranch_execz .LBB214_19
.LBB214_23:                             ;   in Loop: Header=BB214_9 Depth=1
	s_waitcnt vmcnt(0)
	v_lshlrev_b32_e32 v11, 16, v26
	s_delay_alu instid0(VALU_DEP_1) | instskip(NEXT) | instid1(VALU_DEP_1)
	v_trunc_f32_e32 v11, v11
	v_mul_f32_e64 v12, 0x2f800000, |v11|
	v_ashrrev_i32_e32 v14, 31, v11
	s_delay_alu instid0(VALU_DEP_2) | instskip(NEXT) | instid1(VALU_DEP_1)
	v_floor_f32_e32 v12, v12
	v_fma_f32 v13, 0xcf800000, v12, |v11|
	v_cvt_u32_f32_e32 v12, v12
	s_delay_alu instid0(VALU_DEP_2) | instskip(NEXT) | instid1(VALU_DEP_2)
	v_cvt_u32_f32_e32 v11, v13
	v_xor_b32_e32 v12, v12, v14
	s_delay_alu instid0(VALU_DEP_2) | instskip(NEXT) | instid1(VALU_DEP_1)
	v_xor_b32_e32 v11, v11, v14
	v_sub_co_u32 v11, vcc_lo, v11, v14
	s_delay_alu instid0(VALU_DEP_3) | instskip(SKIP_4) | instid1(SALU_CYCLE_1)
	v_sub_co_ci_u32_e32 v12, vcc_lo, v12, v14, vcc_lo
	v_add_co_u32 v13, vcc_lo, v5, s11
	v_add_co_ci_u32_e32 v14, vcc_lo, 0, v6, vcc_lo
	global_store_b64 v[13:14], v[11:12], off
	s_or_b32 exec_lo, exec_lo, s0
	s_mov_b32 s0, exec_lo
	v_cmpx_gt_u64_e64 s[2:3], v[9:10]
	s_cbranch_execz .LBB214_8
.LBB214_24:                             ;   in Loop: Header=BB214_9 Depth=1
	s_waitcnt vmcnt(0)
	v_lshlrev_b32_e32 v9, 16, v25
	s_delay_alu instid0(VALU_DEP_1) | instskip(NEXT) | instid1(VALU_DEP_1)
	v_trunc_f32_e32 v9, v9
	v_mul_f32_e64 v10, 0x2f800000, |v9|
	v_ashrrev_i32_e32 v12, 31, v9
	s_delay_alu instid0(VALU_DEP_2) | instskip(NEXT) | instid1(VALU_DEP_1)
	v_floor_f32_e32 v10, v10
	v_fma_f32 v11, 0xcf800000, v10, |v9|
	v_cvt_u32_f32_e32 v10, v10
	s_delay_alu instid0(VALU_DEP_2) | instskip(NEXT) | instid1(VALU_DEP_2)
	v_cvt_u32_f32_e32 v9, v11
	v_xor_b32_e32 v10, v10, v12
	s_delay_alu instid0(VALU_DEP_2) | instskip(NEXT) | instid1(VALU_DEP_1)
	v_xor_b32_e32 v9, v9, v12
	v_sub_co_u32 v9, vcc_lo, v9, v12
	s_delay_alu instid0(VALU_DEP_3)
	v_sub_co_ci_u32_e32 v10, vcc_lo, v10, v12, vcc_lo
	v_add_co_u32 v11, vcc_lo, v5, s9
	v_add_co_ci_u32_e32 v12, vcc_lo, 0, v6, vcc_lo
	global_store_b64 v[11:12], v[9:10], off
	s_branch .LBB214_8
.LBB214_25:
	s_nop 0
	s_sendmsg sendmsg(MSG_DEALLOC_VGPRS)
	s_endpgm
	.section	.rodata,"a",@progbits
	.p2align	6, 0x0
	.amdhsa_kernel _ZN2at6native12_GLOBAL__N_125multi_tensor_apply_kernelINS1_18TensorListMetadataILi2EEENS1_11CopyFunctorIlN3c108BFloat16ELi2ELi1ELi1EEEJNS0_4CopyIlS7_EEEEEvT_T0_DpT1_
		.amdhsa_group_segment_fixed_size 0
		.amdhsa_private_segment_fixed_size 0
		.amdhsa_kernarg_size 3408
		.amdhsa_user_sgpr_count 15
		.amdhsa_user_sgpr_dispatch_ptr 0
		.amdhsa_user_sgpr_queue_ptr 0
		.amdhsa_user_sgpr_kernarg_segment_ptr 1
		.amdhsa_user_sgpr_dispatch_id 0
		.amdhsa_user_sgpr_private_segment_size 0
		.amdhsa_wavefront_size32 1
		.amdhsa_uses_dynamic_stack 0
		.amdhsa_enable_private_segment 0
		.amdhsa_system_sgpr_workgroup_id_x 1
		.amdhsa_system_sgpr_workgroup_id_y 0
		.amdhsa_system_sgpr_workgroup_id_z 0
		.amdhsa_system_sgpr_workgroup_info 0
		.amdhsa_system_vgpr_workitem_id 0
		.amdhsa_next_free_vgpr 31
		.amdhsa_next_free_sgpr 20
		.amdhsa_reserve_vcc 1
		.amdhsa_float_round_mode_32 0
		.amdhsa_float_round_mode_16_64 0
		.amdhsa_float_denorm_mode_32 3
		.amdhsa_float_denorm_mode_16_64 3
		.amdhsa_dx10_clamp 1
		.amdhsa_ieee_mode 1
		.amdhsa_fp16_overflow 0
		.amdhsa_workgroup_processor_mode 1
		.amdhsa_memory_ordered 1
		.amdhsa_forward_progress 0
		.amdhsa_shared_vgpr_count 0
		.amdhsa_exception_fp_ieee_invalid_op 0
		.amdhsa_exception_fp_denorm_src 0
		.amdhsa_exception_fp_ieee_div_zero 0
		.amdhsa_exception_fp_ieee_overflow 0
		.amdhsa_exception_fp_ieee_underflow 0
		.amdhsa_exception_fp_ieee_inexact 0
		.amdhsa_exception_int_div_zero 0
	.end_amdhsa_kernel
	.section	.text._ZN2at6native12_GLOBAL__N_125multi_tensor_apply_kernelINS1_18TensorListMetadataILi2EEENS1_11CopyFunctorIlN3c108BFloat16ELi2ELi1ELi1EEEJNS0_4CopyIlS7_EEEEEvT_T0_DpT1_,"axG",@progbits,_ZN2at6native12_GLOBAL__N_125multi_tensor_apply_kernelINS1_18TensorListMetadataILi2EEENS1_11CopyFunctorIlN3c108BFloat16ELi2ELi1ELi1EEEJNS0_4CopyIlS7_EEEEEvT_T0_DpT1_,comdat
.Lfunc_end214:
	.size	_ZN2at6native12_GLOBAL__N_125multi_tensor_apply_kernelINS1_18TensorListMetadataILi2EEENS1_11CopyFunctorIlN3c108BFloat16ELi2ELi1ELi1EEEJNS0_4CopyIlS7_EEEEEvT_T0_DpT1_, .Lfunc_end214-_ZN2at6native12_GLOBAL__N_125multi_tensor_apply_kernelINS1_18TensorListMetadataILi2EEENS1_11CopyFunctorIlN3c108BFloat16ELi2ELi1ELi1EEEJNS0_4CopyIlS7_EEEEEvT_T0_DpT1_
                                        ; -- End function
	.section	.AMDGPU.csdata,"",@progbits
; Kernel info:
; codeLenInByte = 2024
; NumSgprs: 22
; NumVgprs: 31
; ScratchSize: 0
; MemoryBound: 0
; FloatMode: 240
; IeeeMode: 1
; LDSByteSize: 0 bytes/workgroup (compile time only)
; SGPRBlocks: 2
; VGPRBlocks: 3
; NumSGPRsForWavesPerEU: 22
; NumVGPRsForWavesPerEU: 31
; Occupancy: 16
; WaveLimiterHint : 0
; COMPUTE_PGM_RSRC2:SCRATCH_EN: 0
; COMPUTE_PGM_RSRC2:USER_SGPR: 15
; COMPUTE_PGM_RSRC2:TRAP_HANDLER: 0
; COMPUTE_PGM_RSRC2:TGID_X_EN: 1
; COMPUTE_PGM_RSRC2:TGID_Y_EN: 0
; COMPUTE_PGM_RSRC2:TGID_Z_EN: 0
; COMPUTE_PGM_RSRC2:TIDIG_COMP_CNT: 0
	.section	.text._ZN2at6native12_GLOBAL__N_125multi_tensor_apply_kernelINS1_18TensorListMetadataILi2EEENS1_11CopyFunctorIlbLi2ELi1ELi1EEEJNS0_4CopyIlbEEEEEvT_T0_DpT1_,"axG",@progbits,_ZN2at6native12_GLOBAL__N_125multi_tensor_apply_kernelINS1_18TensorListMetadataILi2EEENS1_11CopyFunctorIlbLi2ELi1ELi1EEEJNS0_4CopyIlbEEEEEvT_T0_DpT1_,comdat
	.globl	_ZN2at6native12_GLOBAL__N_125multi_tensor_apply_kernelINS1_18TensorListMetadataILi2EEENS1_11CopyFunctorIlbLi2ELi1ELi1EEEJNS0_4CopyIlbEEEEEvT_T0_DpT1_ ; -- Begin function _ZN2at6native12_GLOBAL__N_125multi_tensor_apply_kernelINS1_18TensorListMetadataILi2EEENS1_11CopyFunctorIlbLi2ELi1ELi1EEEJNS0_4CopyIlbEEEEEvT_T0_DpT1_
	.p2align	8
	.type	_ZN2at6native12_GLOBAL__N_125multi_tensor_apply_kernelINS1_18TensorListMetadataILi2EEENS1_11CopyFunctorIlbLi2ELi1ELi1EEEJNS0_4CopyIlbEEEEEvT_T0_DpT1_,@function
_ZN2at6native12_GLOBAL__N_125multi_tensor_apply_kernelINS1_18TensorListMetadataILi2EEENS1_11CopyFunctorIlbLi2ELi1ELi1EEEJNS0_4CopyIlbEEEEEvT_T0_DpT1_: ; @_ZN2at6native12_GLOBAL__N_125multi_tensor_apply_kernelINS1_18TensorListMetadataILi2EEENS1_11CopyFunctorIlbLi2ELi1ELi1EEEJNS0_4CopyIlbEEEEEvT_T0_DpT1_
; %bb.0:
	v_mov_b32_e32 v1, s15
	s_add_u32 s2, s0, s15
	s_mul_hi_u32 s3, s15, 3
	s_mul_i32 s15, s15, 3
	s_addc_u32 s4, s1, 0
	global_load_u8 v1, v1, s[0:1] offset:1536
	s_add_u32 s2, s2, s15
	s_addc_u32 s3, s4, s3
	s_mov_b32 s15, 0
	s_load_b32 s10, s[2:3], 0x740
	s_mov_b32 s17, s15
	s_waitcnt lgkmcnt(0)
	s_ashr_i32 s11, s10, 31
	s_delay_alu instid0(SALU_CYCLE_1) | instskip(SKIP_2) | instid1(VALU_DEP_1)
	s_lshl_b64 s[8:9], s[10:11], 16
	s_waitcnt vmcnt(0)
	v_readfirstlane_b32 s5, v1
	s_lshl_b32 s2, s5, 3
	s_clause 0x2
	s_load_b64 s[6:7], s[0:1], s2 offset:0x0
	s_load_b64 s[12:13], s[0:1], s2 offset:0x200
	;; [unrolled: 1-line block ×3, first 2 shown]
	s_waitcnt lgkmcnt(0)
	s_add_u32 s3, s6, s8
	s_addc_u32 s18, s7, s9
	s_and_b32 s2, s12, 31
	s_and_b32 s16, s4, 3
	;; [unrolled: 1-line block ×3, first 2 shown]
	s_or_b32 s16, s16, s2
	s_mov_b32 s2, -1
	s_or_b64 s[14:15], s[14:15], s[16:17]
	s_sub_u32 s4, s4, s8
	s_subb_u32 s5, s5, s9
	s_cmp_eq_u64 s[14:15], 0
	s_cbranch_scc0 .LBB215_5
; %bb.1:
	v_dual_mov_b32 v2, 0 :: v_dual_lshlrev_b32 v5, 2, v0
	s_mov_b32 s19, exec_lo
	s_delay_alu instid0(VALU_DEP_1) | instskip(NEXT) | instid1(VALU_DEP_1)
	v_mov_b32_e32 v6, v2
	v_cmpx_gt_i64_e64 s[4:5], v[5:6]
	s_cbranch_execz .LBB215_4
; %bb.2:
	s_load_b32 s2, s[0:1], 0xc5c
	v_lshlrev_b32_e32 v1, 5, v0
	s_lshl_b64 s[16:17], s[10:11], 19
	s_waitcnt lgkmcnt(0)
	s_and_b32 s2, s2, 0xffff
	s_delay_alu instid0(SALU_CYCLE_1) | instskip(SKIP_3) | instid1(VALU_DEP_1)
	s_lshl_b32 s14, s2, 2
	s_add_u32 s15, s12, s16
	s_addc_u32 s16, s13, s17
	v_add_co_u32 v1, s15, s15, v1
	v_add_co_ci_u32_e64 v3, null, s16, 0, s15
	s_mov_b32 s15, 0
	s_delay_alu instid0(VALU_DEP_2) | instskip(NEXT) | instid1(VALU_DEP_2)
	v_add_co_u32 v6, vcc_lo, v1, 16
	v_add_co_ci_u32_e32 v7, vcc_lo, 0, v3, vcc_lo
	s_lshl_b32 s20, s2, 5
	s_mov_b64 s[16:17], s[14:15]
	s_set_inst_prefetch_distance 0x1
	.p2align	6
.LBB215_3:                              ; =>This Inner Loop Header: Depth=1
	v_add_co_u32 v3, s2, s3, v5
	s_delay_alu instid0(VALU_DEP_1) | instskip(SKIP_1) | instid1(VALU_DEP_1)
	v_add_co_ci_u32_e64 v4, null, s18, 0, s2
	v_add_co_u32 v8, s2, v5, s16
	v_add_co_ci_u32_e64 v9, null, 0, s17, s2
	global_load_b32 v10, v[3:4], off
	v_mov_b32_e32 v4, v2
	v_cmp_le_i64_e32 vcc_lo, s[4:5], v[8:9]
	v_cmp_lt_u64_e64 s2, 0xffff, v[8:9]
	s_delay_alu instid0(VALU_DEP_1)
	s_or_b32 s2, vcc_lo, s2
	s_add_u32 s16, s16, s14
	s_addc_u32 s17, s17, 0
	s_add_u32 s3, s3, s14
	s_addc_u32 s18, s18, 0
	s_and_b32 s2, exec_lo, s2
	s_delay_alu instid0(SALU_CYCLE_1)
	s_or_b32 s15, s2, s15
	s_waitcnt vmcnt(0)
	v_and_b32_e32 v1, 0xff, v10
	v_bfe_u32 v3, v10, 8, 8
	global_store_b128 v[6:7], v[1:4], off offset:-16
	v_bfe_u32 v1, v10, 16, 8
	v_lshrrev_b32_e32 v3, 24, v10
	global_store_b128 v[6:7], v[1:4], off
	v_add_co_u32 v6, vcc_lo, v6, s20
	v_add_co_ci_u32_e32 v7, vcc_lo, 0, v7, vcc_lo
	s_and_not1_b32 exec_lo, exec_lo, s15
	s_cbranch_execnz .LBB215_3
.LBB215_4:
	s_set_inst_prefetch_distance 0x2
	s_or_b32 exec_lo, exec_lo, s19
	s_mov_b32 s2, 0
.LBB215_5:
	s_delay_alu instid0(SALU_CYCLE_1)
	s_and_not1_b32 vcc_lo, exec_lo, s2
	s_cbranch_vccnz .LBB215_25
; %bb.6:
	v_cmp_lt_i64_e64 s2, s[4:5], 1
	s_delay_alu instid0(VALU_DEP_1)
	s_and_b32 vcc_lo, exec_lo, s2
	s_cbranch_vccnz .LBB215_25
; %bb.7:
	s_load_b32 s0, s[0:1], 0xc5c
	v_cmp_gt_u64_e64 s1, 0x10000, s[4:5]
	v_add_co_u32 v1, s2, s8, v0
	v_dual_mov_b32 v2, 0 :: v_dual_lshlrev_b32 v3, 3, v0
	v_add_co_ci_u32_e64 v5, null, s9, 0, s2
	s_delay_alu instid0(VALU_DEP_3) | instskip(NEXT) | instid1(VALU_DEP_2)
	v_add_co_u32 v15, vcc_lo, s6, v1
                                        ; implicit-def: $vgpr29
                                        ; implicit-def: $vgpr30
                                        ; implicit-def: $vgpr31
                                        ; implicit-def: $vgpr32
	v_add_co_ci_u32_e32 v16, vcc_lo, s7, v5, vcc_lo
	s_waitcnt lgkmcnt(0)
	s_and_b32 s0, s0, 0xffff
	s_and_b32 s1, s1, exec_lo
	s_cselect_b32 s3, s5, 0
	s_cselect_b32 s2, s4, 0x10000
	s_lshl_b64 s[10:11], s[10:11], 19
	s_lshl_b32 s14, s0, 1
	s_lshl_b32 s1, s0, 2
	s_add_u32 s12, s12, s10
	s_mul_i32 s15, s0, 3
	s_addc_u32 s11, s13, s11
	s_lshl_b32 s10, s0, 5
	v_add_co_u32 v3, s16, s12, v3
	s_add_u32 s13, s8, s15
	v_add_co_ci_u32_e64 v4, null, s11, 0, s16
	s_addc_u32 s16, s9, 0
	s_add_u32 s13, s6, s13
	s_addc_u32 s16, s7, s16
	s_add_u32 s8, s8, s14
	;; [unrolled: 2-line block ×3, first 2 shown]
	s_addc_u32 s9, s7, s9
	v_add_co_u32 v21, s8, s8, v0
	s_delay_alu instid0(VALU_DEP_1) | instskip(SKIP_1) | instid1(VALU_DEP_1)
	v_add_co_ci_u32_e64 v22, null, s9, 0, s8
	v_add_co_u32 v23, s9, s14, v0
	v_add_co_ci_u32_e64 v24, null, 0, 0, s9
	v_add_co_u32 v25, s9, v0, s0
	s_lshl_b32 s8, s0, 4
	s_add_u32 s6, s6, s0
	v_add_co_u32 v17, s13, s13, v0
	s_delay_alu instid0(VALU_DEP_2)
	v_lshlrev_b32_e32 v6, 3, v25
	s_addc_u32 s7, s7, 0
	v_add_co_u32 v27, vcc_lo, s6, v1
	v_add_co_ci_u32_e64 v18, null, s16, 0, s13
	v_add_co_u32 v19, s13, s15, v0
	v_add_co_ci_u32_e32 v28, vcc_lo, s7, v5, vcc_lo
	v_add_co_u32 v5, s6, s12, v6
	v_add_co_ci_u32_e64 v20, null, 0, 0, s13
	v_add_co_ci_u32_e64 v26, null, 0, 0, s9
	;; [unrolled: 1-line block ×3, first 2 shown]
	s_mul_i32 s9, s0, 24
	s_mov_b64 s[6:7], 0
	s_branch .LBB215_9
.LBB215_8:                              ;   in Loop: Header=BB215_9 Depth=1
	s_or_b32 exec_lo, exec_lo, s0
	s_add_u32 s6, s6, s1
	s_addc_u32 s7, s7, 0
	v_add_co_u32 v3, vcc_lo, v3, s10
	v_cmp_ge_i64_e64 s0, s[6:7], s[4:5]
	v_cmp_lt_u64_e64 s11, 0xffff, s[6:7]
	v_add_co_ci_u32_e32 v4, vcc_lo, 0, v4, vcc_lo
	v_add_co_u32 v5, vcc_lo, v5, s10
	v_add_co_ci_u32_e32 v6, vcc_lo, 0, v6, vcc_lo
	s_delay_alu instid0(VALU_DEP_4) | instskip(NEXT) | instid1(SALU_CYCLE_1)
	s_or_b32 s0, s0, s11
	s_and_b32 vcc_lo, exec_lo, s0
	s_cbranch_vccnz .LBB215_25
.LBB215_9:                              ; =>This Inner Loop Header: Depth=1
	v_add_co_u32 v7, s0, v0, s6
	s_delay_alu instid0(VALU_DEP_1) | instskip(NEXT) | instid1(VALU_DEP_1)
	v_add_co_ci_u32_e64 v8, null, 0, s7, s0
	v_cmp_gt_i64_e32 vcc_lo, s[4:5], v[7:8]
	v_cmp_gt_u64_e64 s0, 0x10000, v[7:8]
	s_delay_alu instid0(VALU_DEP_1) | instskip(NEXT) | instid1(SALU_CYCLE_1)
	s_and_b32 s11, vcc_lo, s0
	s_and_saveexec_b32 s0, s11
	s_cbranch_execz .LBB215_11
; %bb.10:                               ;   in Loop: Header=BB215_9 Depth=1
	v_add_co_u32 v9, vcc_lo, v15, s6
	v_add_co_ci_u32_e32 v10, vcc_lo, s7, v16, vcc_lo
	global_load_u8 v29, v[9:10], off
.LBB215_11:                             ;   in Loop: Header=BB215_9 Depth=1
	s_or_b32 exec_lo, exec_lo, s0
	v_add_co_u32 v9, vcc_lo, v25, s6
	v_add_co_ci_u32_e32 v10, vcc_lo, s7, v26, vcc_lo
	s_delay_alu instid0(VALU_DEP_1) | instskip(SKIP_1) | instid1(VALU_DEP_1)
	v_cmp_gt_i64_e32 vcc_lo, s[4:5], v[9:10]
	v_cmp_gt_u64_e64 s0, 0x10000, v[9:10]
	s_and_b32 s11, vcc_lo, s0
	s_delay_alu instid0(SALU_CYCLE_1)
	s_and_saveexec_b32 s0, s11
	s_cbranch_execz .LBB215_13
; %bb.12:                               ;   in Loop: Header=BB215_9 Depth=1
	v_add_co_u32 v11, vcc_lo, v27, s6
	v_add_co_ci_u32_e32 v12, vcc_lo, s7, v28, vcc_lo
	global_load_u8 v30, v[11:12], off
.LBB215_13:                             ;   in Loop: Header=BB215_9 Depth=1
	s_or_b32 exec_lo, exec_lo, s0
	v_add_co_u32 v11, vcc_lo, v23, s6
	v_add_co_ci_u32_e32 v12, vcc_lo, s7, v24, vcc_lo
	s_delay_alu instid0(VALU_DEP_1) | instskip(SKIP_1) | instid1(VALU_DEP_1)
	v_cmp_gt_i64_e32 vcc_lo, s[4:5], v[11:12]
	v_cmp_gt_u64_e64 s0, 0x10000, v[11:12]
	s_and_b32 s11, vcc_lo, s0
	s_delay_alu instid0(SALU_CYCLE_1)
	;; [unrolled: 15-line block ×3, first 2 shown]
	s_and_saveexec_b32 s0, s11
	s_cbranch_execnz .LBB215_20
; %bb.16:                               ;   in Loop: Header=BB215_9 Depth=1
	s_or_b32 exec_lo, exec_lo, s0
	s_delay_alu instid0(SALU_CYCLE_1)
	s_mov_b32 s0, exec_lo
	v_cmpx_gt_u64_e64 s[2:3], v[7:8]
	s_cbranch_execnz .LBB215_21
.LBB215_17:                             ;   in Loop: Header=BB215_9 Depth=1
	s_or_b32 exec_lo, exec_lo, s0
	s_delay_alu instid0(SALU_CYCLE_1)
	s_mov_b32 s0, exec_lo
	v_cmpx_gt_u64_e64 s[2:3], v[9:10]
	s_cbranch_execnz .LBB215_22
.LBB215_18:                             ;   in Loop: Header=BB215_9 Depth=1
	s_or_b32 exec_lo, exec_lo, s0
	s_delay_alu instid0(SALU_CYCLE_1)
	s_mov_b32 s0, exec_lo
	v_cmpx_gt_u64_e64 s[2:3], v[11:12]
	s_cbranch_execnz .LBB215_23
.LBB215_19:                             ;   in Loop: Header=BB215_9 Depth=1
	s_or_b32 exec_lo, exec_lo, s0
	s_delay_alu instid0(SALU_CYCLE_1)
	s_mov_b32 s0, exec_lo
	v_cmpx_gt_u64_e64 s[2:3], v[13:14]
	s_cbranch_execz .LBB215_8
	s_branch .LBB215_24
.LBB215_20:                             ;   in Loop: Header=BB215_9 Depth=1
	s_waitcnt vmcnt(0)
	v_add_co_u32 v32, vcc_lo, v17, s6
	v_add_co_ci_u32_e32 v33, vcc_lo, s7, v18, vcc_lo
	global_load_u8 v32, v[32:33], off
	s_or_b32 exec_lo, exec_lo, s0
	s_delay_alu instid0(SALU_CYCLE_1)
	s_mov_b32 s0, exec_lo
	v_cmpx_gt_u64_e64 s[2:3], v[7:8]
	s_cbranch_execz .LBB215_17
.LBB215_21:                             ;   in Loop: Header=BB215_9 Depth=1
	s_waitcnt vmcnt(0)
	v_and_b32_e32 v1, 0xff, v29
	global_store_b64 v[3:4], v[1:2], off
	s_or_b32 exec_lo, exec_lo, s0
	s_delay_alu instid0(SALU_CYCLE_1)
	s_mov_b32 s0, exec_lo
	v_cmpx_gt_u64_e64 s[2:3], v[9:10]
	s_cbranch_execz .LBB215_18
.LBB215_22:                             ;   in Loop: Header=BB215_9 Depth=1
	s_waitcnt vmcnt(0)
	v_and_b32_e32 v1, 0xff, v30
	global_store_b64 v[5:6], v[1:2], off
	s_or_b32 exec_lo, exec_lo, s0
	s_delay_alu instid0(SALU_CYCLE_1)
	s_mov_b32 s0, exec_lo
	v_cmpx_gt_u64_e64 s[2:3], v[11:12]
	s_cbranch_execz .LBB215_19
.LBB215_23:                             ;   in Loop: Header=BB215_9 Depth=1
	v_add_co_u32 v7, vcc_lo, v3, s8
	s_waitcnt vmcnt(0)
	v_and_b32_e32 v1, 0xff, v31
	v_add_co_ci_u32_e32 v8, vcc_lo, 0, v4, vcc_lo
	global_store_b64 v[7:8], v[1:2], off
	s_or_b32 exec_lo, exec_lo, s0
	s_delay_alu instid0(SALU_CYCLE_1)
	s_mov_b32 s0, exec_lo
	v_cmpx_gt_u64_e64 s[2:3], v[13:14]
	s_cbranch_execz .LBB215_8
.LBB215_24:                             ;   in Loop: Header=BB215_9 Depth=1
	v_add_co_u32 v7, vcc_lo, v3, s9
	s_waitcnt vmcnt(0)
	v_and_b32_e32 v1, 0xff, v32
	v_add_co_ci_u32_e32 v8, vcc_lo, 0, v4, vcc_lo
	global_store_b64 v[7:8], v[1:2], off
	s_branch .LBB215_8
.LBB215_25:
	s_nop 0
	s_sendmsg sendmsg(MSG_DEALLOC_VGPRS)
	s_endpgm
	.section	.rodata,"a",@progbits
	.p2align	6, 0x0
	.amdhsa_kernel _ZN2at6native12_GLOBAL__N_125multi_tensor_apply_kernelINS1_18TensorListMetadataILi2EEENS1_11CopyFunctorIlbLi2ELi1ELi1EEEJNS0_4CopyIlbEEEEEvT_T0_DpT1_
		.amdhsa_group_segment_fixed_size 0
		.amdhsa_private_segment_fixed_size 0
		.amdhsa_kernarg_size 3408
		.amdhsa_user_sgpr_count 15
		.amdhsa_user_sgpr_dispatch_ptr 0
		.amdhsa_user_sgpr_queue_ptr 0
		.amdhsa_user_sgpr_kernarg_segment_ptr 1
		.amdhsa_user_sgpr_dispatch_id 0
		.amdhsa_user_sgpr_private_segment_size 0
		.amdhsa_wavefront_size32 1
		.amdhsa_uses_dynamic_stack 0
		.amdhsa_enable_private_segment 0
		.amdhsa_system_sgpr_workgroup_id_x 1
		.amdhsa_system_sgpr_workgroup_id_y 0
		.amdhsa_system_sgpr_workgroup_id_z 0
		.amdhsa_system_sgpr_workgroup_info 0
		.amdhsa_system_vgpr_workitem_id 0
		.amdhsa_next_free_vgpr 34
		.amdhsa_next_free_sgpr 21
		.amdhsa_reserve_vcc 1
		.amdhsa_float_round_mode_32 0
		.amdhsa_float_round_mode_16_64 0
		.amdhsa_float_denorm_mode_32 3
		.amdhsa_float_denorm_mode_16_64 3
		.amdhsa_dx10_clamp 1
		.amdhsa_ieee_mode 1
		.amdhsa_fp16_overflow 0
		.amdhsa_workgroup_processor_mode 1
		.amdhsa_memory_ordered 1
		.amdhsa_forward_progress 0
		.amdhsa_shared_vgpr_count 0
		.amdhsa_exception_fp_ieee_invalid_op 0
		.amdhsa_exception_fp_denorm_src 0
		.amdhsa_exception_fp_ieee_div_zero 0
		.amdhsa_exception_fp_ieee_overflow 0
		.amdhsa_exception_fp_ieee_underflow 0
		.amdhsa_exception_fp_ieee_inexact 0
		.amdhsa_exception_int_div_zero 0
	.end_amdhsa_kernel
	.section	.text._ZN2at6native12_GLOBAL__N_125multi_tensor_apply_kernelINS1_18TensorListMetadataILi2EEENS1_11CopyFunctorIlbLi2ELi1ELi1EEEJNS0_4CopyIlbEEEEEvT_T0_DpT1_,"axG",@progbits,_ZN2at6native12_GLOBAL__N_125multi_tensor_apply_kernelINS1_18TensorListMetadataILi2EEENS1_11CopyFunctorIlbLi2ELi1ELi1EEEJNS0_4CopyIlbEEEEEvT_T0_DpT1_,comdat
.Lfunc_end215:
	.size	_ZN2at6native12_GLOBAL__N_125multi_tensor_apply_kernelINS1_18TensorListMetadataILi2EEENS1_11CopyFunctorIlbLi2ELi1ELi1EEEJNS0_4CopyIlbEEEEEvT_T0_DpT1_, .Lfunc_end215-_ZN2at6native12_GLOBAL__N_125multi_tensor_apply_kernelINS1_18TensorListMetadataILi2EEENS1_11CopyFunctorIlbLi2ELi1ELi1EEEJNS0_4CopyIlbEEEEEvT_T0_DpT1_
                                        ; -- End function
	.section	.AMDGPU.csdata,"",@progbits
; Kernel info:
; codeLenInByte = 1484
; NumSgprs: 23
; NumVgprs: 34
; ScratchSize: 0
; MemoryBound: 0
; FloatMode: 240
; IeeeMode: 1
; LDSByteSize: 0 bytes/workgroup (compile time only)
; SGPRBlocks: 2
; VGPRBlocks: 4
; NumSGPRsForWavesPerEU: 23
; NumVGPRsForWavesPerEU: 34
; Occupancy: 16
; WaveLimiterHint : 0
; COMPUTE_PGM_RSRC2:SCRATCH_EN: 0
; COMPUTE_PGM_RSRC2:USER_SGPR: 15
; COMPUTE_PGM_RSRC2:TRAP_HANDLER: 0
; COMPUTE_PGM_RSRC2:TGID_X_EN: 1
; COMPUTE_PGM_RSRC2:TGID_Y_EN: 0
; COMPUTE_PGM_RSRC2:TGID_Z_EN: 0
; COMPUTE_PGM_RSRC2:TIDIG_COMP_CNT: 0
	.section	.text._ZN2at6native12_GLOBAL__N_125multi_tensor_apply_kernelINS1_18TensorListMetadataILi2EEENS1_11CopyFunctorIlN3c1013Float8_e4m3fnELi2ELi1ELi1EEEJNS0_4CopyIlS7_EEEEEvT_T0_DpT1_,"axG",@progbits,_ZN2at6native12_GLOBAL__N_125multi_tensor_apply_kernelINS1_18TensorListMetadataILi2EEENS1_11CopyFunctorIlN3c1013Float8_e4m3fnELi2ELi1ELi1EEEJNS0_4CopyIlS7_EEEEEvT_T0_DpT1_,comdat
	.globl	_ZN2at6native12_GLOBAL__N_125multi_tensor_apply_kernelINS1_18TensorListMetadataILi2EEENS1_11CopyFunctorIlN3c1013Float8_e4m3fnELi2ELi1ELi1EEEJNS0_4CopyIlS7_EEEEEvT_T0_DpT1_ ; -- Begin function _ZN2at6native12_GLOBAL__N_125multi_tensor_apply_kernelINS1_18TensorListMetadataILi2EEENS1_11CopyFunctorIlN3c1013Float8_e4m3fnELi2ELi1ELi1EEEJNS0_4CopyIlS7_EEEEEvT_T0_DpT1_
	.p2align	8
	.type	_ZN2at6native12_GLOBAL__N_125multi_tensor_apply_kernelINS1_18TensorListMetadataILi2EEENS1_11CopyFunctorIlN3c1013Float8_e4m3fnELi2ELi1ELi1EEEJNS0_4CopyIlS7_EEEEEvT_T0_DpT1_,@function
_ZN2at6native12_GLOBAL__N_125multi_tensor_apply_kernelINS1_18TensorListMetadataILi2EEENS1_11CopyFunctorIlN3c1013Float8_e4m3fnELi2ELi1ELi1EEEJNS0_4CopyIlS7_EEEEEvT_T0_DpT1_: ; @_ZN2at6native12_GLOBAL__N_125multi_tensor_apply_kernelINS1_18TensorListMetadataILi2EEENS1_11CopyFunctorIlN3c1013Float8_e4m3fnELi2ELi1ELi1EEEJNS0_4CopyIlS7_EEEEEvT_T0_DpT1_
; %bb.0:
	v_mov_b32_e32 v1, s15
	s_add_u32 s2, s0, s15
	s_mul_hi_u32 s3, s15, 3
	s_mul_i32 s15, s15, 3
	s_addc_u32 s4, s1, 0
	global_load_u8 v1, v1, s[0:1] offset:1536
	s_add_u32 s2, s2, s15
	s_addc_u32 s3, s4, s3
	s_load_b32 s10, s[2:3], 0x740
	s_waitcnt lgkmcnt(0)
	s_ashr_i32 s11, s10, 31
	s_delay_alu instid0(SALU_CYCLE_1) | instskip(SKIP_2) | instid1(VALU_DEP_1)
	s_lshl_b64 s[8:9], s[10:11], 16
	s_waitcnt vmcnt(0)
	v_readfirstlane_b32 s5, v1
	s_lshl_b32 s2, s5, 3
	s_mov_b32 s5, 0
	s_clause 0x2
	s_load_b64 s[6:7], s[0:1], s2 offset:0x0
	s_load_b64 s[12:13], s[0:1], s2 offset:0x200
	;; [unrolled: 1-line block ×3, first 2 shown]
	s_waitcnt lgkmcnt(0)
	s_add_u32 s14, s6, s8
	s_addc_u32 s15, s7, s9
	s_and_b32 s16, s12, 31
	s_and_b32 s17, s2, 3
	;; [unrolled: 1-line block ×3, first 2 shown]
	s_or_b32 s16, s17, s16
	s_mov_b32 s17, s5
	s_delay_alu instid0(SALU_CYCLE_1)
	s_or_b64 s[16:17], s[4:5], s[16:17]
	s_sub_u32 s4, s2, s8
	s_subb_u32 s5, s3, s9
	s_cmp_eq_u64 s[16:17], 0
	s_mov_b32 s2, -1
	s_cbranch_scc0 .LBB216_5
; %bb.1:
	v_dual_mov_b32 v2, 0 :: v_dual_lshlrev_b32 v1, 2, v0
	s_mov_b32 s16, exec_lo
	s_delay_alu instid0(VALU_DEP_1)
	v_cmpx_gt_i64_e64 s[4:5], v[1:2]
	s_cbranch_execz .LBB216_4
; %bb.2:
	s_load_b32 s17, s[0:1], 0xc5c
	v_lshlrev_b32_e32 v3, 5, v0
	s_lshl_b64 s[2:3], s[10:11], 19
	s_mov_b32 s18, 0
	s_waitcnt lgkmcnt(0)
	s_and_b32 s19, s17, 0xffff
	s_delay_alu instid0(SALU_CYCLE_1) | instskip(SKIP_3) | instid1(VALU_DEP_1)
	s_lshl_b32 s17, s19, 2
	s_add_u32 s2, s12, s2
	s_addc_u32 s3, s13, s3
	v_add_co_u32 v3, s2, s2, v3
	v_add_co_ci_u32_e64 v4, null, s3, 0, s2
	s_lshl_b32 s19, s19, 5
.LBB216_3:                              ; =>This Inner Loop Header: Depth=1
	v_add_co_u32 v5, vcc_lo, s14, v1
	v_add_co_ci_u32_e32 v6, vcc_lo, s15, v2, vcc_lo
	v_add_co_u32 v1, vcc_lo, s17, v1
	v_add_co_ci_u32_e32 v2, vcc_lo, 0, v2, vcc_lo
	global_load_b32 v5, v[5:6], off
	v_cmp_le_i64_e32 vcc_lo, s[4:5], v[1:2]
	v_cmp_lt_u64_e64 s2, 0xffff, v[1:2]
	s_delay_alu instid0(VALU_DEP_1) | instskip(NEXT) | instid1(SALU_CYCLE_1)
	s_or_b32 s2, vcc_lo, s2
	s_and_b32 s20, exec_lo, s2
	s_delay_alu instid0(SALU_CYCLE_1)
	s_or_b32 s18, s20, s18
	s_waitcnt vmcnt(0)
	v_and_b32_e32 v9, 0x7f000000, v5
	v_lshlrev_b32_e32 v8, 8, v5
	v_lshlrev_b32_e32 v6, 24, v5
	;; [unrolled: 1-line block ×3, first 2 shown]
	s_delay_alu instid0(VALU_DEP_4) | instskip(NEXT) | instid1(VALU_DEP_4)
	v_clz_i32_u32_e32 v13, v9
	v_and_b32_e32 v12, 0x7f000000, v8
	v_add_nc_u32_e32 v14, 0x1000000, v9
	v_and_b32_e32 v10, 0x7f000000, v6
	v_cmp_ne_u32_e32 vcc_lo, 0, v9
	v_min_u32_e32 v13, 32, v13
	v_clz_i32_u32_e32 v19, v12
	v_ashrrev_i32_e32 v14, 8, v14
	v_clz_i32_u32_e32 v15, v10
	v_add_nc_u32_e32 v20, 0x1000000, v12
	v_sub_nc_u32_e64 v13, v13, 4 clamp
	v_min_u32_e32 v19, 32, v19
	v_cmp_ne_u32_e64 s3, 0, v12
	v_min_u32_e32 v15, 32, v15
	v_add_nc_u32_e32 v16, 0x1000000, v10
	v_lshlrev_b32_e32 v21, v13, v9
	v_lshlrev_b32_e32 v13, 23, v13
	v_sub_nc_u32_e64 v19, v19, 4 clamp
	v_sub_nc_u32_e64 v15, v15, 4 clamp
	v_ashrrev_i32_e32 v16, 8, v16
	v_lshrrev_b32_e32 v21, 4, v21
	v_ashrrev_i32_e32 v20, 8, v20
	v_lshlrev_b32_e32 v24, v19, v12
	v_lshlrev_b32_e32 v22, v15, v10
	;; [unrolled: 1-line block ×3, first 2 shown]
	v_sub_nc_u32_e32 v13, v21, v13
	v_lshlrev_b32_e32 v19, 23, v19
	v_lshrrev_b32_e32 v24, 4, v24
	v_lshrrev_b32_e32 v22, 4, v22
	s_delay_alu instid0(VALU_DEP_4) | instskip(NEXT) | instid1(VALU_DEP_3)
	v_add_nc_u32_e32 v13, 0x3c000000, v13
	v_sub_nc_u32_e32 v19, v24, v19
	s_delay_alu instid0(VALU_DEP_3) | instskip(NEXT) | instid1(VALU_DEP_3)
	v_sub_nc_u32_e32 v15, v22, v15
	v_and_or_b32 v13, 0x7f800000, v14, v13
	v_and_b32_e32 v11, 0x7f000000, v7
	s_delay_alu instid0(VALU_DEP_4) | instskip(NEXT) | instid1(VALU_DEP_3)
	v_add_nc_u32_e32 v19, 0x3c000000, v19
	v_dual_cndmask_b32 v12, 0, v13 :: v_dual_add_nc_u32 v15, 0x3c000000, v15
	s_delay_alu instid0(VALU_DEP_3) | instskip(SKIP_1) | instid1(VALU_DEP_3)
	v_clz_i32_u32_e32 v17, v11
	v_add_nc_u32_e32 v18, 0x1000000, v11
	v_and_or_b32 v9, 0x7f800000, v16, v15
	v_cmp_ne_u32_e32 vcc_lo, 0, v10
	v_cmp_ne_u32_e64 s2, 0, v11
	v_min_u32_e32 v17, 32, v17
	v_ashrrev_i32_e32 v18, 8, v18
	v_and_or_b32 v5, 0x80000000, v5, v12
	v_cndmask_b32_e32 v9, 0, v9, vcc_lo
	s_delay_alu instid0(VALU_DEP_4) | instskip(NEXT) | instid1(VALU_DEP_3)
	v_sub_nc_u32_e64 v17, v17, 4 clamp
	v_trunc_f32_e32 v5, v5
	s_delay_alu instid0(VALU_DEP_3) | instskip(NEXT) | instid1(VALU_DEP_3)
	v_and_or_b32 v6, 0x80000000, v6, v9
	v_lshlrev_b32_e32 v23, v17, v11
	v_lshlrev_b32_e32 v17, 23, v17
	v_and_or_b32 v11, 0x7f800000, v20, v19
	s_delay_alu instid0(VALU_DEP_4) | instskip(SKIP_2) | instid1(VALU_DEP_4)
	v_trunc_f32_e32 v6, v6
	v_mul_f32_e64 v9, 0x2f800000, |v5|
	v_lshrrev_b32_e32 v23, 4, v23
	v_cndmask_b32_e64 v11, 0, v11, s3
	s_delay_alu instid0(VALU_DEP_4) | instskip(NEXT) | instid1(VALU_DEP_4)
	v_ashrrev_i32_e32 v12, 31, v6
	v_floor_f32_e32 v9, v9
	s_delay_alu instid0(VALU_DEP_4) | instskip(NEXT) | instid1(VALU_DEP_4)
	v_sub_nc_u32_e32 v17, v23, v17
	v_and_or_b32 v8, 0x80000000, v8, v11
	v_mul_f32_e64 v11, 0x2f800000, |v6|
	s_delay_alu instid0(VALU_DEP_3) | instskip(NEXT) | instid1(VALU_DEP_3)
	v_add_nc_u32_e32 v17, 0x3c000000, v17
	v_trunc_f32_e32 v8, v8
	s_delay_alu instid0(VALU_DEP_3) | instskip(NEXT) | instid1(VALU_DEP_3)
	v_floor_f32_e32 v11, v11
	v_and_or_b32 v14, 0x7f800000, v18, v17
	s_delay_alu instid0(VALU_DEP_3) | instskip(NEXT) | instid1(VALU_DEP_3)
	v_mul_f32_e64 v15, 0x2f800000, |v8|
	v_fma_f32 v6, 0xcf800000, v11, |v6|
	v_ashrrev_i32_e32 v16, 31, v8
	s_delay_alu instid0(VALU_DEP_4) | instskip(SKIP_3) | instid1(VALU_DEP_4)
	v_cndmask_b32_e64 v10, 0, v14, s2
	v_cvt_u32_f32_e32 v11, v11
	v_floor_f32_e32 v15, v15
	v_cvt_u32_f32_e32 v6, v6
	v_and_or_b32 v7, 0x80000000, v7, v10
	v_ashrrev_i32_e32 v10, 31, v5
	v_fma_f32 v5, 0xcf800000, v9, |v5|
	v_cvt_u32_f32_e32 v9, v9
	v_fma_f32 v8, 0xcf800000, v15, |v8|
	v_trunc_f32_e32 v7, v7
	v_xor_b32_e32 v6, v6, v12
	v_cvt_u32_f32_e32 v5, v5
	v_xor_b32_e32 v9, v9, v10
	v_cvt_u32_f32_e32 v8, v8
	v_mul_f32_e64 v13, 0x2f800000, |v7|
	v_ashrrev_i32_e32 v14, 31, v7
	v_xor_b32_e32 v5, v5, v10
	v_xor_b32_e32 v11, v11, v12
	v_cvt_u32_f32_e32 v15, v15
	v_floor_f32_e32 v13, v13
	v_xor_b32_e32 v18, v8, v16
	s_delay_alu instid0(VALU_DEP_3) | instskip(NEXT) | instid1(VALU_DEP_3)
	v_xor_b32_e32 v15, v15, v16
	v_fma_f32 v7, 0xcf800000, v13, |v7|
	v_cvt_u32_f32_e32 v13, v13
	s_delay_alu instid0(VALU_DEP_2) | instskip(NEXT) | instid1(VALU_DEP_2)
	v_cvt_u32_f32_e32 v7, v7
	v_xor_b32_e32 v13, v13, v14
	s_delay_alu instid0(VALU_DEP_2)
	v_xor_b32_e32 v17, v7, v14
	v_sub_co_u32 v7, vcc_lo, v5, v10
	v_sub_co_ci_u32_e32 v8, vcc_lo, v9, v10, vcc_lo
	v_sub_co_u32 v9, vcc_lo, v6, v12
	v_sub_co_ci_u32_e32 v10, vcc_lo, v11, v12, vcc_lo
	;; [unrolled: 2-line block ×4, first 2 shown]
	s_clause 0x1
	global_store_b128 v[3:4], v[9:12], off
	global_store_b128 v[3:4], v[5:8], off offset:16
	v_add_co_u32 v3, vcc_lo, v3, s19
	v_add_co_ci_u32_e32 v4, vcc_lo, 0, v4, vcc_lo
	s_and_not1_b32 exec_lo, exec_lo, s18
	s_cbranch_execnz .LBB216_3
.LBB216_4:
	s_or_b32 exec_lo, exec_lo, s16
	s_mov_b32 s2, 0
.LBB216_5:
	s_delay_alu instid0(SALU_CYCLE_1)
	s_and_not1_b32 vcc_lo, exec_lo, s2
	s_cbranch_vccnz .LBB216_25
; %bb.6:
	v_cmp_lt_i64_e64 s2, s[4:5], 1
	s_delay_alu instid0(VALU_DEP_1)
	s_and_b32 vcc_lo, exec_lo, s2
	s_cbranch_vccnz .LBB216_25
; %bb.7:
	s_load_b32 s0, s[0:1], 0xc5c
	v_cmp_gt_u64_e64 s1, 0x10000, s[4:5]
	v_add_co_u32 v3, s2, s8, v0
	v_lshlrev_b32_e32 v1, 3, v0
	v_add_co_ci_u32_e64 v4, null, s9, 0, s2
	s_delay_alu instid0(VALU_DEP_3) | instskip(NEXT) | instid1(VALU_DEP_2)
	v_add_co_u32 v13, vcc_lo, s6, v3
                                        ; implicit-def: $vgpr27
                                        ; implicit-def: $vgpr28
                                        ; implicit-def: $vgpr29
                                        ; implicit-def: $vgpr30
	v_add_co_ci_u32_e32 v14, vcc_lo, s7, v4, vcc_lo
	s_waitcnt lgkmcnt(0)
	s_and_b32 s0, s0, 0xffff
	s_and_b32 s1, s1, exec_lo
	s_cselect_b32 s3, s5, 0
	s_cselect_b32 s2, s4, 0x10000
	s_lshl_b64 s[10:11], s[10:11], 19
	s_lshl_b32 s14, s0, 1
	s_lshl_b32 s1, s0, 2
	s_add_u32 s12, s12, s10
	s_mul_i32 s15, s0, 3
	s_addc_u32 s11, s13, s11
	s_lshl_b32 s10, s0, 5
	v_add_co_u32 v1, s16, s12, v1
	s_add_u32 s13, s8, s15
	v_add_co_ci_u32_e64 v2, null, s11, 0, s16
	s_addc_u32 s16, s9, 0
	s_add_u32 s13, s6, s13
	s_addc_u32 s16, s7, s16
	s_add_u32 s8, s8, s14
	s_addc_u32 s9, s9, 0
	s_add_u32 s8, s6, s8
	s_addc_u32 s9, s7, s9
	v_add_co_u32 v19, s8, s8, v0
	s_delay_alu instid0(VALU_DEP_1) | instskip(SKIP_1) | instid1(VALU_DEP_1)
	v_add_co_ci_u32_e64 v20, null, s9, 0, s8
	v_add_co_u32 v21, s9, s14, v0
	v_add_co_ci_u32_e64 v22, null, 0, 0, s9
	v_add_co_u32 v23, s9, v0, s0
	s_lshl_b32 s8, s0, 4
	v_add_co_u32 v15, s13, s13, v0
	s_delay_alu instid0(VALU_DEP_2)
	v_lshlrev_b32_e32 v5, 3, v23
	s_add_u32 s6, s6, s0
	v_add_co_ci_u32_e64 v16, null, s16, 0, s13
	v_add_co_u32 v17, s13, s15, v0
	s_addc_u32 s7, s7, 0
	v_add_co_u32 v25, vcc_lo, s6, v3
	v_add_co_u32 v3, s6, s12, v5
	v_add_co_ci_u32_e64 v18, null, 0, 0, s13
	v_add_co_ci_u32_e64 v24, null, 0, 0, s9
	v_add_co_ci_u32_e32 v26, vcc_lo, s7, v4, vcc_lo
	v_add_co_ci_u32_e64 v4, null, s11, 0, s6
	s_mul_i32 s9, s0, 24
	s_mov_b64 s[6:7], 0
	s_branch .LBB216_9
.LBB216_8:                              ;   in Loop: Header=BB216_9 Depth=1
	s_or_b32 exec_lo, exec_lo, s0
	s_add_u32 s6, s6, s1
	s_addc_u32 s7, s7, 0
	v_add_co_u32 v1, vcc_lo, v1, s10
	v_cmp_ge_i64_e64 s0, s[6:7], s[4:5]
	v_cmp_lt_u64_e64 s11, 0xffff, s[6:7]
	v_add_co_ci_u32_e32 v2, vcc_lo, 0, v2, vcc_lo
	v_add_co_u32 v3, vcc_lo, v3, s10
	v_add_co_ci_u32_e32 v4, vcc_lo, 0, v4, vcc_lo
	s_delay_alu instid0(VALU_DEP_4) | instskip(NEXT) | instid1(SALU_CYCLE_1)
	s_or_b32 s0, s0, s11
	s_and_b32 vcc_lo, exec_lo, s0
	s_cbranch_vccnz .LBB216_25
.LBB216_9:                              ; =>This Inner Loop Header: Depth=1
	v_add_co_u32 v11, s0, v0, s6
	s_delay_alu instid0(VALU_DEP_1) | instskip(NEXT) | instid1(VALU_DEP_1)
	v_add_co_ci_u32_e64 v12, null, 0, s7, s0
	v_cmp_gt_i64_e32 vcc_lo, s[4:5], v[11:12]
	v_cmp_gt_u64_e64 s0, 0x10000, v[11:12]
	s_delay_alu instid0(VALU_DEP_1) | instskip(NEXT) | instid1(SALU_CYCLE_1)
	s_and_b32 s11, vcc_lo, s0
	s_and_saveexec_b32 s0, s11
	s_cbranch_execz .LBB216_11
; %bb.10:                               ;   in Loop: Header=BB216_9 Depth=1
	v_add_co_u32 v5, vcc_lo, v13, s6
	v_add_co_ci_u32_e32 v6, vcc_lo, s7, v14, vcc_lo
	global_load_u8 v30, v[5:6], off
.LBB216_11:                             ;   in Loop: Header=BB216_9 Depth=1
	s_or_b32 exec_lo, exec_lo, s0
	v_add_co_u32 v9, vcc_lo, v23, s6
	v_add_co_ci_u32_e32 v10, vcc_lo, s7, v24, vcc_lo
	s_delay_alu instid0(VALU_DEP_1) | instskip(SKIP_1) | instid1(VALU_DEP_1)
	v_cmp_gt_i64_e32 vcc_lo, s[4:5], v[9:10]
	v_cmp_gt_u64_e64 s0, 0x10000, v[9:10]
	s_and_b32 s11, vcc_lo, s0
	s_delay_alu instid0(SALU_CYCLE_1)
	s_and_saveexec_b32 s0, s11
	s_cbranch_execz .LBB216_13
; %bb.12:                               ;   in Loop: Header=BB216_9 Depth=1
	v_add_co_u32 v5, vcc_lo, v25, s6
	v_add_co_ci_u32_e32 v6, vcc_lo, s7, v26, vcc_lo
	global_load_u8 v29, v[5:6], off
.LBB216_13:                             ;   in Loop: Header=BB216_9 Depth=1
	s_or_b32 exec_lo, exec_lo, s0
	v_add_co_u32 v7, vcc_lo, v21, s6
	v_add_co_ci_u32_e32 v8, vcc_lo, s7, v22, vcc_lo
	s_delay_alu instid0(VALU_DEP_1) | instskip(SKIP_1) | instid1(VALU_DEP_1)
	v_cmp_gt_i64_e32 vcc_lo, s[4:5], v[7:8]
	v_cmp_gt_u64_e64 s0, 0x10000, v[7:8]
	s_and_b32 s11, vcc_lo, s0
	s_delay_alu instid0(SALU_CYCLE_1)
	;; [unrolled: 15-line block ×3, first 2 shown]
	s_and_saveexec_b32 s0, s11
	s_cbranch_execnz .LBB216_20
; %bb.16:                               ;   in Loop: Header=BB216_9 Depth=1
	s_or_b32 exec_lo, exec_lo, s0
	s_delay_alu instid0(SALU_CYCLE_1)
	s_mov_b32 s0, exec_lo
	v_cmpx_gt_u64_e64 s[2:3], v[11:12]
	s_cbranch_execnz .LBB216_21
.LBB216_17:                             ;   in Loop: Header=BB216_9 Depth=1
	s_or_b32 exec_lo, exec_lo, s0
	s_delay_alu instid0(SALU_CYCLE_1)
	s_mov_b32 s0, exec_lo
	v_cmpx_gt_u64_e64 s[2:3], v[9:10]
	s_cbranch_execnz .LBB216_22
.LBB216_18:                             ;   in Loop: Header=BB216_9 Depth=1
	s_or_b32 exec_lo, exec_lo, s0
	s_delay_alu instid0(SALU_CYCLE_1)
	s_mov_b32 s0, exec_lo
	v_cmpx_gt_u64_e64 s[2:3], v[7:8]
	s_cbranch_execnz .LBB216_23
.LBB216_19:                             ;   in Loop: Header=BB216_9 Depth=1
	s_or_b32 exec_lo, exec_lo, s0
	s_delay_alu instid0(SALU_CYCLE_1)
	s_mov_b32 s0, exec_lo
	v_cmpx_gt_u64_e64 s[2:3], v[5:6]
	s_cbranch_execz .LBB216_8
	s_branch .LBB216_24
.LBB216_20:                             ;   in Loop: Header=BB216_9 Depth=1
	v_add_co_u32 v31, vcc_lo, v15, s6
	v_add_co_ci_u32_e32 v32, vcc_lo, s7, v16, vcc_lo
	global_load_u8 v27, v[31:32], off
	s_or_b32 exec_lo, exec_lo, s0
	s_delay_alu instid0(SALU_CYCLE_1)
	s_mov_b32 s0, exec_lo
	v_cmpx_gt_u64_e64 s[2:3], v[11:12]
	s_cbranch_execz .LBB216_17
.LBB216_21:                             ;   in Loop: Header=BB216_9 Depth=1
	s_waitcnt vmcnt(0)
	v_lshlrev_b32_e32 v11, 24, v30
	s_delay_alu instid0(VALU_DEP_1) | instskip(NEXT) | instid1(VALU_DEP_1)
	v_and_b32_e32 v12, 0x7f000000, v11
	v_clz_i32_u32_e32 v31, v12
	v_add_nc_u32_e32 v33, 0x1000000, v12
	v_cmp_ne_u32_e32 vcc_lo, 0, v12
	s_delay_alu instid0(VALU_DEP_3) | instskip(NEXT) | instid1(VALU_DEP_1)
	v_min_u32_e32 v31, 32, v31
	v_sub_nc_u32_e64 v31, v31, 4 clamp
	s_delay_alu instid0(VALU_DEP_1) | instskip(SKIP_1) | instid1(VALU_DEP_2)
	v_lshlrev_b32_e32 v32, v31, v12
	v_lshlrev_b32_e32 v31, 23, v31
	v_lshrrev_b32_e32 v32, 4, v32
	s_delay_alu instid0(VALU_DEP_1) | instskip(SKIP_1) | instid1(VALU_DEP_2)
	v_sub_nc_u32_e32 v31, v32, v31
	v_ashrrev_i32_e32 v32, 8, v33
	v_add_nc_u32_e32 v31, 0x3c000000, v31
	s_delay_alu instid0(VALU_DEP_1) | instskip(NEXT) | instid1(VALU_DEP_1)
	v_and_or_b32 v31, 0x7f800000, v32, v31
	v_cndmask_b32_e32 v12, 0, v31, vcc_lo
	s_delay_alu instid0(VALU_DEP_1) | instskip(NEXT) | instid1(VALU_DEP_1)
	v_and_or_b32 v11, 0x80000000, v11, v12
	v_trunc_f32_e32 v11, v11
	s_delay_alu instid0(VALU_DEP_1) | instskip(SKIP_1) | instid1(VALU_DEP_2)
	v_mul_f32_e64 v12, 0x2f800000, |v11|
	v_ashrrev_i32_e32 v32, 31, v11
	v_floor_f32_e32 v12, v12
	s_delay_alu instid0(VALU_DEP_1) | instskip(SKIP_1) | instid1(VALU_DEP_2)
	v_fma_f32 v31, 0xcf800000, v12, |v11|
	v_cvt_u32_f32_e32 v12, v12
	v_cvt_u32_f32_e32 v11, v31
	s_delay_alu instid0(VALU_DEP_2) | instskip(NEXT) | instid1(VALU_DEP_2)
	v_xor_b32_e32 v12, v12, v32
	v_xor_b32_e32 v11, v11, v32
	s_delay_alu instid0(VALU_DEP_1) | instskip(NEXT) | instid1(VALU_DEP_3)
	v_sub_co_u32 v11, vcc_lo, v11, v32
	v_sub_co_ci_u32_e32 v12, vcc_lo, v12, v32, vcc_lo
	global_store_b64 v[1:2], v[11:12], off
	s_or_b32 exec_lo, exec_lo, s0
	s_delay_alu instid0(SALU_CYCLE_1)
	s_mov_b32 s0, exec_lo
	v_cmpx_gt_u64_e64 s[2:3], v[9:10]
	s_cbranch_execz .LBB216_18
.LBB216_22:                             ;   in Loop: Header=BB216_9 Depth=1
	s_waitcnt vmcnt(0)
	v_lshlrev_b32_e32 v9, 24, v29
	s_delay_alu instid0(VALU_DEP_1) | instskip(NEXT) | instid1(VALU_DEP_1)
	v_and_b32_e32 v10, 0x7f000000, v9
	v_clz_i32_u32_e32 v11, v10
	v_add_nc_u32_e32 v31, 0x1000000, v10
	v_cmp_ne_u32_e32 vcc_lo, 0, v10
	s_delay_alu instid0(VALU_DEP_3) | instskip(NEXT) | instid1(VALU_DEP_1)
	v_min_u32_e32 v11, 32, v11
	v_sub_nc_u32_e64 v11, v11, 4 clamp
	s_delay_alu instid0(VALU_DEP_1) | instskip(SKIP_1) | instid1(VALU_DEP_2)
	v_lshlrev_b32_e32 v12, v11, v10
	v_lshlrev_b32_e32 v11, 23, v11
	v_lshrrev_b32_e32 v12, 4, v12
	s_delay_alu instid0(VALU_DEP_1) | instskip(SKIP_1) | instid1(VALU_DEP_2)
	v_sub_nc_u32_e32 v11, v12, v11
	v_ashrrev_i32_e32 v12, 8, v31
	v_add_nc_u32_e32 v11, 0x3c000000, v11
	s_delay_alu instid0(VALU_DEP_1) | instskip(NEXT) | instid1(VALU_DEP_1)
	v_and_or_b32 v11, 0x7f800000, v12, v11
	v_cndmask_b32_e32 v10, 0, v11, vcc_lo
	s_delay_alu instid0(VALU_DEP_1) | instskip(NEXT) | instid1(VALU_DEP_1)
	v_and_or_b32 v9, 0x80000000, v9, v10
	v_trunc_f32_e32 v9, v9
	s_delay_alu instid0(VALU_DEP_1) | instskip(SKIP_1) | instid1(VALU_DEP_2)
	v_mul_f32_e64 v10, 0x2f800000, |v9|
	v_ashrrev_i32_e32 v12, 31, v9
	v_floor_f32_e32 v10, v10
	s_delay_alu instid0(VALU_DEP_1) | instskip(SKIP_1) | instid1(VALU_DEP_2)
	v_fma_f32 v11, 0xcf800000, v10, |v9|
	v_cvt_u32_f32_e32 v10, v10
	v_cvt_u32_f32_e32 v9, v11
	s_delay_alu instid0(VALU_DEP_2) | instskip(NEXT) | instid1(VALU_DEP_2)
	v_xor_b32_e32 v10, v10, v12
	v_xor_b32_e32 v9, v9, v12
	s_delay_alu instid0(VALU_DEP_1) | instskip(NEXT) | instid1(VALU_DEP_3)
	v_sub_co_u32 v9, vcc_lo, v9, v12
	v_sub_co_ci_u32_e32 v10, vcc_lo, v10, v12, vcc_lo
	global_store_b64 v[3:4], v[9:10], off
	s_or_b32 exec_lo, exec_lo, s0
	s_delay_alu instid0(SALU_CYCLE_1)
	s_mov_b32 s0, exec_lo
	v_cmpx_gt_u64_e64 s[2:3], v[7:8]
	s_cbranch_execz .LBB216_19
.LBB216_23:                             ;   in Loop: Header=BB216_9 Depth=1
	s_waitcnt vmcnt(0)
	v_lshlrev_b32_e32 v7, 24, v28
	s_delay_alu instid0(VALU_DEP_1) | instskip(NEXT) | instid1(VALU_DEP_1)
	v_and_b32_e32 v8, 0x7f000000, v7
	v_clz_i32_u32_e32 v9, v8
	v_add_nc_u32_e32 v11, 0x1000000, v8
	v_cmp_ne_u32_e32 vcc_lo, 0, v8
	s_delay_alu instid0(VALU_DEP_3) | instskip(NEXT) | instid1(VALU_DEP_1)
	v_min_u32_e32 v9, 32, v9
	v_sub_nc_u32_e64 v9, v9, 4 clamp
	s_delay_alu instid0(VALU_DEP_1) | instskip(SKIP_1) | instid1(VALU_DEP_2)
	v_lshlrev_b32_e32 v10, v9, v8
	v_lshlrev_b32_e32 v9, 23, v9
	v_lshrrev_b32_e32 v10, 4, v10
	s_delay_alu instid0(VALU_DEP_1) | instskip(SKIP_1) | instid1(VALU_DEP_2)
	v_sub_nc_u32_e32 v9, v10, v9
	v_ashrrev_i32_e32 v10, 8, v11
	v_add_nc_u32_e32 v9, 0x3c000000, v9
	s_delay_alu instid0(VALU_DEP_1) | instskip(NEXT) | instid1(VALU_DEP_1)
	v_and_or_b32 v9, 0x7f800000, v10, v9
	v_cndmask_b32_e32 v8, 0, v9, vcc_lo
	s_delay_alu instid0(VALU_DEP_1) | instskip(NEXT) | instid1(VALU_DEP_1)
	v_and_or_b32 v7, 0x80000000, v7, v8
	v_trunc_f32_e32 v7, v7
	s_delay_alu instid0(VALU_DEP_1) | instskip(SKIP_1) | instid1(VALU_DEP_2)
	v_mul_f32_e64 v8, 0x2f800000, |v7|
	v_ashrrev_i32_e32 v10, 31, v7
	v_floor_f32_e32 v8, v8
	s_delay_alu instid0(VALU_DEP_1) | instskip(SKIP_1) | instid1(VALU_DEP_2)
	v_fma_f32 v9, 0xcf800000, v8, |v7|
	v_cvt_u32_f32_e32 v8, v8
	v_cvt_u32_f32_e32 v7, v9
	s_delay_alu instid0(VALU_DEP_2) | instskip(NEXT) | instid1(VALU_DEP_2)
	v_xor_b32_e32 v8, v8, v10
	v_xor_b32_e32 v7, v7, v10
	s_delay_alu instid0(VALU_DEP_1) | instskip(NEXT) | instid1(VALU_DEP_3)
	v_sub_co_u32 v7, vcc_lo, v7, v10
	v_sub_co_ci_u32_e32 v8, vcc_lo, v8, v10, vcc_lo
	v_add_co_u32 v9, vcc_lo, v1, s8
	v_add_co_ci_u32_e32 v10, vcc_lo, 0, v2, vcc_lo
	global_store_b64 v[9:10], v[7:8], off
	s_or_b32 exec_lo, exec_lo, s0
	s_delay_alu instid0(SALU_CYCLE_1)
	s_mov_b32 s0, exec_lo
	v_cmpx_gt_u64_e64 s[2:3], v[5:6]
	s_cbranch_execz .LBB216_8
.LBB216_24:                             ;   in Loop: Header=BB216_9 Depth=1
	s_waitcnt vmcnt(0)
	v_lshlrev_b32_e32 v5, 24, v27
	s_delay_alu instid0(VALU_DEP_1) | instskip(NEXT) | instid1(VALU_DEP_1)
	v_and_b32_e32 v6, 0x7f000000, v5
	v_clz_i32_u32_e32 v7, v6
	v_cmp_ne_u32_e32 vcc_lo, 0, v6
	v_add_nc_u32_e32 v9, 0x1000000, v6
	s_delay_alu instid0(VALU_DEP_3) | instskip(NEXT) | instid1(VALU_DEP_1)
	v_min_u32_e32 v7, 32, v7
	v_sub_nc_u32_e64 v7, v7, 4 clamp
	s_delay_alu instid0(VALU_DEP_1) | instskip(SKIP_1) | instid1(VALU_DEP_2)
	v_lshlrev_b32_e32 v8, v7, v6
	v_lshlrev_b32_e32 v7, 23, v7
	v_lshrrev_b32_e32 v8, 4, v8
	s_delay_alu instid0(VALU_DEP_1) | instskip(SKIP_1) | instid1(VALU_DEP_2)
	v_sub_nc_u32_e32 v7, v8, v7
	v_ashrrev_i32_e32 v8, 8, v9
	v_add_nc_u32_e32 v7, 0x3c000000, v7
	s_delay_alu instid0(VALU_DEP_1) | instskip(NEXT) | instid1(VALU_DEP_1)
	v_and_or_b32 v7, 0x7f800000, v8, v7
	v_cndmask_b32_e32 v6, 0, v7, vcc_lo
	s_delay_alu instid0(VALU_DEP_1) | instskip(NEXT) | instid1(VALU_DEP_1)
	v_and_or_b32 v5, 0x80000000, v5, v6
	v_trunc_f32_e32 v5, v5
	s_delay_alu instid0(VALU_DEP_1) | instskip(SKIP_1) | instid1(VALU_DEP_2)
	v_mul_f32_e64 v6, 0x2f800000, |v5|
	v_ashrrev_i32_e32 v8, 31, v5
	v_floor_f32_e32 v6, v6
	s_delay_alu instid0(VALU_DEP_1) | instskip(SKIP_1) | instid1(VALU_DEP_2)
	v_fma_f32 v7, 0xcf800000, v6, |v5|
	v_cvt_u32_f32_e32 v6, v6
	v_cvt_u32_f32_e32 v5, v7
	s_delay_alu instid0(VALU_DEP_2) | instskip(NEXT) | instid1(VALU_DEP_2)
	v_xor_b32_e32 v6, v6, v8
	v_xor_b32_e32 v5, v5, v8
	s_delay_alu instid0(VALU_DEP_1) | instskip(NEXT) | instid1(VALU_DEP_3)
	v_sub_co_u32 v5, vcc_lo, v5, v8
	v_sub_co_ci_u32_e32 v6, vcc_lo, v6, v8, vcc_lo
	v_add_co_u32 v7, vcc_lo, v1, s9
	v_add_co_ci_u32_e32 v8, vcc_lo, 0, v2, vcc_lo
	global_store_b64 v[7:8], v[5:6], off
	s_branch .LBB216_8
.LBB216_25:
	s_nop 0
	s_sendmsg sendmsg(MSG_DEALLOC_VGPRS)
	s_endpgm
	.section	.rodata,"a",@progbits
	.p2align	6, 0x0
	.amdhsa_kernel _ZN2at6native12_GLOBAL__N_125multi_tensor_apply_kernelINS1_18TensorListMetadataILi2EEENS1_11CopyFunctorIlN3c1013Float8_e4m3fnELi2ELi1ELi1EEEJNS0_4CopyIlS7_EEEEEvT_T0_DpT1_
		.amdhsa_group_segment_fixed_size 0
		.amdhsa_private_segment_fixed_size 0
		.amdhsa_kernarg_size 3408
		.amdhsa_user_sgpr_count 15
		.amdhsa_user_sgpr_dispatch_ptr 0
		.amdhsa_user_sgpr_queue_ptr 0
		.amdhsa_user_sgpr_kernarg_segment_ptr 1
		.amdhsa_user_sgpr_dispatch_id 0
		.amdhsa_user_sgpr_private_segment_size 0
		.amdhsa_wavefront_size32 1
		.amdhsa_uses_dynamic_stack 0
		.amdhsa_enable_private_segment 0
		.amdhsa_system_sgpr_workgroup_id_x 1
		.amdhsa_system_sgpr_workgroup_id_y 0
		.amdhsa_system_sgpr_workgroup_id_z 0
		.amdhsa_system_sgpr_workgroup_info 0
		.amdhsa_system_vgpr_workitem_id 0
		.amdhsa_next_free_vgpr 34
		.amdhsa_next_free_sgpr 21
		.amdhsa_reserve_vcc 1
		.amdhsa_float_round_mode_32 0
		.amdhsa_float_round_mode_16_64 0
		.amdhsa_float_denorm_mode_32 3
		.amdhsa_float_denorm_mode_16_64 3
		.amdhsa_dx10_clamp 1
		.amdhsa_ieee_mode 1
		.amdhsa_fp16_overflow 0
		.amdhsa_workgroup_processor_mode 1
		.amdhsa_memory_ordered 1
		.amdhsa_forward_progress 0
		.amdhsa_shared_vgpr_count 0
		.amdhsa_exception_fp_ieee_invalid_op 0
		.amdhsa_exception_fp_denorm_src 0
		.amdhsa_exception_fp_ieee_div_zero 0
		.amdhsa_exception_fp_ieee_overflow 0
		.amdhsa_exception_fp_ieee_underflow 0
		.amdhsa_exception_fp_ieee_inexact 0
		.amdhsa_exception_int_div_zero 0
	.end_amdhsa_kernel
	.section	.text._ZN2at6native12_GLOBAL__N_125multi_tensor_apply_kernelINS1_18TensorListMetadataILi2EEENS1_11CopyFunctorIlN3c1013Float8_e4m3fnELi2ELi1ELi1EEEJNS0_4CopyIlS7_EEEEEvT_T0_DpT1_,"axG",@progbits,_ZN2at6native12_GLOBAL__N_125multi_tensor_apply_kernelINS1_18TensorListMetadataILi2EEENS1_11CopyFunctorIlN3c1013Float8_e4m3fnELi2ELi1ELi1EEEJNS0_4CopyIlS7_EEEEEvT_T0_DpT1_,comdat
.Lfunc_end216:
	.size	_ZN2at6native12_GLOBAL__N_125multi_tensor_apply_kernelINS1_18TensorListMetadataILi2EEENS1_11CopyFunctorIlN3c1013Float8_e4m3fnELi2ELi1ELi1EEEJNS0_4CopyIlS7_EEEEEvT_T0_DpT1_, .Lfunc_end216-_ZN2at6native12_GLOBAL__N_125multi_tensor_apply_kernelINS1_18TensorListMetadataILi2EEENS1_11CopyFunctorIlN3c1013Float8_e4m3fnELi2ELi1ELi1EEEJNS0_4CopyIlS7_EEEEEvT_T0_DpT1_
                                        ; -- End function
	.section	.AMDGPU.csdata,"",@progbits
; Kernel info:
; codeLenInByte = 2880
; NumSgprs: 23
; NumVgprs: 34
; ScratchSize: 0
; MemoryBound: 0
; FloatMode: 240
; IeeeMode: 1
; LDSByteSize: 0 bytes/workgroup (compile time only)
; SGPRBlocks: 2
; VGPRBlocks: 4
; NumSGPRsForWavesPerEU: 23
; NumVGPRsForWavesPerEU: 34
; Occupancy: 16
; WaveLimiterHint : 0
; COMPUTE_PGM_RSRC2:SCRATCH_EN: 0
; COMPUTE_PGM_RSRC2:USER_SGPR: 15
; COMPUTE_PGM_RSRC2:TRAP_HANDLER: 0
; COMPUTE_PGM_RSRC2:TGID_X_EN: 1
; COMPUTE_PGM_RSRC2:TGID_Y_EN: 0
; COMPUTE_PGM_RSRC2:TGID_Z_EN: 0
; COMPUTE_PGM_RSRC2:TIDIG_COMP_CNT: 0
	.section	.text._ZN2at6native12_GLOBAL__N_125multi_tensor_apply_kernelINS1_18TensorListMetadataILi2EEENS1_11CopyFunctorIlN3c1015Float8_e4m3fnuzELi2ELi1ELi1EEEJNS0_4CopyIlS7_EEEEEvT_T0_DpT1_,"axG",@progbits,_ZN2at6native12_GLOBAL__N_125multi_tensor_apply_kernelINS1_18TensorListMetadataILi2EEENS1_11CopyFunctorIlN3c1015Float8_e4m3fnuzELi2ELi1ELi1EEEJNS0_4CopyIlS7_EEEEEvT_T0_DpT1_,comdat
	.globl	_ZN2at6native12_GLOBAL__N_125multi_tensor_apply_kernelINS1_18TensorListMetadataILi2EEENS1_11CopyFunctorIlN3c1015Float8_e4m3fnuzELi2ELi1ELi1EEEJNS0_4CopyIlS7_EEEEEvT_T0_DpT1_ ; -- Begin function _ZN2at6native12_GLOBAL__N_125multi_tensor_apply_kernelINS1_18TensorListMetadataILi2EEENS1_11CopyFunctorIlN3c1015Float8_e4m3fnuzELi2ELi1ELi1EEEJNS0_4CopyIlS7_EEEEEvT_T0_DpT1_
	.p2align	8
	.type	_ZN2at6native12_GLOBAL__N_125multi_tensor_apply_kernelINS1_18TensorListMetadataILi2EEENS1_11CopyFunctorIlN3c1015Float8_e4m3fnuzELi2ELi1ELi1EEEJNS0_4CopyIlS7_EEEEEvT_T0_DpT1_,@function
_ZN2at6native12_GLOBAL__N_125multi_tensor_apply_kernelINS1_18TensorListMetadataILi2EEENS1_11CopyFunctorIlN3c1015Float8_e4m3fnuzELi2ELi1ELi1EEEJNS0_4CopyIlS7_EEEEEvT_T0_DpT1_: ; @_ZN2at6native12_GLOBAL__N_125multi_tensor_apply_kernelINS1_18TensorListMetadataILi2EEENS1_11CopyFunctorIlN3c1015Float8_e4m3fnuzELi2ELi1ELi1EEEJNS0_4CopyIlS7_EEEEEvT_T0_DpT1_
; %bb.0:
	v_mov_b32_e32 v1, s15
	s_add_u32 s2, s0, s15
	s_mul_hi_u32 s3, s15, 3
	s_mul_i32 s15, s15, 3
	s_addc_u32 s4, s1, 0
	global_load_u8 v1, v1, s[0:1] offset:1536
	s_add_u32 s2, s2, s15
	s_addc_u32 s3, s4, s3
	s_load_b32 s10, s[2:3], 0x740
	s_waitcnt lgkmcnt(0)
	s_ashr_i32 s11, s10, 31
	s_delay_alu instid0(SALU_CYCLE_1) | instskip(SKIP_2) | instid1(VALU_DEP_1)
	s_lshl_b64 s[8:9], s[10:11], 16
	s_waitcnt vmcnt(0)
	v_readfirstlane_b32 s5, v1
	s_lshl_b32 s2, s5, 3
	s_mov_b32 s5, 0
	s_clause 0x2
	s_load_b64 s[6:7], s[0:1], s2 offset:0x0
	s_load_b64 s[12:13], s[0:1], s2 offset:0x200
	;; [unrolled: 1-line block ×3, first 2 shown]
	s_waitcnt lgkmcnt(0)
	s_add_u32 s14, s6, s8
	s_addc_u32 s15, s7, s9
	s_and_b32 s16, s12, 31
	s_and_b32 s17, s2, 3
	;; [unrolled: 1-line block ×3, first 2 shown]
	s_or_b32 s16, s17, s16
	s_mov_b32 s17, s5
	s_delay_alu instid0(SALU_CYCLE_1)
	s_or_b64 s[16:17], s[4:5], s[16:17]
	s_sub_u32 s4, s2, s8
	s_subb_u32 s5, s3, s9
	s_cmp_eq_u64 s[16:17], 0
	s_mov_b32 s2, -1
	s_cbranch_scc0 .LBB217_29
; %bb.1:
	v_dual_mov_b32 v10, 0 :: v_dual_lshlrev_b32 v9, 2, v0
	s_mov_b32 s16, exec_lo
	s_delay_alu instid0(VALU_DEP_1)
	v_cmpx_gt_i64_e64 s[4:5], v[9:10]
	s_cbranch_execz .LBB217_28
; %bb.2:
	s_load_b32 s17, s[0:1], 0xc5c
	v_lshlrev_b32_e32 v1, 5, v0
	s_lshl_b64 s[2:3], s[10:11], 19
	s_mov_b32 s18, 0
	s_waitcnt lgkmcnt(0)
	s_and_b32 s19, s17, 0xffff
	s_delay_alu instid0(SALU_CYCLE_1) | instskip(SKIP_3) | instid1(VALU_DEP_1)
	s_lshl_b32 s17, s19, 2
	s_add_u32 s2, s12, s2
	s_addc_u32 s3, s13, s3
	v_add_co_u32 v11, s2, s2, v1
	v_add_co_ci_u32_e64 v12, null, s3, 0, s2
	s_lshl_b32 s19, s19, 5
	s_branch .LBB217_4
.LBB217_3:                              ;   in Loop: Header=BB217_4 Depth=1
	s_or_b32 exec_lo, exec_lo, s2
	v_add_co_u32 v9, vcc_lo, s17, v9
	v_add_co_ci_u32_e32 v10, vcc_lo, 0, v10, vcc_lo
	s_clause 0x1
	global_store_b128 v[11:12], v[1:4], off
	global_store_b128 v[11:12], v[5:8], off offset:16
	v_cmp_le_i64_e32 vcc_lo, s[4:5], v[9:10]
	v_cmp_lt_u64_e64 s2, 0xffff, v[9:10]
	s_delay_alu instid0(VALU_DEP_1) | instskip(SKIP_3) | instid1(SALU_CYCLE_1)
	s_or_b32 s2, vcc_lo, s2
	v_add_co_u32 v11, vcc_lo, v11, s19
	v_add_co_ci_u32_e32 v12, vcc_lo, 0, v12, vcc_lo
	s_and_b32 s2, exec_lo, s2
	s_or_b32 s18, s2, s18
	s_delay_alu instid0(SALU_CYCLE_1)
	s_and_not1_b32 exec_lo, exec_lo, s18
	s_cbranch_execz .LBB217_28
.LBB217_4:                              ; =>This Inner Loop Header: Depth=1
	v_add_co_u32 v1, vcc_lo, s14, v9
	v_add_co_ci_u32_e32 v2, vcc_lo, s15, v10, vcc_lo
	s_mov_b32 s20, 0
	s_mov_b32 s21, exec_lo
                                        ; implicit-def: $sgpr2_sgpr3
	global_load_b32 v13, v[1:2], off
	s_waitcnt vmcnt(0)
	v_and_b32_e32 v3, 0xff, v13
	s_delay_alu instid0(VALU_DEP_1)
	v_cmpx_lt_i16_e32 0x7f, v3
	s_xor_b32 s21, exec_lo, s21
; %bb.5:                                ;   in Loop: Header=BB217_4 Depth=1
	v_cmp_ne_u16_e32 vcc_lo, 0x80, v3
	s_mov_b64 s[2:3], 0
                                        ; implicit-def: $vgpr3
	s_and_b32 s20, vcc_lo, exec_lo
; %bb.6:                                ;   in Loop: Header=BB217_4 Depth=1
	s_or_saveexec_b32 s21, s21
	v_dual_mov_b32 v1, s2 :: v_dual_mov_b32 v2, s3
	s_xor_b32 exec_lo, exec_lo, s21
; %bb.7:                                ;   in Loop: Header=BB217_4 Depth=1
	v_cmp_ne_u16_e32 vcc_lo, 0, v3
	v_mov_b32_e32 v1, 0
	v_mov_b32_e32 v2, 0
	s_and_not1_b32 s2, s20, exec_lo
	s_and_b32 s3, vcc_lo, exec_lo
	s_delay_alu instid0(SALU_CYCLE_1)
	s_or_b32 s20, s2, s3
; %bb.8:                                ;   in Loop: Header=BB217_4 Depth=1
	s_or_b32 exec_lo, exec_lo, s21
	s_and_saveexec_b32 s2, s20
	s_cbranch_execz .LBB217_10
; %bb.9:                                ;   in Loop: Header=BB217_4 Depth=1
	v_bfe_u32 v4, v13, 3, 4
	v_lshlrev_b32_e32 v5, 24, v13
	s_delay_alu instid0(VALU_DEP_2) | instskip(SKIP_1) | instid1(VALU_DEP_1)
	v_cmp_eq_u32_e32 vcc_lo, 0, v4
	v_and_b32_e32 v1, 7, v13
	v_clz_i32_u32_e32 v2, v1
	s_delay_alu instid0(VALU_DEP_1) | instskip(NEXT) | instid1(VALU_DEP_1)
	v_min_u32_e32 v2, 32, v2
	v_subrev_nc_u32_e32 v3, 28, v2
	v_sub_nc_u32_e32 v2, 29, v2
	s_delay_alu instid0(VALU_DEP_1) | instskip(NEXT) | instid1(VALU_DEP_1)
	v_dual_cndmask_b32 v2, v4, v2 :: v_dual_lshlrev_b32 v3, v3, v13
	v_and_b32_e32 v3, 7, v3
	s_delay_alu instid0(VALU_DEP_2) | instskip(NEXT) | instid1(VALU_DEP_2)
	v_lshl_add_u32 v2, v2, 23, 0x3b800000
	v_cndmask_b32_e32 v1, v1, v3, vcc_lo
	v_and_b32_e32 v3, 0x80000000, v5
	s_delay_alu instid0(VALU_DEP_2) | instskip(NEXT) | instid1(VALU_DEP_1)
	v_lshlrev_b32_e32 v1, 20, v1
	v_or3_b32 v1, v3, v2, v1
	s_delay_alu instid0(VALU_DEP_1) | instskip(NEXT) | instid1(VALU_DEP_1)
	v_trunc_f32_e32 v1, v1
	v_mul_f32_e64 v2, 0x2f800000, |v1|
	v_ashrrev_i32_e32 v4, 31, v1
	s_delay_alu instid0(VALU_DEP_2) | instskip(NEXT) | instid1(VALU_DEP_1)
	v_floor_f32_e32 v2, v2
	v_fma_f32 v3, 0xcf800000, v2, |v1|
	v_cvt_u32_f32_e32 v2, v2
	s_delay_alu instid0(VALU_DEP_2) | instskip(NEXT) | instid1(VALU_DEP_2)
	v_cvt_u32_f32_e32 v1, v3
	v_xor_b32_e32 v2, v2, v4
	s_delay_alu instid0(VALU_DEP_2) | instskip(NEXT) | instid1(VALU_DEP_1)
	v_xor_b32_e32 v1, v1, v4
	v_sub_co_u32 v1, vcc_lo, v1, v4
	s_delay_alu instid0(VALU_DEP_3)
	v_sub_co_ci_u32_e32 v2, vcc_lo, v2, v4, vcc_lo
.LBB217_10:                             ;   in Loop: Header=BB217_4 Depth=1
	s_or_b32 exec_lo, exec_lo, s2
	v_lshrrev_b32_e32 v5, 8, v13
	s_mov_b32 s20, 0
	s_mov_b32 s21, exec_lo
                                        ; implicit-def: $sgpr2_sgpr3
	s_delay_alu instid0(VALU_DEP_1) | instskip(NEXT) | instid1(VALU_DEP_1)
	v_and_b32_e32 v6, 0xff, v5
	v_cmpx_lt_i16_e32 0x7f, v6
	s_xor_b32 s21, exec_lo, s21
; %bb.11:                               ;   in Loop: Header=BB217_4 Depth=1
	v_cmp_ne_u16_e32 vcc_lo, 0x80, v6
	s_mov_b64 s[2:3], 0
                                        ; implicit-def: $vgpr6
	s_and_b32 s20, vcc_lo, exec_lo
; %bb.12:                               ;   in Loop: Header=BB217_4 Depth=1
	s_or_saveexec_b32 s21, s21
	v_dual_mov_b32 v4, s3 :: v_dual_mov_b32 v3, s2
	s_xor_b32 exec_lo, exec_lo, s21
; %bb.13:                               ;   in Loop: Header=BB217_4 Depth=1
	v_cmp_ne_u16_e32 vcc_lo, 0, v6
	v_mov_b32_e32 v3, 0
	v_mov_b32_e32 v4, 0
	s_and_not1_b32 s2, s20, exec_lo
	s_and_b32 s3, vcc_lo, exec_lo
	s_delay_alu instid0(SALU_CYCLE_1)
	s_or_b32 s20, s2, s3
; %bb.14:                               ;   in Loop: Header=BB217_4 Depth=1
	s_or_b32 exec_lo, exec_lo, s21
	s_and_saveexec_b32 s2, s20
	s_cbranch_execz .LBB217_16
; %bb.15:                               ;   in Loop: Header=BB217_4 Depth=1
	v_bfe_u32 v3, v13, 8, 3
	v_bfe_u32 v7, v13, 11, 4
	s_delay_alu instid0(VALU_DEP_2) | instskip(NEXT) | instid1(VALU_DEP_2)
	v_clz_i32_u32_e32 v4, v3
	v_cmp_eq_u32_e32 vcc_lo, 0, v7
	s_delay_alu instid0(VALU_DEP_2) | instskip(NEXT) | instid1(VALU_DEP_1)
	v_min_u32_e32 v4, 32, v4
	v_subrev_nc_u32_e32 v6, 28, v4
	v_sub_nc_u32_e32 v4, 29, v4
	s_delay_alu instid0(VALU_DEP_2) | instskip(NEXT) | instid1(VALU_DEP_2)
	v_lshlrev_b32_e32 v6, v6, v5
	v_dual_cndmask_b32 v4, v7, v4 :: v_dual_lshlrev_b32 v5, 24, v5
	s_delay_alu instid0(VALU_DEP_2) | instskip(NEXT) | instid1(VALU_DEP_2)
	v_and_b32_e32 v6, 7, v6
	v_and_b32_e32 v5, 0x80000000, v5
	s_delay_alu instid0(VALU_DEP_3) | instskip(NEXT) | instid1(VALU_DEP_3)
	v_lshl_add_u32 v4, v4, 23, 0x3b800000
	v_cndmask_b32_e32 v3, v3, v6, vcc_lo
	s_delay_alu instid0(VALU_DEP_1) | instskip(NEXT) | instid1(VALU_DEP_1)
	v_lshlrev_b32_e32 v3, 20, v3
	v_or3_b32 v3, v5, v4, v3
	s_delay_alu instid0(VALU_DEP_1) | instskip(NEXT) | instid1(VALU_DEP_1)
	v_trunc_f32_e32 v3, v3
	v_mul_f32_e64 v4, 0x2f800000, |v3|
	v_ashrrev_i32_e32 v6, 31, v3
	s_delay_alu instid0(VALU_DEP_2) | instskip(NEXT) | instid1(VALU_DEP_1)
	v_floor_f32_e32 v4, v4
	v_fma_f32 v5, 0xcf800000, v4, |v3|
	v_cvt_u32_f32_e32 v4, v4
	s_delay_alu instid0(VALU_DEP_2) | instskip(NEXT) | instid1(VALU_DEP_2)
	v_cvt_u32_f32_e32 v3, v5
	v_xor_b32_e32 v4, v4, v6
	s_delay_alu instid0(VALU_DEP_2) | instskip(NEXT) | instid1(VALU_DEP_1)
	v_xor_b32_e32 v3, v3, v6
	v_sub_co_u32 v3, vcc_lo, v3, v6
	s_delay_alu instid0(VALU_DEP_3)
	v_sub_co_ci_u32_e32 v4, vcc_lo, v4, v6, vcc_lo
.LBB217_16:                             ;   in Loop: Header=BB217_4 Depth=1
	s_or_b32 exec_lo, exec_lo, s2
	v_lshrrev_b32_e32 v7, 16, v13
	s_mov_b32 s20, 0
	s_mov_b32 s21, exec_lo
                                        ; implicit-def: $sgpr2_sgpr3
	s_delay_alu instid0(VALU_DEP_1) | instskip(NEXT) | instid1(VALU_DEP_1)
	v_and_b32_e32 v8, 0xff, v7
	v_cmpx_lt_i16_e32 0x7f, v8
	s_xor_b32 s21, exec_lo, s21
; %bb.17:                               ;   in Loop: Header=BB217_4 Depth=1
	v_cmp_ne_u16_e32 vcc_lo, 0x80, v8
	s_mov_b64 s[2:3], 0
                                        ; implicit-def: $vgpr8
	s_and_b32 s20, vcc_lo, exec_lo
; %bb.18:                               ;   in Loop: Header=BB217_4 Depth=1
	s_or_saveexec_b32 s21, s21
	v_dual_mov_b32 v6, s3 :: v_dual_mov_b32 v5, s2
	s_xor_b32 exec_lo, exec_lo, s21
; %bb.19:                               ;   in Loop: Header=BB217_4 Depth=1
	v_cmp_ne_u16_e32 vcc_lo, 0, v8
	v_mov_b32_e32 v5, 0
	v_mov_b32_e32 v6, 0
	s_and_not1_b32 s2, s20, exec_lo
	s_and_b32 s3, vcc_lo, exec_lo
	s_delay_alu instid0(SALU_CYCLE_1)
	s_or_b32 s20, s2, s3
; %bb.20:                               ;   in Loop: Header=BB217_4 Depth=1
	s_or_b32 exec_lo, exec_lo, s21
	s_and_saveexec_b32 s2, s20
	s_cbranch_execz .LBB217_22
; %bb.21:                               ;   in Loop: Header=BB217_4 Depth=1
	v_bfe_u32 v5, v13, 16, 3
	v_bfe_u32 v14, v13, 19, 4
	s_delay_alu instid0(VALU_DEP_2) | instskip(NEXT) | instid1(VALU_DEP_2)
	v_clz_i32_u32_e32 v6, v5
	v_cmp_eq_u32_e32 vcc_lo, 0, v14
	s_delay_alu instid0(VALU_DEP_2) | instskip(NEXT) | instid1(VALU_DEP_1)
	v_min_u32_e32 v6, 32, v6
	v_subrev_nc_u32_e32 v8, 28, v6
	v_sub_nc_u32_e32 v6, 29, v6
	s_delay_alu instid0(VALU_DEP_2) | instskip(NEXT) | instid1(VALU_DEP_2)
	v_lshlrev_b32_e32 v8, v8, v7
	v_dual_cndmask_b32 v6, v14, v6 :: v_dual_lshlrev_b32 v7, 24, v7
	s_delay_alu instid0(VALU_DEP_2) | instskip(NEXT) | instid1(VALU_DEP_2)
	v_and_b32_e32 v8, 7, v8
	v_and_b32_e32 v7, 0x80000000, v7
	s_delay_alu instid0(VALU_DEP_3) | instskip(NEXT) | instid1(VALU_DEP_3)
	v_lshl_add_u32 v6, v6, 23, 0x3b800000
	v_cndmask_b32_e32 v5, v5, v8, vcc_lo
	s_delay_alu instid0(VALU_DEP_1) | instskip(NEXT) | instid1(VALU_DEP_1)
	v_lshlrev_b32_e32 v5, 20, v5
	v_or3_b32 v5, v7, v6, v5
	s_delay_alu instid0(VALU_DEP_1) | instskip(NEXT) | instid1(VALU_DEP_1)
	v_trunc_f32_e32 v5, v5
	v_mul_f32_e64 v6, 0x2f800000, |v5|
	v_ashrrev_i32_e32 v8, 31, v5
	s_delay_alu instid0(VALU_DEP_2) | instskip(NEXT) | instid1(VALU_DEP_1)
	v_floor_f32_e32 v6, v6
	v_fma_f32 v7, 0xcf800000, v6, |v5|
	v_cvt_u32_f32_e32 v6, v6
	s_delay_alu instid0(VALU_DEP_2) | instskip(NEXT) | instid1(VALU_DEP_2)
	v_cvt_u32_f32_e32 v5, v7
	v_xor_b32_e32 v6, v6, v8
	s_delay_alu instid0(VALU_DEP_2) | instskip(NEXT) | instid1(VALU_DEP_1)
	v_xor_b32_e32 v5, v5, v8
	v_sub_co_u32 v5, vcc_lo, v5, v8
	s_delay_alu instid0(VALU_DEP_3)
	v_sub_co_ci_u32_e32 v6, vcc_lo, v6, v8, vcc_lo
.LBB217_22:                             ;   in Loop: Header=BB217_4 Depth=1
	s_or_b32 exec_lo, exec_lo, s2
	v_lshrrev_b32_e32 v14, 24, v13
	s_mov_b32 s20, 0
	s_mov_b32 s21, exec_lo
                                        ; implicit-def: $sgpr2_sgpr3
	s_delay_alu instid0(VALU_DEP_1)
	v_cmpx_lt_i16_e32 0x7f, v14
	s_xor_b32 s21, exec_lo, s21
; %bb.23:                               ;   in Loop: Header=BB217_4 Depth=1
	v_cmp_ne_u16_e32 vcc_lo, 0x80, v14
	s_mov_b64 s[2:3], 0
	s_and_b32 s20, vcc_lo, exec_lo
; %bb.24:                               ;   in Loop: Header=BB217_4 Depth=1
	s_or_saveexec_b32 s21, s21
	v_dual_mov_b32 v8, s3 :: v_dual_mov_b32 v7, s2
	s_xor_b32 exec_lo, exec_lo, s21
; %bb.25:                               ;   in Loop: Header=BB217_4 Depth=1
	v_cmp_ne_u16_e32 vcc_lo, 0, v14
	v_mov_b32_e32 v7, 0
	v_mov_b32_e32 v8, 0
	s_and_not1_b32 s2, s20, exec_lo
	s_and_b32 s3, vcc_lo, exec_lo
	s_delay_alu instid0(SALU_CYCLE_1)
	s_or_b32 s20, s2, s3
; %bb.26:                               ;   in Loop: Header=BB217_4 Depth=1
	s_or_b32 exec_lo, exec_lo, s21
	s_and_saveexec_b32 s2, s20
	s_cbranch_execz .LBB217_3
; %bb.27:                               ;   in Loop: Header=BB217_4 Depth=1
	v_bfe_u32 v7, v13, 24, 3
	s_delay_alu instid0(VALU_DEP_1) | instskip(NEXT) | instid1(VALU_DEP_1)
	v_clz_i32_u32_e32 v8, v7
	v_min_u32_e32 v8, 32, v8
	s_delay_alu instid0(VALU_DEP_1) | instskip(SKIP_1) | instid1(VALU_DEP_2)
	v_subrev_nc_u32_e32 v15, 28, v8
	v_sub_nc_u32_e32 v8, 29, v8
	v_lshlrev_b32_e32 v14, v15, v14
	v_bfe_u32 v15, v13, 27, 4
	v_and_b32_e32 v13, 0x80000000, v13
	s_delay_alu instid0(VALU_DEP_3) | instskip(NEXT) | instid1(VALU_DEP_3)
	v_and_b32_e32 v14, 7, v14
	v_cmp_eq_u32_e32 vcc_lo, 0, v15
	v_cndmask_b32_e32 v8, v15, v8, vcc_lo
	s_delay_alu instid0(VALU_DEP_3) | instskip(NEXT) | instid1(VALU_DEP_2)
	v_cndmask_b32_e32 v7, v7, v14, vcc_lo
	v_lshl_add_u32 v8, v8, 23, 0x3b800000
	s_delay_alu instid0(VALU_DEP_2) | instskip(NEXT) | instid1(VALU_DEP_1)
	v_lshlrev_b32_e32 v7, 20, v7
	v_or3_b32 v7, v13, v8, v7
	s_delay_alu instid0(VALU_DEP_1) | instskip(NEXT) | instid1(VALU_DEP_1)
	v_trunc_f32_e32 v7, v7
	v_mul_f32_e64 v8, 0x2f800000, |v7|
	v_ashrrev_i32_e32 v14, 31, v7
	s_delay_alu instid0(VALU_DEP_2) | instskip(NEXT) | instid1(VALU_DEP_1)
	v_floor_f32_e32 v8, v8
	v_fma_f32 v13, 0xcf800000, v8, |v7|
	v_cvt_u32_f32_e32 v8, v8
	s_delay_alu instid0(VALU_DEP_2) | instskip(NEXT) | instid1(VALU_DEP_2)
	v_cvt_u32_f32_e32 v7, v13
	v_xor_b32_e32 v8, v8, v14
	s_delay_alu instid0(VALU_DEP_2) | instskip(NEXT) | instid1(VALU_DEP_1)
	v_xor_b32_e32 v7, v7, v14
	v_sub_co_u32 v7, vcc_lo, v7, v14
	s_delay_alu instid0(VALU_DEP_3)
	v_sub_co_ci_u32_e32 v8, vcc_lo, v8, v14, vcc_lo
	s_branch .LBB217_3
.LBB217_28:
	s_or_b32 exec_lo, exec_lo, s16
	s_mov_b32 s2, 0
.LBB217_29:
	s_delay_alu instid0(SALU_CYCLE_1)
	s_and_not1_b32 vcc_lo, exec_lo, s2
	s_cbranch_vccnz .LBB217_73
; %bb.30:
	v_cmp_lt_i64_e64 s2, s[4:5], 1
	s_delay_alu instid0(VALU_DEP_1)
	s_and_b32 vcc_lo, exec_lo, s2
	s_cbranch_vccnz .LBB217_73
; %bb.31:
	s_load_b32 s0, s[0:1], 0xc5c
	v_cmp_gt_u64_e64 s1, 0x10000, s[4:5]
	v_add_co_u32 v3, s2, s8, v0
	v_lshlrev_b32_e32 v1, 3, v0
	v_add_co_ci_u32_e64 v4, null, s9, 0, s2
	s_delay_alu instid0(VALU_DEP_3) | instskip(NEXT) | instid1(VALU_DEP_2)
	v_add_co_u32 v21, vcc_lo, s6, v3
                                        ; implicit-def: $vgpr35
                                        ; implicit-def: $vgpr36
                                        ; implicit-def: $vgpr37
                                        ; implicit-def: $vgpr38
	v_add_co_ci_u32_e32 v22, vcc_lo, s7, v4, vcc_lo
	s_waitcnt lgkmcnt(0)
	s_and_b32 s14, s0, 0xffff
	s_and_b32 s0, s1, exec_lo
	s_cselect_b32 s3, s5, 0
	s_cselect_b32 s2, s4, 0x10000
	s_lshl_b64 s[0:1], s[10:11], 19
	s_lshl_b32 s15, s14, 1
	s_lshl_b32 s10, s14, 2
	s_add_u32 s0, s12, s0
	s_mul_i32 s16, s14, 3
	s_addc_u32 s1, s13, s1
	s_lshl_b32 s11, s14, 5
	v_add_co_u32 v1, s13, s0, v1
	s_add_u32 s12, s8, s16
	v_add_co_ci_u32_e64 v2, null, s1, 0, s13
	s_addc_u32 s13, s9, 0
	s_add_u32 s12, s6, s12
	s_addc_u32 s13, s7, s13
	s_add_u32 s8, s8, s15
	;; [unrolled: 2-line block ×3, first 2 shown]
	s_addc_u32 s9, s7, s9
	v_add_co_u32 v27, s8, s8, v0
	s_delay_alu instid0(VALU_DEP_1) | instskip(SKIP_1) | instid1(VALU_DEP_1)
	v_add_co_ci_u32_e64 v28, null, s9, 0, s8
	v_add_co_u32 v29, s9, s15, v0
	v_add_co_ci_u32_e64 v30, null, 0, 0, s9
	v_add_co_u32 v31, s9, v0, s14
	s_lshl_b32 s8, s14, 4
	v_add_co_u32 v23, s12, s12, v0
	s_delay_alu instid0(VALU_DEP_2)
	v_lshlrev_b32_e32 v5, 3, v31
	s_add_u32 s6, s6, s14
	v_add_co_ci_u32_e64 v24, null, s13, 0, s12
	v_add_co_u32 v25, s12, s16, v0
	s_addc_u32 s7, s7, 0
	v_add_co_u32 v33, vcc_lo, s6, v3
	v_add_co_u32 v3, s0, s0, v5
	v_add_co_ci_u32_e64 v26, null, 0, 0, s12
	v_add_co_ci_u32_e64 v32, null, 0, 0, s9
	v_add_co_ci_u32_e32 v34, vcc_lo, s7, v4, vcc_lo
	v_add_co_ci_u32_e64 v4, null, s1, 0, s0
	s_mul_i32 s9, s14, 24
	s_mov_b64 s[6:7], 0
	s_branch .LBB217_33
.LBB217_32:                             ;   in Loop: Header=BB217_33 Depth=1
	s_or_b32 exec_lo, exec_lo, s0
	s_add_u32 s6, s6, s10
	s_addc_u32 s7, s7, 0
	v_add_co_u32 v1, vcc_lo, v1, s11
	v_cmp_ge_i64_e64 s0, s[6:7], s[4:5]
	v_cmp_lt_u64_e64 s1, 0xffff, s[6:7]
	v_add_co_ci_u32_e32 v2, vcc_lo, 0, v2, vcc_lo
	v_add_co_u32 v3, vcc_lo, v3, s11
	v_add_co_ci_u32_e32 v4, vcc_lo, 0, v4, vcc_lo
	s_delay_alu instid0(VALU_DEP_4) | instskip(NEXT) | instid1(SALU_CYCLE_1)
	s_or_b32 s0, s0, s1
	s_and_b32 vcc_lo, exec_lo, s0
	s_cbranch_vccnz .LBB217_73
.LBB217_33:                             ; =>This Inner Loop Header: Depth=1
	v_add_co_u32 v5, s0, v0, s6
	s_delay_alu instid0(VALU_DEP_1) | instskip(NEXT) | instid1(VALU_DEP_1)
	v_add_co_ci_u32_e64 v6, null, 0, s7, s0
	v_cmp_gt_i64_e32 vcc_lo, s[4:5], v[5:6]
	v_cmp_gt_u64_e64 s0, 0x10000, v[5:6]
	s_delay_alu instid0(VALU_DEP_1) | instskip(NEXT) | instid1(SALU_CYCLE_1)
	s_and_b32 s1, vcc_lo, s0
	s_and_saveexec_b32 s0, s1
	s_cbranch_execz .LBB217_35
; %bb.34:                               ;   in Loop: Header=BB217_33 Depth=1
	v_add_co_u32 v7, vcc_lo, v21, s6
	v_add_co_ci_u32_e32 v8, vcc_lo, s7, v22, vcc_lo
	global_load_u8 v38, v[7:8], off
.LBB217_35:                             ;   in Loop: Header=BB217_33 Depth=1
	s_or_b32 exec_lo, exec_lo, s0
	v_add_co_u32 v7, vcc_lo, v31, s6
	v_add_co_ci_u32_e32 v8, vcc_lo, s7, v32, vcc_lo
	s_delay_alu instid0(VALU_DEP_1) | instskip(SKIP_1) | instid1(VALU_DEP_1)
	v_cmp_gt_i64_e32 vcc_lo, s[4:5], v[7:8]
	v_cmp_gt_u64_e64 s0, 0x10000, v[7:8]
	s_and_b32 s1, vcc_lo, s0
	s_delay_alu instid0(SALU_CYCLE_1)
	s_and_saveexec_b32 s0, s1
	s_cbranch_execz .LBB217_37
; %bb.36:                               ;   in Loop: Header=BB217_33 Depth=1
	v_add_co_u32 v9, vcc_lo, v33, s6
	v_add_co_ci_u32_e32 v10, vcc_lo, s7, v34, vcc_lo
	global_load_u8 v37, v[9:10], off
.LBB217_37:                             ;   in Loop: Header=BB217_33 Depth=1
	s_or_b32 exec_lo, exec_lo, s0
	v_add_co_u32 v9, vcc_lo, v29, s6
	v_add_co_ci_u32_e32 v10, vcc_lo, s7, v30, vcc_lo
	s_delay_alu instid0(VALU_DEP_1) | instskip(SKIP_1) | instid1(VALU_DEP_1)
	v_cmp_gt_i64_e32 vcc_lo, s[4:5], v[9:10]
	v_cmp_gt_u64_e64 s0, 0x10000, v[9:10]
	s_and_b32 s1, vcc_lo, s0
	s_delay_alu instid0(SALU_CYCLE_1)
	s_and_saveexec_b32 s0, s1
	s_cbranch_execz .LBB217_39
; %bb.38:                               ;   in Loop: Header=BB217_33 Depth=1
	v_add_co_u32 v11, vcc_lo, v27, s6
	v_add_co_ci_u32_e32 v12, vcc_lo, s7, v28, vcc_lo
	global_load_u8 v36, v[11:12], off
.LBB217_39:                             ;   in Loop: Header=BB217_33 Depth=1
	s_or_b32 exec_lo, exec_lo, s0
	v_add_co_u32 v11, vcc_lo, v25, s6
	v_add_co_ci_u32_e32 v12, vcc_lo, s7, v26, vcc_lo
	s_delay_alu instid0(VALU_DEP_1) | instskip(SKIP_1) | instid1(VALU_DEP_1)
	v_cmp_gt_i64_e32 vcc_lo, s[4:5], v[11:12]
	v_cmp_gt_u64_e64 s0, 0x10000, v[11:12]
	s_and_b32 s1, vcc_lo, s0
	s_delay_alu instid0(SALU_CYCLE_1)
	s_and_saveexec_b32 s0, s1
	s_cbranch_execz .LBB217_41
; %bb.40:                               ;   in Loop: Header=BB217_33 Depth=1
	v_add_co_u32 v13, vcc_lo, v23, s6
	v_add_co_ci_u32_e32 v14, vcc_lo, s7, v24, vcc_lo
	global_load_u8 v35, v[13:14], off
.LBB217_41:                             ;   in Loop: Header=BB217_33 Depth=1
	s_or_b32 exec_lo, exec_lo, s0
	s_waitcnt vmcnt(0)
	v_and_b32_e32 v15, 0xff, v38
	s_mov_b32 s12, 0
	s_mov_b32 s13, exec_lo
                                        ; implicit-def: $sgpr0_sgpr1
	s_delay_alu instid0(VALU_DEP_1)
	v_cmpx_lt_i16_e32 0x7f, v15
	s_xor_b32 s13, exec_lo, s13
; %bb.42:                               ;   in Loop: Header=BB217_33 Depth=1
	v_cmp_ne_u16_e32 vcc_lo, 0x80, v15
	s_mov_b64 s[0:1], 0
                                        ; implicit-def: $vgpr15
	s_and_b32 s12, vcc_lo, exec_lo
; %bb.43:                               ;   in Loop: Header=BB217_33 Depth=1
	s_or_saveexec_b32 s13, s13
	v_dual_mov_b32 v14, s1 :: v_dual_mov_b32 v13, s0
	s_xor_b32 exec_lo, exec_lo, s13
; %bb.44:                               ;   in Loop: Header=BB217_33 Depth=1
	v_cmp_ne_u16_e32 vcc_lo, 0, v15
	v_mov_b32_e32 v13, 0
	v_mov_b32_e32 v14, 0
	s_and_not1_b32 s0, s12, exec_lo
	s_and_b32 s1, vcc_lo, exec_lo
	s_delay_alu instid0(SALU_CYCLE_1)
	s_or_b32 s12, s0, s1
; %bb.45:                               ;   in Loop: Header=BB217_33 Depth=1
	s_or_b32 exec_lo, exec_lo, s13
	s_and_saveexec_b32 s0, s12
	s_cbranch_execz .LBB217_47
; %bb.46:                               ;   in Loop: Header=BB217_33 Depth=1
	v_and_b32_e32 v13, 7, v38
	v_lshrrev_b16 v16, 3, v38
	v_lshlrev_b32_e32 v17, 24, v38
	s_delay_alu instid0(VALU_DEP_3) | instskip(NEXT) | instid1(VALU_DEP_1)
	v_clz_i32_u32_e32 v14, v13
	v_min_u32_e32 v14, 32, v14
	s_delay_alu instid0(VALU_DEP_1) | instskip(SKIP_1) | instid1(VALU_DEP_2)
	v_subrev_nc_u32_e32 v15, 28, v14
	v_sub_nc_u32_e32 v14, 29, v14
	v_lshlrev_b32_e32 v15, v15, v38
	s_delay_alu instid0(VALU_DEP_1) | instskip(SKIP_1) | instid1(VALU_DEP_1)
	v_and_b32_e32 v15, 7, v15
	v_and_b32_e32 v16, 15, v16
	v_cmp_eq_u32_e32 vcc_lo, 0, v16
	s_delay_alu instid0(VALU_DEP_3) | instskip(SKIP_1) | instid1(VALU_DEP_2)
	v_dual_cndmask_b32 v13, v13, v15 :: v_dual_cndmask_b32 v14, v16, v14
	v_and_b32_e32 v15, 0x80000000, v17
	v_lshlrev_b32_e32 v13, 20, v13
	s_delay_alu instid0(VALU_DEP_3) | instskip(NEXT) | instid1(VALU_DEP_1)
	v_lshl_add_u32 v14, v14, 23, 0x3b800000
	v_or3_b32 v13, v15, v14, v13
	s_delay_alu instid0(VALU_DEP_1) | instskip(NEXT) | instid1(VALU_DEP_1)
	v_trunc_f32_e32 v13, v13
	v_mul_f32_e64 v14, 0x2f800000, |v13|
	v_ashrrev_i32_e32 v16, 31, v13
	s_delay_alu instid0(VALU_DEP_2) | instskip(NEXT) | instid1(VALU_DEP_1)
	v_floor_f32_e32 v14, v14
	v_fma_f32 v15, 0xcf800000, v14, |v13|
	v_cvt_u32_f32_e32 v14, v14
	s_delay_alu instid0(VALU_DEP_2) | instskip(NEXT) | instid1(VALU_DEP_2)
	v_cvt_u32_f32_e32 v13, v15
	v_xor_b32_e32 v14, v14, v16
	s_delay_alu instid0(VALU_DEP_2) | instskip(NEXT) | instid1(VALU_DEP_1)
	v_xor_b32_e32 v13, v13, v16
	v_sub_co_u32 v13, vcc_lo, v13, v16
	s_delay_alu instid0(VALU_DEP_3)
	v_sub_co_ci_u32_e32 v14, vcc_lo, v14, v16, vcc_lo
.LBB217_47:                             ;   in Loop: Header=BB217_33 Depth=1
	s_or_b32 exec_lo, exec_lo, s0
	v_and_b32_e32 v17, 0xff, v37
	s_mov_b32 s12, 0
	s_mov_b32 s13, exec_lo
                                        ; implicit-def: $sgpr0_sgpr1
	s_delay_alu instid0(VALU_DEP_1)
	v_cmpx_lt_i16_e32 0x7f, v17
	s_xor_b32 s13, exec_lo, s13
; %bb.48:                               ;   in Loop: Header=BB217_33 Depth=1
	v_cmp_ne_u16_e32 vcc_lo, 0x80, v17
	s_mov_b64 s[0:1], 0
                                        ; implicit-def: $vgpr17
	s_and_b32 s12, vcc_lo, exec_lo
; %bb.49:                               ;   in Loop: Header=BB217_33 Depth=1
	s_or_saveexec_b32 s13, s13
	v_dual_mov_b32 v16, s1 :: v_dual_mov_b32 v15, s0
	s_xor_b32 exec_lo, exec_lo, s13
; %bb.50:                               ;   in Loop: Header=BB217_33 Depth=1
	v_cmp_ne_u16_e32 vcc_lo, 0, v17
	v_mov_b32_e32 v15, 0
	v_mov_b32_e32 v16, 0
	s_and_not1_b32 s0, s12, exec_lo
	s_and_b32 s1, vcc_lo, exec_lo
	s_delay_alu instid0(SALU_CYCLE_1)
	s_or_b32 s12, s0, s1
; %bb.51:                               ;   in Loop: Header=BB217_33 Depth=1
	s_or_b32 exec_lo, exec_lo, s13
	s_and_saveexec_b32 s0, s12
	s_cbranch_execz .LBB217_53
; %bb.52:                               ;   in Loop: Header=BB217_33 Depth=1
	v_lshrrev_b16 v18, 3, v37
	v_lshlrev_b32_e32 v19, 24, v37
	s_delay_alu instid0(VALU_DEP_2) | instskip(NEXT) | instid1(VALU_DEP_1)
	v_and_b32_e32 v18, 15, v18
	v_cmp_eq_u32_e32 vcc_lo, 0, v18
	v_and_b32_e32 v15, 7, v37
	s_delay_alu instid0(VALU_DEP_1) | instskip(NEXT) | instid1(VALU_DEP_1)
	v_clz_i32_u32_e32 v16, v15
	v_min_u32_e32 v16, 32, v16
	s_delay_alu instid0(VALU_DEP_1) | instskip(SKIP_1) | instid1(VALU_DEP_1)
	v_subrev_nc_u32_e32 v17, 28, v16
	v_sub_nc_u32_e32 v16, 29, v16
	v_dual_cndmask_b32 v16, v18, v16 :: v_dual_lshlrev_b32 v17, v17, v37
	s_delay_alu instid0(VALU_DEP_1) | instskip(NEXT) | instid1(VALU_DEP_2)
	v_and_b32_e32 v17, 7, v17
	v_lshl_add_u32 v16, v16, 23, 0x3b800000
	s_delay_alu instid0(VALU_DEP_2) | instskip(SKIP_1) | instid1(VALU_DEP_2)
	v_cndmask_b32_e32 v15, v15, v17, vcc_lo
	v_and_b32_e32 v17, 0x80000000, v19
	v_lshlrev_b32_e32 v15, 20, v15
	s_delay_alu instid0(VALU_DEP_1) | instskip(NEXT) | instid1(VALU_DEP_1)
	v_or3_b32 v15, v17, v16, v15
	v_trunc_f32_e32 v15, v15
	s_delay_alu instid0(VALU_DEP_1) | instskip(SKIP_1) | instid1(VALU_DEP_2)
	v_mul_f32_e64 v16, 0x2f800000, |v15|
	v_ashrrev_i32_e32 v18, 31, v15
	v_floor_f32_e32 v16, v16
	s_delay_alu instid0(VALU_DEP_1) | instskip(SKIP_1) | instid1(VALU_DEP_2)
	v_fma_f32 v17, 0xcf800000, v16, |v15|
	v_cvt_u32_f32_e32 v16, v16
	v_cvt_u32_f32_e32 v15, v17
	s_delay_alu instid0(VALU_DEP_2) | instskip(NEXT) | instid1(VALU_DEP_2)
	v_xor_b32_e32 v16, v16, v18
	v_xor_b32_e32 v15, v15, v18
	s_delay_alu instid0(VALU_DEP_1) | instskip(NEXT) | instid1(VALU_DEP_3)
	v_sub_co_u32 v15, vcc_lo, v15, v18
	v_sub_co_ci_u32_e32 v16, vcc_lo, v16, v18, vcc_lo
.LBB217_53:                             ;   in Loop: Header=BB217_33 Depth=1
	s_or_b32 exec_lo, exec_lo, s0
	v_and_b32_e32 v19, 0xff, v36
	s_mov_b32 s12, 0
	s_mov_b32 s13, exec_lo
                                        ; implicit-def: $sgpr0_sgpr1
	s_delay_alu instid0(VALU_DEP_1)
	v_cmpx_lt_i16_e32 0x7f, v19
	s_xor_b32 s13, exec_lo, s13
; %bb.54:                               ;   in Loop: Header=BB217_33 Depth=1
	v_cmp_ne_u16_e32 vcc_lo, 0x80, v19
	s_mov_b64 s[0:1], 0
                                        ; implicit-def: $vgpr19
	s_and_b32 s12, vcc_lo, exec_lo
; %bb.55:                               ;   in Loop: Header=BB217_33 Depth=1
	s_or_saveexec_b32 s13, s13
	v_dual_mov_b32 v18, s1 :: v_dual_mov_b32 v17, s0
	s_xor_b32 exec_lo, exec_lo, s13
; %bb.56:                               ;   in Loop: Header=BB217_33 Depth=1
	v_cmp_ne_u16_e32 vcc_lo, 0, v19
	v_mov_b32_e32 v17, 0
	v_mov_b32_e32 v18, 0
	s_and_not1_b32 s0, s12, exec_lo
	s_and_b32 s1, vcc_lo, exec_lo
	s_delay_alu instid0(SALU_CYCLE_1)
	s_or_b32 s12, s0, s1
; %bb.57:                               ;   in Loop: Header=BB217_33 Depth=1
	s_or_b32 exec_lo, exec_lo, s13
	s_and_saveexec_b32 s0, s12
	s_cbranch_execz .LBB217_59
; %bb.58:                               ;   in Loop: Header=BB217_33 Depth=1
	v_lshrrev_b16 v20, 3, v36
	v_lshlrev_b32_e32 v39, 24, v36
	s_delay_alu instid0(VALU_DEP_2) | instskip(NEXT) | instid1(VALU_DEP_1)
	v_and_b32_e32 v20, 15, v20
	v_cmp_eq_u32_e32 vcc_lo, 0, v20
	v_and_b32_e32 v17, 7, v36
	s_delay_alu instid0(VALU_DEP_1) | instskip(NEXT) | instid1(VALU_DEP_1)
	v_clz_i32_u32_e32 v18, v17
	v_min_u32_e32 v18, 32, v18
	s_delay_alu instid0(VALU_DEP_1) | instskip(SKIP_1) | instid1(VALU_DEP_1)
	v_subrev_nc_u32_e32 v19, 28, v18
	v_sub_nc_u32_e32 v18, 29, v18
	v_dual_cndmask_b32 v18, v20, v18 :: v_dual_lshlrev_b32 v19, v19, v36
	s_delay_alu instid0(VALU_DEP_1) | instskip(NEXT) | instid1(VALU_DEP_2)
	v_and_b32_e32 v19, 7, v19
	v_lshl_add_u32 v18, v18, 23, 0x3b800000
	s_delay_alu instid0(VALU_DEP_2) | instskip(SKIP_1) | instid1(VALU_DEP_2)
	v_cndmask_b32_e32 v17, v17, v19, vcc_lo
	v_and_b32_e32 v19, 0x80000000, v39
	v_lshlrev_b32_e32 v17, 20, v17
	s_delay_alu instid0(VALU_DEP_1) | instskip(NEXT) | instid1(VALU_DEP_1)
	v_or3_b32 v17, v19, v18, v17
	v_trunc_f32_e32 v17, v17
	s_delay_alu instid0(VALU_DEP_1) | instskip(SKIP_1) | instid1(VALU_DEP_2)
	v_mul_f32_e64 v18, 0x2f800000, |v17|
	v_ashrrev_i32_e32 v20, 31, v17
	v_floor_f32_e32 v18, v18
	s_delay_alu instid0(VALU_DEP_1) | instskip(SKIP_1) | instid1(VALU_DEP_2)
	v_fma_f32 v19, 0xcf800000, v18, |v17|
	v_cvt_u32_f32_e32 v18, v18
	v_cvt_u32_f32_e32 v17, v19
	s_delay_alu instid0(VALU_DEP_2) | instskip(NEXT) | instid1(VALU_DEP_2)
	v_xor_b32_e32 v18, v18, v20
	v_xor_b32_e32 v17, v17, v20
	s_delay_alu instid0(VALU_DEP_1) | instskip(NEXT) | instid1(VALU_DEP_3)
	v_sub_co_u32 v17, vcc_lo, v17, v20
	v_sub_co_ci_u32_e32 v18, vcc_lo, v18, v20, vcc_lo
.LBB217_59:                             ;   in Loop: Header=BB217_33 Depth=1
	s_or_b32 exec_lo, exec_lo, s0
	v_and_b32_e32 v39, 0xff, v35
	s_mov_b32 s12, 0
	s_mov_b32 s13, exec_lo
                                        ; implicit-def: $sgpr0_sgpr1
	s_delay_alu instid0(VALU_DEP_1)
	v_cmpx_lt_i16_e32 0x7f, v39
	s_xor_b32 s13, exec_lo, s13
; %bb.60:                               ;   in Loop: Header=BB217_33 Depth=1
	v_cmp_ne_u16_e32 vcc_lo, 0x80, v39
	s_mov_b64 s[0:1], 0
                                        ; implicit-def: $vgpr39
	s_and_b32 s12, vcc_lo, exec_lo
; %bb.61:                               ;   in Loop: Header=BB217_33 Depth=1
	s_or_saveexec_b32 s13, s13
	v_dual_mov_b32 v20, s1 :: v_dual_mov_b32 v19, s0
	s_xor_b32 exec_lo, exec_lo, s13
; %bb.62:                               ;   in Loop: Header=BB217_33 Depth=1
	v_cmp_ne_u16_e32 vcc_lo, 0, v39
	v_mov_b32_e32 v19, 0
	v_mov_b32_e32 v20, 0
	s_and_not1_b32 s0, s12, exec_lo
	s_and_b32 s1, vcc_lo, exec_lo
	s_delay_alu instid0(SALU_CYCLE_1)
	s_or_b32 s12, s0, s1
; %bb.63:                               ;   in Loop: Header=BB217_33 Depth=1
	s_or_b32 exec_lo, exec_lo, s13
	s_and_saveexec_b32 s0, s12
	s_cbranch_execz .LBB217_65
; %bb.64:                               ;   in Loop: Header=BB217_33 Depth=1
	v_lshrrev_b16 v40, 3, v35
	v_lshlrev_b32_e32 v41, 24, v35
	s_delay_alu instid0(VALU_DEP_2) | instskip(NEXT) | instid1(VALU_DEP_1)
	v_and_b32_e32 v40, 15, v40
	v_cmp_eq_u32_e32 vcc_lo, 0, v40
	v_and_b32_e32 v19, 7, v35
	s_delay_alu instid0(VALU_DEP_1) | instskip(NEXT) | instid1(VALU_DEP_1)
	v_clz_i32_u32_e32 v20, v19
	v_min_u32_e32 v20, 32, v20
	s_delay_alu instid0(VALU_DEP_1) | instskip(SKIP_1) | instid1(VALU_DEP_1)
	v_subrev_nc_u32_e32 v39, 28, v20
	v_sub_nc_u32_e32 v20, 29, v20
	v_dual_cndmask_b32 v20, v40, v20 :: v_dual_lshlrev_b32 v39, v39, v35
	s_delay_alu instid0(VALU_DEP_1) | instskip(NEXT) | instid1(VALU_DEP_2)
	v_and_b32_e32 v39, 7, v39
	v_lshl_add_u32 v20, v20, 23, 0x3b800000
	s_delay_alu instid0(VALU_DEP_2) | instskip(SKIP_1) | instid1(VALU_DEP_2)
	v_cndmask_b32_e32 v19, v19, v39, vcc_lo
	v_and_b32_e32 v39, 0x80000000, v41
	v_lshlrev_b32_e32 v19, 20, v19
	s_delay_alu instid0(VALU_DEP_1) | instskip(NEXT) | instid1(VALU_DEP_1)
	v_or3_b32 v19, v39, v20, v19
	v_trunc_f32_e32 v19, v19
	s_delay_alu instid0(VALU_DEP_1) | instskip(SKIP_1) | instid1(VALU_DEP_2)
	v_mul_f32_e64 v20, 0x2f800000, |v19|
	v_ashrrev_i32_e32 v40, 31, v19
	v_floor_f32_e32 v20, v20
	s_delay_alu instid0(VALU_DEP_1) | instskip(SKIP_1) | instid1(VALU_DEP_2)
	v_fma_f32 v39, 0xcf800000, v20, |v19|
	v_cvt_u32_f32_e32 v20, v20
	v_cvt_u32_f32_e32 v19, v39
	s_delay_alu instid0(VALU_DEP_2) | instskip(NEXT) | instid1(VALU_DEP_2)
	v_xor_b32_e32 v20, v20, v40
	v_xor_b32_e32 v19, v19, v40
	s_delay_alu instid0(VALU_DEP_1) | instskip(NEXT) | instid1(VALU_DEP_3)
	v_sub_co_u32 v19, vcc_lo, v19, v40
	v_sub_co_ci_u32_e32 v20, vcc_lo, v20, v40, vcc_lo
.LBB217_65:                             ;   in Loop: Header=BB217_33 Depth=1
	s_or_b32 exec_lo, exec_lo, s0
	s_delay_alu instid0(SALU_CYCLE_1)
	s_mov_b32 s0, exec_lo
	v_cmpx_gt_u64_e64 s[2:3], v[5:6]
	s_xor_b32 s0, exec_lo, s0
	s_cbranch_execnz .LBB217_69
; %bb.66:                               ;   in Loop: Header=BB217_33 Depth=1
	s_or_b32 exec_lo, exec_lo, s0
	s_delay_alu instid0(SALU_CYCLE_1)
	s_mov_b32 s0, exec_lo
	v_cmpx_gt_u64_e64 s[2:3], v[7:8]
	s_cbranch_execnz .LBB217_70
.LBB217_67:                             ;   in Loop: Header=BB217_33 Depth=1
	s_or_b32 exec_lo, exec_lo, s0
	s_delay_alu instid0(SALU_CYCLE_1)
	s_mov_b32 s0, exec_lo
	v_cmpx_gt_u64_e64 s[2:3], v[9:10]
	s_cbranch_execnz .LBB217_71
.LBB217_68:                             ;   in Loop: Header=BB217_33 Depth=1
	s_or_b32 exec_lo, exec_lo, s0
	s_delay_alu instid0(SALU_CYCLE_1)
	s_mov_b32 s0, exec_lo
	v_cmpx_gt_u64_e64 s[2:3], v[11:12]
	s_cbranch_execz .LBB217_32
	s_branch .LBB217_72
.LBB217_69:                             ;   in Loop: Header=BB217_33 Depth=1
	global_store_b64 v[1:2], v[13:14], off
	s_or_b32 exec_lo, exec_lo, s0
	s_delay_alu instid0(SALU_CYCLE_1)
	s_mov_b32 s0, exec_lo
	v_cmpx_gt_u64_e64 s[2:3], v[7:8]
	s_cbranch_execz .LBB217_67
.LBB217_70:                             ;   in Loop: Header=BB217_33 Depth=1
	global_store_b64 v[3:4], v[15:16], off
	s_or_b32 exec_lo, exec_lo, s0
	s_delay_alu instid0(SALU_CYCLE_1)
	s_mov_b32 s0, exec_lo
	v_cmpx_gt_u64_e64 s[2:3], v[9:10]
	s_cbranch_execz .LBB217_68
.LBB217_71:                             ;   in Loop: Header=BB217_33 Depth=1
	v_add_co_u32 v5, vcc_lo, v1, s8
	v_add_co_ci_u32_e32 v6, vcc_lo, 0, v2, vcc_lo
	global_store_b64 v[5:6], v[17:18], off
	s_or_b32 exec_lo, exec_lo, s0
	s_delay_alu instid0(SALU_CYCLE_1)
	s_mov_b32 s0, exec_lo
	v_cmpx_gt_u64_e64 s[2:3], v[11:12]
	s_cbranch_execz .LBB217_32
.LBB217_72:                             ;   in Loop: Header=BB217_33 Depth=1
	v_add_co_u32 v5, vcc_lo, v1, s9
	v_add_co_ci_u32_e32 v6, vcc_lo, 0, v2, vcc_lo
	global_store_b64 v[5:6], v[19:20], off
	s_branch .LBB217_32
.LBB217_73:
	s_nop 0
	s_sendmsg sendmsg(MSG_DEALLOC_VGPRS)
	s_endpgm
	.section	.rodata,"a",@progbits
	.p2align	6, 0x0
	.amdhsa_kernel _ZN2at6native12_GLOBAL__N_125multi_tensor_apply_kernelINS1_18TensorListMetadataILi2EEENS1_11CopyFunctorIlN3c1015Float8_e4m3fnuzELi2ELi1ELi1EEEJNS0_4CopyIlS7_EEEEEvT_T0_DpT1_
		.amdhsa_group_segment_fixed_size 0
		.amdhsa_private_segment_fixed_size 0
		.amdhsa_kernarg_size 3408
		.amdhsa_user_sgpr_count 15
		.amdhsa_user_sgpr_dispatch_ptr 0
		.amdhsa_user_sgpr_queue_ptr 0
		.amdhsa_user_sgpr_kernarg_segment_ptr 1
		.amdhsa_user_sgpr_dispatch_id 0
		.amdhsa_user_sgpr_private_segment_size 0
		.amdhsa_wavefront_size32 1
		.amdhsa_uses_dynamic_stack 0
		.amdhsa_enable_private_segment 0
		.amdhsa_system_sgpr_workgroup_id_x 1
		.amdhsa_system_sgpr_workgroup_id_y 0
		.amdhsa_system_sgpr_workgroup_id_z 0
		.amdhsa_system_sgpr_workgroup_info 0
		.amdhsa_system_vgpr_workitem_id 0
		.amdhsa_next_free_vgpr 42
		.amdhsa_next_free_sgpr 22
		.amdhsa_reserve_vcc 1
		.amdhsa_float_round_mode_32 0
		.amdhsa_float_round_mode_16_64 0
		.amdhsa_float_denorm_mode_32 3
		.amdhsa_float_denorm_mode_16_64 3
		.amdhsa_dx10_clamp 1
		.amdhsa_ieee_mode 1
		.amdhsa_fp16_overflow 0
		.amdhsa_workgroup_processor_mode 1
		.amdhsa_memory_ordered 1
		.amdhsa_forward_progress 0
		.amdhsa_shared_vgpr_count 0
		.amdhsa_exception_fp_ieee_invalid_op 0
		.amdhsa_exception_fp_denorm_src 0
		.amdhsa_exception_fp_ieee_div_zero 0
		.amdhsa_exception_fp_ieee_overflow 0
		.amdhsa_exception_fp_ieee_underflow 0
		.amdhsa_exception_fp_ieee_inexact 0
		.amdhsa_exception_int_div_zero 0
	.end_amdhsa_kernel
	.section	.text._ZN2at6native12_GLOBAL__N_125multi_tensor_apply_kernelINS1_18TensorListMetadataILi2EEENS1_11CopyFunctorIlN3c1015Float8_e4m3fnuzELi2ELi1ELi1EEEJNS0_4CopyIlS7_EEEEEvT_T0_DpT1_,"axG",@progbits,_ZN2at6native12_GLOBAL__N_125multi_tensor_apply_kernelINS1_18TensorListMetadataILi2EEENS1_11CopyFunctorIlN3c1015Float8_e4m3fnuzELi2ELi1ELi1EEEJNS0_4CopyIlS7_EEEEEvT_T0_DpT1_,comdat
.Lfunc_end217:
	.size	_ZN2at6native12_GLOBAL__N_125multi_tensor_apply_kernelINS1_18TensorListMetadataILi2EEENS1_11CopyFunctorIlN3c1015Float8_e4m3fnuzELi2ELi1ELi1EEEJNS0_4CopyIlS7_EEEEEvT_T0_DpT1_, .Lfunc_end217-_ZN2at6native12_GLOBAL__N_125multi_tensor_apply_kernelINS1_18TensorListMetadataILi2EEENS1_11CopyFunctorIlN3c1015Float8_e4m3fnuzELi2ELi1ELi1EEEJNS0_4CopyIlS7_EEEEEvT_T0_DpT1_
                                        ; -- End function
	.section	.AMDGPU.csdata,"",@progbits
; Kernel info:
; codeLenInByte = 3740
; NumSgprs: 24
; NumVgprs: 42
; ScratchSize: 0
; MemoryBound: 0
; FloatMode: 240
; IeeeMode: 1
; LDSByteSize: 0 bytes/workgroup (compile time only)
; SGPRBlocks: 2
; VGPRBlocks: 5
; NumSGPRsForWavesPerEU: 24
; NumVGPRsForWavesPerEU: 42
; Occupancy: 16
; WaveLimiterHint : 0
; COMPUTE_PGM_RSRC2:SCRATCH_EN: 0
; COMPUTE_PGM_RSRC2:USER_SGPR: 15
; COMPUTE_PGM_RSRC2:TRAP_HANDLER: 0
; COMPUTE_PGM_RSRC2:TGID_X_EN: 1
; COMPUTE_PGM_RSRC2:TGID_Y_EN: 0
; COMPUTE_PGM_RSRC2:TGID_Z_EN: 0
; COMPUTE_PGM_RSRC2:TIDIG_COMP_CNT: 0
	.section	.text._ZN2at6native12_GLOBAL__N_125multi_tensor_apply_kernelINS1_18TensorListMetadataILi2EEENS1_11CopyFunctorIlN3c1011Float8_e5m2ELi2ELi1ELi1EEEJNS0_4CopyIlS7_EEEEEvT_T0_DpT1_,"axG",@progbits,_ZN2at6native12_GLOBAL__N_125multi_tensor_apply_kernelINS1_18TensorListMetadataILi2EEENS1_11CopyFunctorIlN3c1011Float8_e5m2ELi2ELi1ELi1EEEJNS0_4CopyIlS7_EEEEEvT_T0_DpT1_,comdat
	.globl	_ZN2at6native12_GLOBAL__N_125multi_tensor_apply_kernelINS1_18TensorListMetadataILi2EEENS1_11CopyFunctorIlN3c1011Float8_e5m2ELi2ELi1ELi1EEEJNS0_4CopyIlS7_EEEEEvT_T0_DpT1_ ; -- Begin function _ZN2at6native12_GLOBAL__N_125multi_tensor_apply_kernelINS1_18TensorListMetadataILi2EEENS1_11CopyFunctorIlN3c1011Float8_e5m2ELi2ELi1ELi1EEEJNS0_4CopyIlS7_EEEEEvT_T0_DpT1_
	.p2align	8
	.type	_ZN2at6native12_GLOBAL__N_125multi_tensor_apply_kernelINS1_18TensorListMetadataILi2EEENS1_11CopyFunctorIlN3c1011Float8_e5m2ELi2ELi1ELi1EEEJNS0_4CopyIlS7_EEEEEvT_T0_DpT1_,@function
_ZN2at6native12_GLOBAL__N_125multi_tensor_apply_kernelINS1_18TensorListMetadataILi2EEENS1_11CopyFunctorIlN3c1011Float8_e5m2ELi2ELi1ELi1EEEJNS0_4CopyIlS7_EEEEEvT_T0_DpT1_: ; @_ZN2at6native12_GLOBAL__N_125multi_tensor_apply_kernelINS1_18TensorListMetadataILi2EEENS1_11CopyFunctorIlN3c1011Float8_e5m2ELi2ELi1ELi1EEEJNS0_4CopyIlS7_EEEEEvT_T0_DpT1_
; %bb.0:
	v_mov_b32_e32 v1, s15
	s_add_u32 s2, s0, s15
	s_mul_hi_u32 s3, s15, 3
	s_mul_i32 s15, s15, 3
	s_addc_u32 s4, s1, 0
	global_load_u8 v1, v1, s[0:1] offset:1536
	s_add_u32 s2, s2, s15
	s_addc_u32 s3, s4, s3
	s_load_b32 s10, s[2:3], 0x740
	s_waitcnt lgkmcnt(0)
	s_ashr_i32 s11, s10, 31
	s_delay_alu instid0(SALU_CYCLE_1) | instskip(SKIP_2) | instid1(VALU_DEP_1)
	s_lshl_b64 s[8:9], s[10:11], 16
	s_waitcnt vmcnt(0)
	v_readfirstlane_b32 s5, v1
	s_lshl_b32 s2, s5, 3
	s_mov_b32 s5, 0
	s_clause 0x2
	s_load_b64 s[6:7], s[0:1], s2 offset:0x0
	s_load_b64 s[12:13], s[0:1], s2 offset:0x200
	;; [unrolled: 1-line block ×3, first 2 shown]
	s_waitcnt lgkmcnt(0)
	s_add_u32 s14, s6, s8
	s_addc_u32 s15, s7, s9
	s_and_b32 s16, s12, 31
	s_and_b32 s17, s2, 3
	;; [unrolled: 1-line block ×3, first 2 shown]
	s_or_b32 s16, s17, s16
	s_mov_b32 s17, s5
	s_delay_alu instid0(SALU_CYCLE_1)
	s_or_b64 s[16:17], s[4:5], s[16:17]
	s_sub_u32 s4, s2, s8
	s_subb_u32 s5, s3, s9
	s_cmp_eq_u64 s[16:17], 0
	s_mov_b32 s2, -1
	s_cbranch_scc0 .LBB218_5
; %bb.1:
	v_dual_mov_b32 v2, 0 :: v_dual_lshlrev_b32 v1, 2, v0
	s_mov_b32 s16, exec_lo
	s_delay_alu instid0(VALU_DEP_1)
	v_cmpx_gt_i64_e64 s[4:5], v[1:2]
	s_cbranch_execz .LBB218_4
; %bb.2:
	s_load_b32 s17, s[0:1], 0xc5c
	v_lshlrev_b32_e32 v3, 5, v0
	s_lshl_b64 s[2:3], s[10:11], 19
	s_mov_b32 s18, 0
	s_mov_b32 s20, 0xfe00000
	s_waitcnt lgkmcnt(0)
	s_and_b32 s19, s17, 0xffff
	s_delay_alu instid0(SALU_CYCLE_1) | instskip(SKIP_3) | instid1(VALU_DEP_1)
	s_lshl_b32 s17, s19, 2
	s_add_u32 s2, s12, s2
	s_addc_u32 s3, s13, s3
	v_add_co_u32 v3, s2, s2, v3
	v_add_co_ci_u32_e64 v4, null, s3, 0, s2
	s_lshl_b32 s19, s19, 5
.LBB218_3:                              ; =>This Inner Loop Header: Depth=1
	v_add_co_u32 v5, vcc_lo, s14, v1
	v_add_co_ci_u32_e32 v6, vcc_lo, s15, v2, vcc_lo
	v_add_co_u32 v1, vcc_lo, s17, v1
	v_add_co_ci_u32_e32 v2, vcc_lo, 0, v2, vcc_lo
	global_load_b32 v5, v[5:6], off
	v_cmp_le_i64_e32 vcc_lo, s[4:5], v[1:2]
	v_cmp_lt_u64_e64 s2, 0xffff, v[1:2]
	s_delay_alu instid0(VALU_DEP_1) | instskip(NEXT) | instid1(SALU_CYCLE_1)
	s_or_b32 s2, vcc_lo, s2
	s_and_b32 s21, exec_lo, s2
	s_delay_alu instid0(SALU_CYCLE_1)
	s_or_b32 s18, s21, s18
	s_waitcnt vmcnt(0)
	v_lshlrev_b16 v6, 8, v5
	v_and_or_b32 v10, 0x7f00, v5, 0.5
	v_lshlrev_b32_e32 v7, 25, v5
	v_lshrrev_b32_e32 v16, 3, v5
	v_lshrrev_b32_e32 v12, 8, v5
	;; [unrolled: 1-line block ×3, first 2 shown]
	v_add_f32_e32 v10, -0.5, v10
	v_lshrrev_b32_e32 v17, 4, v7
	v_and_or_b32 v18, 0x7f00, v6, 0.5
	v_lshlrev_b32_e32 v9, 13, v5
	v_and_or_b32 v16, v16, s20, 0x70000000
	v_lshlrev_b32_e32 v13, 5, v5
	v_or_b32_e32 v17, 0x70000000, v17
	v_lshlrev_b32_e32 v19, 17, v12
	v_and_or_b32 v12, 0x7f00, v12, 0.5
	v_add_f32_e32 v18, -0.5, v18
	v_and_or_b32 v9, v9, s20, 0x70000000
	v_lshlrev_b32_e32 v20, 17, v15
	v_and_or_b32 v15, 0x7f00, v15, 0.5
	v_lshlrev_b32_e32 v8, 17, v5
	v_mul_f32_e32 v16, 0x7800000, v16
	v_and_or_b32 v13, v13, s20, 0x70000000
	v_dual_add_f32 v12, -0.5, v12 :: v_dual_lshlrev_b32 v11, 16, v5
	v_mul_f32_e32 v9, 0x7800000, v9
	v_add_f32_e32 v15, -0.5, v15
	s_delay_alu instid0(VALU_DEP_4)
	v_mul_f32_e32 v13, 0x7800000, v13
	v_cmp_gt_u32_e64 s3, 0x8000000, v8
	v_mul_f32_e32 v8, 0x7800000, v17
	v_cmp_gt_u32_e32 vcc_lo, 0x8000000, v19
	v_cmp_gt_u32_e64 s2, 0x8000000, v20
	v_bfe_i32 v6, v6, 0, 16
	v_cndmask_b32_e64 v9, v9, v10, s3
	v_cndmask_b32_e32 v10, v13, v12, vcc_lo
	v_cmp_gt_u32_e32 vcc_lo, 0x8000000, v7
	v_lshlrev_b32_e32 v14, 8, v5
	v_cndmask_b32_e64 v12, v16, v15, s2
	v_cndmask_b32_e32 v7, v8, v18, vcc_lo
	v_and_or_b32 v8, 0x80000000, v11, v9
	s_delay_alu instid0(VALU_DEP_4) | instskip(NEXT) | instid1(VALU_DEP_4)
	v_and_or_b32 v9, 0x80000000, v14, v10
	v_and_or_b32 v5, 0x80000000, v5, v12
	s_delay_alu instid0(VALU_DEP_4) | instskip(NEXT) | instid1(VALU_DEP_4)
	v_and_or_b32 v6, 0x80000000, v6, v7
	v_trunc_f32_e32 v7, v8
	s_delay_alu instid0(VALU_DEP_4) | instskip(NEXT) | instid1(VALU_DEP_4)
	v_trunc_f32_e32 v8, v9
	v_trunc_f32_e32 v5, v5
	s_delay_alu instid0(VALU_DEP_4) | instskip(NEXT) | instid1(VALU_DEP_4)
	v_trunc_f32_e32 v6, v6
	v_mul_f32_e64 v9, 0x2f800000, |v7|
	s_delay_alu instid0(VALU_DEP_4) | instskip(NEXT) | instid1(VALU_DEP_4)
	v_mul_f32_e64 v11, 0x2f800000, |v8|
	v_mul_f32_e64 v13, 0x2f800000, |v5|
	v_ashrrev_i32_e32 v10, 31, v7
	v_mul_f32_e64 v15, 0x2f800000, |v6|
	v_floor_f32_e32 v9, v9
	v_floor_f32_e32 v11, v11
	;; [unrolled: 1-line block ×3, first 2 shown]
	v_ashrrev_i32_e32 v12, 31, v8
	v_floor_f32_e32 v15, v15
	v_fma_f32 v7, 0xcf800000, v9, |v7|
	v_fma_f32 v8, 0xcf800000, v11, |v8|
	v_ashrrev_i32_e32 v14, 31, v5
	v_fma_f32 v5, 0xcf800000, v13, |v5|
	v_cvt_u32_f32_e32 v9, v9
	v_cvt_u32_f32_e32 v7, v7
	;; [unrolled: 1-line block ×3, first 2 shown]
	v_ashrrev_i32_e32 v16, 31, v6
	v_fma_f32 v6, 0xcf800000, v15, |v6|
	v_cvt_u32_f32_e32 v11, v11
	v_xor_b32_e32 v7, v7, v10
	v_cvt_u32_f32_e32 v5, v5
	v_xor_b32_e32 v9, v9, v10
	v_cvt_u32_f32_e32 v13, v13
	v_xor_b32_e32 v17, v8, v12
	v_cvt_u32_f32_e32 v6, v6
	v_xor_b32_e32 v11, v11, v12
	v_sub_co_u32 v7, vcc_lo, v7, v10
	v_cvt_u32_f32_e32 v15, v15
	v_xor_b32_e32 v5, v5, v14
	v_sub_co_ci_u32_e32 v8, vcc_lo, v9, v10, vcc_lo
	v_xor_b32_e32 v13, v13, v14
	v_sub_co_u32 v9, vcc_lo, v17, v12
	v_xor_b32_e32 v6, v6, v16
	v_sub_co_ci_u32_e32 v10, vcc_lo, v11, v12, vcc_lo
	v_xor_b32_e32 v15, v15, v16
	v_sub_co_u32 v11, vcc_lo, v5, v14
	v_sub_co_ci_u32_e32 v12, vcc_lo, v13, v14, vcc_lo
	v_sub_co_u32 v5, vcc_lo, v6, v16
	s_delay_alu instid0(VALU_DEP_4)
	v_sub_co_ci_u32_e32 v6, vcc_lo, v15, v16, vcc_lo
	s_clause 0x1
	global_store_b128 v[3:4], v[5:8], off
	global_store_b128 v[3:4], v[9:12], off offset:16
	v_add_co_u32 v3, vcc_lo, v3, s19
	v_add_co_ci_u32_e32 v4, vcc_lo, 0, v4, vcc_lo
	s_and_not1_b32 exec_lo, exec_lo, s18
	s_cbranch_execnz .LBB218_3
.LBB218_4:
	s_or_b32 exec_lo, exec_lo, s16
	s_mov_b32 s2, 0
.LBB218_5:
	s_delay_alu instid0(SALU_CYCLE_1)
	s_and_not1_b32 vcc_lo, exec_lo, s2
	s_cbranch_vccnz .LBB218_25
; %bb.6:
	v_cmp_lt_i64_e64 s2, s[4:5], 1
	s_delay_alu instid0(VALU_DEP_1)
	s_and_b32 vcc_lo, exec_lo, s2
	s_cbranch_vccnz .LBB218_25
; %bb.7:
	s_load_b32 s0, s[0:1], 0xc5c
	v_cmp_gt_u64_e64 s1, 0x10000, s[4:5]
	v_add_co_u32 v3, s2, s8, v0
	v_lshlrev_b32_e32 v1, 3, v0
	v_add_co_ci_u32_e64 v4, null, s9, 0, s2
	s_delay_alu instid0(VALU_DEP_3) | instskip(NEXT) | instid1(VALU_DEP_2)
	v_add_co_u32 v13, vcc_lo, s6, v3
                                        ; implicit-def: $vgpr27
                                        ; implicit-def: $vgpr28
                                        ; implicit-def: $vgpr29
                                        ; implicit-def: $vgpr30
	v_add_co_ci_u32_e32 v14, vcc_lo, s7, v4, vcc_lo
	s_waitcnt lgkmcnt(0)
	s_and_b32 s0, s0, 0xffff
	s_and_b32 s1, s1, exec_lo
	s_cselect_b32 s3, s5, 0
	s_cselect_b32 s2, s4, 0x10000
	s_lshl_b64 s[10:11], s[10:11], 19
	s_lshl_b32 s14, s0, 1
	s_lshl_b32 s1, s0, 2
	s_add_u32 s12, s12, s10
	s_mul_i32 s15, s0, 3
	s_addc_u32 s11, s13, s11
	s_lshl_b32 s10, s0, 5
	v_add_co_u32 v1, s16, s12, v1
	s_add_u32 s13, s8, s15
	v_add_co_ci_u32_e64 v2, null, s11, 0, s16
	s_addc_u32 s16, s9, 0
	s_add_u32 s13, s6, s13
	s_addc_u32 s16, s7, s16
	s_add_u32 s8, s8, s14
	;; [unrolled: 2-line block ×3, first 2 shown]
	s_addc_u32 s9, s7, s9
	v_add_co_u32 v19, s8, s8, v0
	s_delay_alu instid0(VALU_DEP_1) | instskip(SKIP_1) | instid1(VALU_DEP_1)
	v_add_co_ci_u32_e64 v20, null, s9, 0, s8
	v_add_co_u32 v21, s9, s14, v0
	v_add_co_ci_u32_e64 v22, null, 0, 0, s9
	v_add_co_u32 v23, s9, v0, s0
	s_lshl_b32 s8, s0, 4
	v_add_co_u32 v15, s13, s13, v0
	s_delay_alu instid0(VALU_DEP_2)
	v_lshlrev_b32_e32 v5, 3, v23
	s_add_u32 s6, s6, s0
	v_add_co_ci_u32_e64 v16, null, s16, 0, s13
	v_add_co_u32 v17, s13, s15, v0
	s_addc_u32 s7, s7, 0
	v_add_co_u32 v25, vcc_lo, s6, v3
	v_add_co_u32 v3, s6, s12, v5
	v_add_co_ci_u32_e64 v18, null, 0, 0, s13
	v_add_co_ci_u32_e64 v24, null, 0, 0, s9
	v_add_co_ci_u32_e32 v26, vcc_lo, s7, v4, vcc_lo
	v_add_co_ci_u32_e64 v4, null, s11, 0, s6
	s_mul_i32 s9, s0, 24
	s_mov_b64 s[6:7], 0
	s_branch .LBB218_9
.LBB218_8:                              ;   in Loop: Header=BB218_9 Depth=1
	s_or_b32 exec_lo, exec_lo, s0
	s_add_u32 s6, s6, s1
	s_addc_u32 s7, s7, 0
	v_add_co_u32 v1, vcc_lo, v1, s10
	v_cmp_ge_i64_e64 s0, s[6:7], s[4:5]
	v_cmp_lt_u64_e64 s11, 0xffff, s[6:7]
	v_add_co_ci_u32_e32 v2, vcc_lo, 0, v2, vcc_lo
	v_add_co_u32 v3, vcc_lo, v3, s10
	v_add_co_ci_u32_e32 v4, vcc_lo, 0, v4, vcc_lo
	s_delay_alu instid0(VALU_DEP_4) | instskip(NEXT) | instid1(SALU_CYCLE_1)
	s_or_b32 s0, s0, s11
	s_and_b32 vcc_lo, exec_lo, s0
	s_cbranch_vccnz .LBB218_25
.LBB218_9:                              ; =>This Inner Loop Header: Depth=1
	v_add_co_u32 v11, s0, v0, s6
	s_delay_alu instid0(VALU_DEP_1) | instskip(NEXT) | instid1(VALU_DEP_1)
	v_add_co_ci_u32_e64 v12, null, 0, s7, s0
	v_cmp_gt_i64_e32 vcc_lo, s[4:5], v[11:12]
	v_cmp_gt_u64_e64 s0, 0x10000, v[11:12]
	s_delay_alu instid0(VALU_DEP_1) | instskip(NEXT) | instid1(SALU_CYCLE_1)
	s_and_b32 s11, vcc_lo, s0
	s_and_saveexec_b32 s0, s11
	s_cbranch_execz .LBB218_11
; %bb.10:                               ;   in Loop: Header=BB218_9 Depth=1
	v_add_co_u32 v5, vcc_lo, v13, s6
	v_add_co_ci_u32_e32 v6, vcc_lo, s7, v14, vcc_lo
	global_load_u8 v30, v[5:6], off
.LBB218_11:                             ;   in Loop: Header=BB218_9 Depth=1
	s_or_b32 exec_lo, exec_lo, s0
	v_add_co_u32 v9, vcc_lo, v23, s6
	v_add_co_ci_u32_e32 v10, vcc_lo, s7, v24, vcc_lo
	s_delay_alu instid0(VALU_DEP_1) | instskip(SKIP_1) | instid1(VALU_DEP_1)
	v_cmp_gt_i64_e32 vcc_lo, s[4:5], v[9:10]
	v_cmp_gt_u64_e64 s0, 0x10000, v[9:10]
	s_and_b32 s11, vcc_lo, s0
	s_delay_alu instid0(SALU_CYCLE_1)
	s_and_saveexec_b32 s0, s11
	s_cbranch_execz .LBB218_13
; %bb.12:                               ;   in Loop: Header=BB218_9 Depth=1
	v_add_co_u32 v5, vcc_lo, v25, s6
	v_add_co_ci_u32_e32 v6, vcc_lo, s7, v26, vcc_lo
	global_load_u8 v29, v[5:6], off
.LBB218_13:                             ;   in Loop: Header=BB218_9 Depth=1
	s_or_b32 exec_lo, exec_lo, s0
	v_add_co_u32 v7, vcc_lo, v21, s6
	v_add_co_ci_u32_e32 v8, vcc_lo, s7, v22, vcc_lo
	s_delay_alu instid0(VALU_DEP_1) | instskip(SKIP_1) | instid1(VALU_DEP_1)
	v_cmp_gt_i64_e32 vcc_lo, s[4:5], v[7:8]
	v_cmp_gt_u64_e64 s0, 0x10000, v[7:8]
	s_and_b32 s11, vcc_lo, s0
	s_delay_alu instid0(SALU_CYCLE_1)
	;; [unrolled: 15-line block ×3, first 2 shown]
	s_and_saveexec_b32 s0, s11
	s_cbranch_execnz .LBB218_20
; %bb.16:                               ;   in Loop: Header=BB218_9 Depth=1
	s_or_b32 exec_lo, exec_lo, s0
	s_delay_alu instid0(SALU_CYCLE_1)
	s_mov_b32 s0, exec_lo
	v_cmpx_gt_u64_e64 s[2:3], v[11:12]
	s_cbranch_execnz .LBB218_21
.LBB218_17:                             ;   in Loop: Header=BB218_9 Depth=1
	s_or_b32 exec_lo, exec_lo, s0
	s_delay_alu instid0(SALU_CYCLE_1)
	s_mov_b32 s0, exec_lo
	v_cmpx_gt_u64_e64 s[2:3], v[9:10]
	s_cbranch_execnz .LBB218_22
.LBB218_18:                             ;   in Loop: Header=BB218_9 Depth=1
	s_or_b32 exec_lo, exec_lo, s0
	s_delay_alu instid0(SALU_CYCLE_1)
	s_mov_b32 s0, exec_lo
	v_cmpx_gt_u64_e64 s[2:3], v[7:8]
	s_cbranch_execnz .LBB218_23
.LBB218_19:                             ;   in Loop: Header=BB218_9 Depth=1
	s_or_b32 exec_lo, exec_lo, s0
	s_delay_alu instid0(SALU_CYCLE_1)
	s_mov_b32 s0, exec_lo
	v_cmpx_gt_u64_e64 s[2:3], v[5:6]
	s_cbranch_execz .LBB218_8
	s_branch .LBB218_24
.LBB218_20:                             ;   in Loop: Header=BB218_9 Depth=1
	v_add_co_u32 v31, vcc_lo, v15, s6
	v_add_co_ci_u32_e32 v32, vcc_lo, s7, v16, vcc_lo
	global_load_u8 v27, v[31:32], off
	s_or_b32 exec_lo, exec_lo, s0
	s_delay_alu instid0(SALU_CYCLE_1)
	s_mov_b32 s0, exec_lo
	v_cmpx_gt_u64_e64 s[2:3], v[11:12]
	s_cbranch_execz .LBB218_17
.LBB218_21:                             ;   in Loop: Header=BB218_9 Depth=1
	s_waitcnt vmcnt(0)
	v_lshlrev_b16 v12, 8, v30
	s_delay_alu instid0(VALU_DEP_1) | instskip(SKIP_2) | instid1(VALU_DEP_3)
	v_and_or_b32 v32, 0x7f00, v12, 0.5
	v_lshlrev_b32_e32 v11, 25, v30
	v_bfe_i32 v12, v12, 0, 16
	v_add_f32_e32 v32, -0.5, v32
	s_delay_alu instid0(VALU_DEP_3) | instskip(SKIP_1) | instid1(VALU_DEP_2)
	v_lshrrev_b32_e32 v31, 4, v11
	v_cmp_gt_u32_e32 vcc_lo, 0x8000000, v11
	v_or_b32_e32 v31, 0x70000000, v31
	s_delay_alu instid0(VALU_DEP_1) | instskip(NEXT) | instid1(VALU_DEP_1)
	v_mul_f32_e32 v31, 0x7800000, v31
	v_cndmask_b32_e32 v11, v31, v32, vcc_lo
	s_delay_alu instid0(VALU_DEP_1) | instskip(NEXT) | instid1(VALU_DEP_1)
	v_and_or_b32 v11, 0x80000000, v12, v11
	v_trunc_f32_e32 v11, v11
	s_delay_alu instid0(VALU_DEP_1) | instskip(SKIP_1) | instid1(VALU_DEP_2)
	v_mul_f32_e64 v12, 0x2f800000, |v11|
	v_ashrrev_i32_e32 v32, 31, v11
	v_floor_f32_e32 v12, v12
	s_delay_alu instid0(VALU_DEP_1) | instskip(SKIP_1) | instid1(VALU_DEP_2)
	v_fma_f32 v31, 0xcf800000, v12, |v11|
	v_cvt_u32_f32_e32 v12, v12
	v_cvt_u32_f32_e32 v11, v31
	s_delay_alu instid0(VALU_DEP_2) | instskip(NEXT) | instid1(VALU_DEP_2)
	v_xor_b32_e32 v12, v12, v32
	v_xor_b32_e32 v11, v11, v32
	s_delay_alu instid0(VALU_DEP_1) | instskip(NEXT) | instid1(VALU_DEP_3)
	v_sub_co_u32 v11, vcc_lo, v11, v32
	v_sub_co_ci_u32_e32 v12, vcc_lo, v12, v32, vcc_lo
	global_store_b64 v[1:2], v[11:12], off
	s_or_b32 exec_lo, exec_lo, s0
	s_delay_alu instid0(SALU_CYCLE_1)
	s_mov_b32 s0, exec_lo
	v_cmpx_gt_u64_e64 s[2:3], v[9:10]
	s_cbranch_execz .LBB218_18
.LBB218_22:                             ;   in Loop: Header=BB218_9 Depth=1
	s_waitcnt vmcnt(0)
	v_lshlrev_b16 v10, 8, v29
	s_delay_alu instid0(VALU_DEP_1) | instskip(SKIP_2) | instid1(VALU_DEP_3)
	v_and_or_b32 v12, 0x7f00, v10, 0.5
	v_lshlrev_b32_e32 v9, 25, v29
	v_bfe_i32 v10, v10, 0, 16
	v_add_f32_e32 v12, -0.5, v12
	s_delay_alu instid0(VALU_DEP_3) | instskip(SKIP_1) | instid1(VALU_DEP_2)
	v_lshrrev_b32_e32 v11, 4, v9
	v_cmp_gt_u32_e32 vcc_lo, 0x8000000, v9
	v_or_b32_e32 v11, 0x70000000, v11
	s_delay_alu instid0(VALU_DEP_1) | instskip(NEXT) | instid1(VALU_DEP_1)
	v_mul_f32_e32 v11, 0x7800000, v11
	v_cndmask_b32_e32 v9, v11, v12, vcc_lo
	s_delay_alu instid0(VALU_DEP_1) | instskip(NEXT) | instid1(VALU_DEP_1)
	v_and_or_b32 v9, 0x80000000, v10, v9
	v_trunc_f32_e32 v9, v9
	s_delay_alu instid0(VALU_DEP_1) | instskip(SKIP_1) | instid1(VALU_DEP_2)
	v_mul_f32_e64 v10, 0x2f800000, |v9|
	v_ashrrev_i32_e32 v12, 31, v9
	v_floor_f32_e32 v10, v10
	s_delay_alu instid0(VALU_DEP_1) | instskip(SKIP_1) | instid1(VALU_DEP_2)
	v_fma_f32 v11, 0xcf800000, v10, |v9|
	v_cvt_u32_f32_e32 v10, v10
	v_cvt_u32_f32_e32 v9, v11
	s_delay_alu instid0(VALU_DEP_2) | instskip(NEXT) | instid1(VALU_DEP_2)
	v_xor_b32_e32 v10, v10, v12
	v_xor_b32_e32 v9, v9, v12
	s_delay_alu instid0(VALU_DEP_1) | instskip(NEXT) | instid1(VALU_DEP_3)
	v_sub_co_u32 v9, vcc_lo, v9, v12
	v_sub_co_ci_u32_e32 v10, vcc_lo, v10, v12, vcc_lo
	global_store_b64 v[3:4], v[9:10], off
	s_or_b32 exec_lo, exec_lo, s0
	s_delay_alu instid0(SALU_CYCLE_1)
	s_mov_b32 s0, exec_lo
	v_cmpx_gt_u64_e64 s[2:3], v[7:8]
	s_cbranch_execz .LBB218_19
.LBB218_23:                             ;   in Loop: Header=BB218_9 Depth=1
	s_waitcnt vmcnt(0)
	v_lshlrev_b16 v8, 8, v28
	s_delay_alu instid0(VALU_DEP_1) | instskip(SKIP_2) | instid1(VALU_DEP_3)
	v_and_or_b32 v10, 0x7f00, v8, 0.5
	v_lshlrev_b32_e32 v7, 25, v28
	v_bfe_i32 v8, v8, 0, 16
	v_add_f32_e32 v10, -0.5, v10
	s_delay_alu instid0(VALU_DEP_3) | instskip(SKIP_1) | instid1(VALU_DEP_2)
	v_lshrrev_b32_e32 v9, 4, v7
	v_cmp_gt_u32_e32 vcc_lo, 0x8000000, v7
	v_or_b32_e32 v9, 0x70000000, v9
	s_delay_alu instid0(VALU_DEP_1) | instskip(NEXT) | instid1(VALU_DEP_1)
	v_mul_f32_e32 v9, 0x7800000, v9
	v_cndmask_b32_e32 v7, v9, v10, vcc_lo
	s_delay_alu instid0(VALU_DEP_1) | instskip(NEXT) | instid1(VALU_DEP_1)
	v_and_or_b32 v7, 0x80000000, v8, v7
	v_trunc_f32_e32 v7, v7
	s_delay_alu instid0(VALU_DEP_1) | instskip(SKIP_1) | instid1(VALU_DEP_2)
	v_mul_f32_e64 v8, 0x2f800000, |v7|
	v_ashrrev_i32_e32 v10, 31, v7
	v_floor_f32_e32 v8, v8
	s_delay_alu instid0(VALU_DEP_1) | instskip(SKIP_1) | instid1(VALU_DEP_2)
	v_fma_f32 v9, 0xcf800000, v8, |v7|
	v_cvt_u32_f32_e32 v8, v8
	v_cvt_u32_f32_e32 v7, v9
	s_delay_alu instid0(VALU_DEP_2) | instskip(NEXT) | instid1(VALU_DEP_2)
	v_xor_b32_e32 v8, v8, v10
	v_xor_b32_e32 v7, v7, v10
	s_delay_alu instid0(VALU_DEP_1) | instskip(NEXT) | instid1(VALU_DEP_3)
	v_sub_co_u32 v7, vcc_lo, v7, v10
	v_sub_co_ci_u32_e32 v8, vcc_lo, v8, v10, vcc_lo
	v_add_co_u32 v9, vcc_lo, v1, s8
	v_add_co_ci_u32_e32 v10, vcc_lo, 0, v2, vcc_lo
	global_store_b64 v[9:10], v[7:8], off
	s_or_b32 exec_lo, exec_lo, s0
	s_delay_alu instid0(SALU_CYCLE_1)
	s_mov_b32 s0, exec_lo
	v_cmpx_gt_u64_e64 s[2:3], v[5:6]
	s_cbranch_execz .LBB218_8
.LBB218_24:                             ;   in Loop: Header=BB218_9 Depth=1
	s_waitcnt vmcnt(0)
	v_lshlrev_b16 v6, 8, v27
	s_delay_alu instid0(VALU_DEP_1) | instskip(SKIP_2) | instid1(VALU_DEP_3)
	v_and_or_b32 v8, 0x7f00, v6, 0.5
	v_lshlrev_b32_e32 v5, 25, v27
	v_bfe_i32 v6, v6, 0, 16
	v_add_f32_e32 v8, -0.5, v8
	s_delay_alu instid0(VALU_DEP_3) | instskip(SKIP_1) | instid1(VALU_DEP_2)
	v_lshrrev_b32_e32 v7, 4, v5
	v_cmp_gt_u32_e32 vcc_lo, 0x8000000, v5
	v_or_b32_e32 v7, 0x70000000, v7
	s_delay_alu instid0(VALU_DEP_1) | instskip(NEXT) | instid1(VALU_DEP_1)
	v_mul_f32_e32 v7, 0x7800000, v7
	v_cndmask_b32_e32 v5, v7, v8, vcc_lo
	s_delay_alu instid0(VALU_DEP_1) | instskip(NEXT) | instid1(VALU_DEP_1)
	v_and_or_b32 v5, 0x80000000, v6, v5
	v_trunc_f32_e32 v5, v5
	s_delay_alu instid0(VALU_DEP_1) | instskip(SKIP_1) | instid1(VALU_DEP_2)
	v_mul_f32_e64 v6, 0x2f800000, |v5|
	v_ashrrev_i32_e32 v8, 31, v5
	v_floor_f32_e32 v6, v6
	s_delay_alu instid0(VALU_DEP_1) | instskip(SKIP_1) | instid1(VALU_DEP_2)
	v_fma_f32 v7, 0xcf800000, v6, |v5|
	v_cvt_u32_f32_e32 v6, v6
	v_cvt_u32_f32_e32 v5, v7
	s_delay_alu instid0(VALU_DEP_2) | instskip(NEXT) | instid1(VALU_DEP_2)
	v_xor_b32_e32 v6, v6, v8
	v_xor_b32_e32 v5, v5, v8
	s_delay_alu instid0(VALU_DEP_1) | instskip(NEXT) | instid1(VALU_DEP_3)
	v_sub_co_u32 v5, vcc_lo, v5, v8
	v_sub_co_ci_u32_e32 v6, vcc_lo, v6, v8, vcc_lo
	v_add_co_u32 v7, vcc_lo, v1, s9
	v_add_co_ci_u32_e32 v8, vcc_lo, 0, v2, vcc_lo
	global_store_b64 v[7:8], v[5:6], off
	s_branch .LBB218_8
.LBB218_25:
	s_nop 0
	s_sendmsg sendmsg(MSG_DEALLOC_VGPRS)
	s_endpgm
	.section	.rodata,"a",@progbits
	.p2align	6, 0x0
	.amdhsa_kernel _ZN2at6native12_GLOBAL__N_125multi_tensor_apply_kernelINS1_18TensorListMetadataILi2EEENS1_11CopyFunctorIlN3c1011Float8_e5m2ELi2ELi1ELi1EEEJNS0_4CopyIlS7_EEEEEvT_T0_DpT1_
		.amdhsa_group_segment_fixed_size 0
		.amdhsa_private_segment_fixed_size 0
		.amdhsa_kernarg_size 3408
		.amdhsa_user_sgpr_count 15
		.amdhsa_user_sgpr_dispatch_ptr 0
		.amdhsa_user_sgpr_queue_ptr 0
		.amdhsa_user_sgpr_kernarg_segment_ptr 1
		.amdhsa_user_sgpr_dispatch_id 0
		.amdhsa_user_sgpr_private_segment_size 0
		.amdhsa_wavefront_size32 1
		.amdhsa_uses_dynamic_stack 0
		.amdhsa_enable_private_segment 0
		.amdhsa_system_sgpr_workgroup_id_x 1
		.amdhsa_system_sgpr_workgroup_id_y 0
		.amdhsa_system_sgpr_workgroup_id_z 0
		.amdhsa_system_sgpr_workgroup_info 0
		.amdhsa_system_vgpr_workitem_id 0
		.amdhsa_next_free_vgpr 33
		.amdhsa_next_free_sgpr 22
		.amdhsa_reserve_vcc 1
		.amdhsa_float_round_mode_32 0
		.amdhsa_float_round_mode_16_64 0
		.amdhsa_float_denorm_mode_32 3
		.amdhsa_float_denorm_mode_16_64 3
		.amdhsa_dx10_clamp 1
		.amdhsa_ieee_mode 1
		.amdhsa_fp16_overflow 0
		.amdhsa_workgroup_processor_mode 1
		.amdhsa_memory_ordered 1
		.amdhsa_forward_progress 0
		.amdhsa_shared_vgpr_count 0
		.amdhsa_exception_fp_ieee_invalid_op 0
		.amdhsa_exception_fp_denorm_src 0
		.amdhsa_exception_fp_ieee_div_zero 0
		.amdhsa_exception_fp_ieee_overflow 0
		.amdhsa_exception_fp_ieee_underflow 0
		.amdhsa_exception_fp_ieee_inexact 0
		.amdhsa_exception_int_div_zero 0
	.end_amdhsa_kernel
	.section	.text._ZN2at6native12_GLOBAL__N_125multi_tensor_apply_kernelINS1_18TensorListMetadataILi2EEENS1_11CopyFunctorIlN3c1011Float8_e5m2ELi2ELi1ELi1EEEJNS0_4CopyIlS7_EEEEEvT_T0_DpT1_,"axG",@progbits,_ZN2at6native12_GLOBAL__N_125multi_tensor_apply_kernelINS1_18TensorListMetadataILi2EEENS1_11CopyFunctorIlN3c1011Float8_e5m2ELi2ELi1ELi1EEEJNS0_4CopyIlS7_EEEEEvT_T0_DpT1_,comdat
.Lfunc_end218:
	.size	_ZN2at6native12_GLOBAL__N_125multi_tensor_apply_kernelINS1_18TensorListMetadataILi2EEENS1_11CopyFunctorIlN3c1011Float8_e5m2ELi2ELi1ELi1EEEJNS0_4CopyIlS7_EEEEEvT_T0_DpT1_, .Lfunc_end218-_ZN2at6native12_GLOBAL__N_125multi_tensor_apply_kernelINS1_18TensorListMetadataILi2EEENS1_11CopyFunctorIlN3c1011Float8_e5m2ELi2ELi1ELi1EEEJNS0_4CopyIlS7_EEEEEvT_T0_DpT1_
                                        ; -- End function
	.section	.AMDGPU.csdata,"",@progbits
; Kernel info:
; codeLenInByte = 2672
; NumSgprs: 24
; NumVgprs: 33
; ScratchSize: 0
; MemoryBound: 0
; FloatMode: 240
; IeeeMode: 1
; LDSByteSize: 0 bytes/workgroup (compile time only)
; SGPRBlocks: 2
; VGPRBlocks: 4
; NumSGPRsForWavesPerEU: 24
; NumVGPRsForWavesPerEU: 33
; Occupancy: 16
; WaveLimiterHint : 0
; COMPUTE_PGM_RSRC2:SCRATCH_EN: 0
; COMPUTE_PGM_RSRC2:USER_SGPR: 15
; COMPUTE_PGM_RSRC2:TRAP_HANDLER: 0
; COMPUTE_PGM_RSRC2:TGID_X_EN: 1
; COMPUTE_PGM_RSRC2:TGID_Y_EN: 0
; COMPUTE_PGM_RSRC2:TGID_Z_EN: 0
; COMPUTE_PGM_RSRC2:TIDIG_COMP_CNT: 0
	.section	.text._ZN2at6native12_GLOBAL__N_125multi_tensor_apply_kernelINS1_18TensorListMetadataILi2EEENS1_11CopyFunctorIlN3c1015Float8_e5m2fnuzELi2ELi1ELi1EEEJNS0_4CopyIlS7_EEEEEvT_T0_DpT1_,"axG",@progbits,_ZN2at6native12_GLOBAL__N_125multi_tensor_apply_kernelINS1_18TensorListMetadataILi2EEENS1_11CopyFunctorIlN3c1015Float8_e5m2fnuzELi2ELi1ELi1EEEJNS0_4CopyIlS7_EEEEEvT_T0_DpT1_,comdat
	.globl	_ZN2at6native12_GLOBAL__N_125multi_tensor_apply_kernelINS1_18TensorListMetadataILi2EEENS1_11CopyFunctorIlN3c1015Float8_e5m2fnuzELi2ELi1ELi1EEEJNS0_4CopyIlS7_EEEEEvT_T0_DpT1_ ; -- Begin function _ZN2at6native12_GLOBAL__N_125multi_tensor_apply_kernelINS1_18TensorListMetadataILi2EEENS1_11CopyFunctorIlN3c1015Float8_e5m2fnuzELi2ELi1ELi1EEEJNS0_4CopyIlS7_EEEEEvT_T0_DpT1_
	.p2align	8
	.type	_ZN2at6native12_GLOBAL__N_125multi_tensor_apply_kernelINS1_18TensorListMetadataILi2EEENS1_11CopyFunctorIlN3c1015Float8_e5m2fnuzELi2ELi1ELi1EEEJNS0_4CopyIlS7_EEEEEvT_T0_DpT1_,@function
_ZN2at6native12_GLOBAL__N_125multi_tensor_apply_kernelINS1_18TensorListMetadataILi2EEENS1_11CopyFunctorIlN3c1015Float8_e5m2fnuzELi2ELi1ELi1EEEJNS0_4CopyIlS7_EEEEEvT_T0_DpT1_: ; @_ZN2at6native12_GLOBAL__N_125multi_tensor_apply_kernelINS1_18TensorListMetadataILi2EEENS1_11CopyFunctorIlN3c1015Float8_e5m2fnuzELi2ELi1ELi1EEEJNS0_4CopyIlS7_EEEEEvT_T0_DpT1_
; %bb.0:
	v_mov_b32_e32 v1, s15
	s_add_u32 s2, s0, s15
	s_mul_hi_u32 s3, s15, 3
	s_mul_i32 s15, s15, 3
	s_addc_u32 s4, s1, 0
	global_load_u8 v1, v1, s[0:1] offset:1536
	s_add_u32 s2, s2, s15
	s_addc_u32 s3, s4, s3
	s_load_b32 s10, s[2:3], 0x740
	s_waitcnt lgkmcnt(0)
	s_ashr_i32 s11, s10, 31
	s_delay_alu instid0(SALU_CYCLE_1) | instskip(SKIP_2) | instid1(VALU_DEP_1)
	s_lshl_b64 s[8:9], s[10:11], 16
	s_waitcnt vmcnt(0)
	v_readfirstlane_b32 s5, v1
	s_lshl_b32 s2, s5, 3
	s_mov_b32 s5, 0
	s_clause 0x2
	s_load_b64 s[6:7], s[0:1], s2 offset:0x0
	s_load_b64 s[12:13], s[0:1], s2 offset:0x200
	;; [unrolled: 1-line block ×3, first 2 shown]
	s_waitcnt lgkmcnt(0)
	s_add_u32 s14, s6, s8
	s_addc_u32 s15, s7, s9
	s_and_b32 s16, s12, 31
	s_and_b32 s17, s2, 3
	;; [unrolled: 1-line block ×3, first 2 shown]
	s_or_b32 s16, s17, s16
	s_mov_b32 s17, s5
	s_delay_alu instid0(SALU_CYCLE_1)
	s_or_b64 s[16:17], s[4:5], s[16:17]
	s_sub_u32 s4, s2, s8
	s_subb_u32 s5, s3, s9
	s_cmp_eq_u64 s[16:17], 0
	s_mov_b32 s2, -1
	s_cbranch_scc0 .LBB219_29
; %bb.1:
	v_dual_mov_b32 v10, 0 :: v_dual_lshlrev_b32 v9, 2, v0
	s_mov_b32 s16, exec_lo
	s_delay_alu instid0(VALU_DEP_1)
	v_cmpx_gt_i64_e64 s[4:5], v[9:10]
	s_cbranch_execz .LBB219_28
; %bb.2:
	s_load_b32 s17, s[0:1], 0xc5c
	v_lshlrev_b32_e32 v1, 5, v0
	s_lshl_b64 s[2:3], s[10:11], 19
	s_mov_b32 s18, 0
	s_waitcnt lgkmcnt(0)
	s_and_b32 s19, s17, 0xffff
	s_delay_alu instid0(SALU_CYCLE_1) | instskip(SKIP_3) | instid1(VALU_DEP_1)
	s_lshl_b32 s17, s19, 2
	s_add_u32 s2, s12, s2
	s_addc_u32 s3, s13, s3
	v_add_co_u32 v11, s2, s2, v1
	v_add_co_ci_u32_e64 v12, null, s3, 0, s2
	s_lshl_b32 s19, s19, 5
	s_branch .LBB219_4
.LBB219_3:                              ;   in Loop: Header=BB219_4 Depth=1
	s_or_b32 exec_lo, exec_lo, s2
	v_add_co_u32 v9, vcc_lo, s17, v9
	v_add_co_ci_u32_e32 v10, vcc_lo, 0, v10, vcc_lo
	s_clause 0x1
	global_store_b128 v[11:12], v[1:4], off
	global_store_b128 v[11:12], v[5:8], off offset:16
	v_cmp_le_i64_e32 vcc_lo, s[4:5], v[9:10]
	v_cmp_lt_u64_e64 s2, 0xffff, v[9:10]
	s_delay_alu instid0(VALU_DEP_1) | instskip(SKIP_3) | instid1(SALU_CYCLE_1)
	s_or_b32 s2, vcc_lo, s2
	v_add_co_u32 v11, vcc_lo, v11, s19
	v_add_co_ci_u32_e32 v12, vcc_lo, 0, v12, vcc_lo
	s_and_b32 s2, exec_lo, s2
	s_or_b32 s18, s2, s18
	s_delay_alu instid0(SALU_CYCLE_1)
	s_and_not1_b32 exec_lo, exec_lo, s18
	s_cbranch_execz .LBB219_28
.LBB219_4:                              ; =>This Inner Loop Header: Depth=1
	v_add_co_u32 v1, vcc_lo, s14, v9
	v_add_co_ci_u32_e32 v2, vcc_lo, s15, v10, vcc_lo
	s_mov_b32 s20, 0
	s_mov_b32 s21, exec_lo
                                        ; implicit-def: $sgpr2_sgpr3
	global_load_b32 v13, v[1:2], off
	s_waitcnt vmcnt(0)
	v_and_b32_e32 v3, 0xff, v13
	s_delay_alu instid0(VALU_DEP_1)
	v_cmpx_lt_i16_e32 0x7f, v3
	s_xor_b32 s21, exec_lo, s21
; %bb.5:                                ;   in Loop: Header=BB219_4 Depth=1
	v_cmp_ne_u16_e32 vcc_lo, 0x80, v3
	s_mov_b64 s[2:3], 0
                                        ; implicit-def: $vgpr3
	s_and_b32 s20, vcc_lo, exec_lo
; %bb.6:                                ;   in Loop: Header=BB219_4 Depth=1
	s_or_saveexec_b32 s21, s21
	v_dual_mov_b32 v1, s2 :: v_dual_mov_b32 v2, s3
	s_xor_b32 exec_lo, exec_lo, s21
; %bb.7:                                ;   in Loop: Header=BB219_4 Depth=1
	v_cmp_ne_u16_e32 vcc_lo, 0, v3
	v_mov_b32_e32 v1, 0
	v_mov_b32_e32 v2, 0
	s_and_not1_b32 s2, s20, exec_lo
	s_and_b32 s3, vcc_lo, exec_lo
	s_delay_alu instid0(SALU_CYCLE_1)
	s_or_b32 s20, s2, s3
; %bb.8:                                ;   in Loop: Header=BB219_4 Depth=1
	s_or_b32 exec_lo, exec_lo, s21
	s_and_saveexec_b32 s2, s20
	s_cbranch_execz .LBB219_10
; %bb.9:                                ;   in Loop: Header=BB219_4 Depth=1
	v_bfe_u32 v4, v13, 2, 5
	v_lshlrev_b32_e32 v5, 24, v13
	s_delay_alu instid0(VALU_DEP_2) | instskip(SKIP_1) | instid1(VALU_DEP_1)
	v_cmp_eq_u32_e32 vcc_lo, 0, v4
	v_and_b32_e32 v1, 3, v13
	v_clz_i32_u32_e32 v2, v1
	s_delay_alu instid0(VALU_DEP_1) | instskip(NEXT) | instid1(VALU_DEP_1)
	v_min_u32_e32 v2, 32, v2
	v_subrev_nc_u32_e32 v3, 29, v2
	v_sub_nc_u32_e32 v2, 30, v2
	s_delay_alu instid0(VALU_DEP_1) | instskip(NEXT) | instid1(VALU_DEP_1)
	v_dual_cndmask_b32 v2, v4, v2 :: v_dual_lshlrev_b32 v3, v3, v13
	v_and_b32_e32 v3, 3, v3
	s_delay_alu instid0(VALU_DEP_2) | instskip(NEXT) | instid1(VALU_DEP_2)
	v_lshl_add_u32 v2, v2, 23, 0x37800000
	v_cndmask_b32_e32 v1, v1, v3, vcc_lo
	v_and_b32_e32 v3, 0x80000000, v5
	s_delay_alu instid0(VALU_DEP_2) | instskip(NEXT) | instid1(VALU_DEP_1)
	v_lshlrev_b32_e32 v1, 21, v1
	v_or3_b32 v1, v3, v2, v1
	s_delay_alu instid0(VALU_DEP_1) | instskip(NEXT) | instid1(VALU_DEP_1)
	v_trunc_f32_e32 v1, v1
	v_mul_f32_e64 v2, 0x2f800000, |v1|
	v_ashrrev_i32_e32 v4, 31, v1
	s_delay_alu instid0(VALU_DEP_2) | instskip(NEXT) | instid1(VALU_DEP_1)
	v_floor_f32_e32 v2, v2
	v_fma_f32 v3, 0xcf800000, v2, |v1|
	v_cvt_u32_f32_e32 v2, v2
	s_delay_alu instid0(VALU_DEP_2) | instskip(NEXT) | instid1(VALU_DEP_2)
	v_cvt_u32_f32_e32 v1, v3
	v_xor_b32_e32 v2, v2, v4
	s_delay_alu instid0(VALU_DEP_2) | instskip(NEXT) | instid1(VALU_DEP_1)
	v_xor_b32_e32 v1, v1, v4
	v_sub_co_u32 v1, vcc_lo, v1, v4
	s_delay_alu instid0(VALU_DEP_3)
	v_sub_co_ci_u32_e32 v2, vcc_lo, v2, v4, vcc_lo
.LBB219_10:                             ;   in Loop: Header=BB219_4 Depth=1
	s_or_b32 exec_lo, exec_lo, s2
	v_lshrrev_b32_e32 v5, 8, v13
	s_mov_b32 s20, 0
	s_mov_b32 s21, exec_lo
                                        ; implicit-def: $sgpr2_sgpr3
	s_delay_alu instid0(VALU_DEP_1) | instskip(NEXT) | instid1(VALU_DEP_1)
	v_and_b32_e32 v6, 0xff, v5
	v_cmpx_lt_i16_e32 0x7f, v6
	s_xor_b32 s21, exec_lo, s21
; %bb.11:                               ;   in Loop: Header=BB219_4 Depth=1
	v_cmp_ne_u16_e32 vcc_lo, 0x80, v6
	s_mov_b64 s[2:3], 0
                                        ; implicit-def: $vgpr6
	s_and_b32 s20, vcc_lo, exec_lo
; %bb.12:                               ;   in Loop: Header=BB219_4 Depth=1
	s_or_saveexec_b32 s21, s21
	v_dual_mov_b32 v4, s3 :: v_dual_mov_b32 v3, s2
	s_xor_b32 exec_lo, exec_lo, s21
; %bb.13:                               ;   in Loop: Header=BB219_4 Depth=1
	v_cmp_ne_u16_e32 vcc_lo, 0, v6
	v_mov_b32_e32 v3, 0
	v_mov_b32_e32 v4, 0
	s_and_not1_b32 s2, s20, exec_lo
	s_and_b32 s3, vcc_lo, exec_lo
	s_delay_alu instid0(SALU_CYCLE_1)
	s_or_b32 s20, s2, s3
; %bb.14:                               ;   in Loop: Header=BB219_4 Depth=1
	s_or_b32 exec_lo, exec_lo, s21
	s_and_saveexec_b32 s2, s20
	s_cbranch_execz .LBB219_16
; %bb.15:                               ;   in Loop: Header=BB219_4 Depth=1
	v_bfe_u32 v3, v13, 8, 2
	v_bfe_u32 v7, v13, 10, 5
	s_delay_alu instid0(VALU_DEP_2) | instskip(NEXT) | instid1(VALU_DEP_2)
	v_clz_i32_u32_e32 v4, v3
	v_cmp_eq_u32_e32 vcc_lo, 0, v7
	s_delay_alu instid0(VALU_DEP_2) | instskip(NEXT) | instid1(VALU_DEP_1)
	v_min_u32_e32 v4, 32, v4
	v_subrev_nc_u32_e32 v6, 29, v4
	v_sub_nc_u32_e32 v4, 30, v4
	s_delay_alu instid0(VALU_DEP_2) | instskip(NEXT) | instid1(VALU_DEP_2)
	v_lshlrev_b32_e32 v6, v6, v5
	v_dual_cndmask_b32 v4, v7, v4 :: v_dual_lshlrev_b32 v5, 24, v5
	s_delay_alu instid0(VALU_DEP_2) | instskip(NEXT) | instid1(VALU_DEP_2)
	v_and_b32_e32 v6, 3, v6
	v_and_b32_e32 v5, 0x80000000, v5
	s_delay_alu instid0(VALU_DEP_3) | instskip(NEXT) | instid1(VALU_DEP_3)
	v_lshl_add_u32 v4, v4, 23, 0x37800000
	v_cndmask_b32_e32 v3, v3, v6, vcc_lo
	s_delay_alu instid0(VALU_DEP_1) | instskip(NEXT) | instid1(VALU_DEP_1)
	v_lshlrev_b32_e32 v3, 21, v3
	v_or3_b32 v3, v5, v4, v3
	s_delay_alu instid0(VALU_DEP_1) | instskip(NEXT) | instid1(VALU_DEP_1)
	v_trunc_f32_e32 v3, v3
	v_mul_f32_e64 v4, 0x2f800000, |v3|
	v_ashrrev_i32_e32 v6, 31, v3
	s_delay_alu instid0(VALU_DEP_2) | instskip(NEXT) | instid1(VALU_DEP_1)
	v_floor_f32_e32 v4, v4
	v_fma_f32 v5, 0xcf800000, v4, |v3|
	v_cvt_u32_f32_e32 v4, v4
	s_delay_alu instid0(VALU_DEP_2) | instskip(NEXT) | instid1(VALU_DEP_2)
	v_cvt_u32_f32_e32 v3, v5
	v_xor_b32_e32 v4, v4, v6
	s_delay_alu instid0(VALU_DEP_2) | instskip(NEXT) | instid1(VALU_DEP_1)
	v_xor_b32_e32 v3, v3, v6
	v_sub_co_u32 v3, vcc_lo, v3, v6
	s_delay_alu instid0(VALU_DEP_3)
	v_sub_co_ci_u32_e32 v4, vcc_lo, v4, v6, vcc_lo
.LBB219_16:                             ;   in Loop: Header=BB219_4 Depth=1
	s_or_b32 exec_lo, exec_lo, s2
	v_lshrrev_b32_e32 v7, 16, v13
	s_mov_b32 s20, 0
	s_mov_b32 s21, exec_lo
                                        ; implicit-def: $sgpr2_sgpr3
	s_delay_alu instid0(VALU_DEP_1) | instskip(NEXT) | instid1(VALU_DEP_1)
	v_and_b32_e32 v8, 0xff, v7
	v_cmpx_lt_i16_e32 0x7f, v8
	s_xor_b32 s21, exec_lo, s21
; %bb.17:                               ;   in Loop: Header=BB219_4 Depth=1
	v_cmp_ne_u16_e32 vcc_lo, 0x80, v8
	s_mov_b64 s[2:3], 0
                                        ; implicit-def: $vgpr8
	s_and_b32 s20, vcc_lo, exec_lo
; %bb.18:                               ;   in Loop: Header=BB219_4 Depth=1
	s_or_saveexec_b32 s21, s21
	v_dual_mov_b32 v6, s3 :: v_dual_mov_b32 v5, s2
	s_xor_b32 exec_lo, exec_lo, s21
; %bb.19:                               ;   in Loop: Header=BB219_4 Depth=1
	v_cmp_ne_u16_e32 vcc_lo, 0, v8
	v_mov_b32_e32 v5, 0
	v_mov_b32_e32 v6, 0
	s_and_not1_b32 s2, s20, exec_lo
	s_and_b32 s3, vcc_lo, exec_lo
	s_delay_alu instid0(SALU_CYCLE_1)
	s_or_b32 s20, s2, s3
; %bb.20:                               ;   in Loop: Header=BB219_4 Depth=1
	s_or_b32 exec_lo, exec_lo, s21
	s_and_saveexec_b32 s2, s20
	s_cbranch_execz .LBB219_22
; %bb.21:                               ;   in Loop: Header=BB219_4 Depth=1
	v_bfe_u32 v5, v13, 16, 2
	v_bfe_u32 v14, v13, 18, 5
	s_delay_alu instid0(VALU_DEP_2) | instskip(NEXT) | instid1(VALU_DEP_2)
	v_clz_i32_u32_e32 v6, v5
	v_cmp_eq_u32_e32 vcc_lo, 0, v14
	s_delay_alu instid0(VALU_DEP_2) | instskip(NEXT) | instid1(VALU_DEP_1)
	v_min_u32_e32 v6, 32, v6
	v_subrev_nc_u32_e32 v8, 29, v6
	v_sub_nc_u32_e32 v6, 30, v6
	s_delay_alu instid0(VALU_DEP_2) | instskip(NEXT) | instid1(VALU_DEP_2)
	v_lshlrev_b32_e32 v8, v8, v7
	v_dual_cndmask_b32 v6, v14, v6 :: v_dual_lshlrev_b32 v7, 24, v7
	s_delay_alu instid0(VALU_DEP_2) | instskip(NEXT) | instid1(VALU_DEP_2)
	v_and_b32_e32 v8, 3, v8
	v_and_b32_e32 v7, 0x80000000, v7
	s_delay_alu instid0(VALU_DEP_3) | instskip(NEXT) | instid1(VALU_DEP_3)
	v_lshl_add_u32 v6, v6, 23, 0x37800000
	v_cndmask_b32_e32 v5, v5, v8, vcc_lo
	s_delay_alu instid0(VALU_DEP_1) | instskip(NEXT) | instid1(VALU_DEP_1)
	v_lshlrev_b32_e32 v5, 21, v5
	v_or3_b32 v5, v7, v6, v5
	s_delay_alu instid0(VALU_DEP_1) | instskip(NEXT) | instid1(VALU_DEP_1)
	v_trunc_f32_e32 v5, v5
	v_mul_f32_e64 v6, 0x2f800000, |v5|
	v_ashrrev_i32_e32 v8, 31, v5
	s_delay_alu instid0(VALU_DEP_2) | instskip(NEXT) | instid1(VALU_DEP_1)
	v_floor_f32_e32 v6, v6
	v_fma_f32 v7, 0xcf800000, v6, |v5|
	v_cvt_u32_f32_e32 v6, v6
	s_delay_alu instid0(VALU_DEP_2) | instskip(NEXT) | instid1(VALU_DEP_2)
	v_cvt_u32_f32_e32 v5, v7
	v_xor_b32_e32 v6, v6, v8
	s_delay_alu instid0(VALU_DEP_2) | instskip(NEXT) | instid1(VALU_DEP_1)
	v_xor_b32_e32 v5, v5, v8
	v_sub_co_u32 v5, vcc_lo, v5, v8
	s_delay_alu instid0(VALU_DEP_3)
	v_sub_co_ci_u32_e32 v6, vcc_lo, v6, v8, vcc_lo
.LBB219_22:                             ;   in Loop: Header=BB219_4 Depth=1
	s_or_b32 exec_lo, exec_lo, s2
	v_lshrrev_b32_e32 v14, 24, v13
	s_mov_b32 s20, 0
	s_mov_b32 s21, exec_lo
                                        ; implicit-def: $sgpr2_sgpr3
	s_delay_alu instid0(VALU_DEP_1)
	v_cmpx_lt_i16_e32 0x7f, v14
	s_xor_b32 s21, exec_lo, s21
; %bb.23:                               ;   in Loop: Header=BB219_4 Depth=1
	v_cmp_ne_u16_e32 vcc_lo, 0x80, v14
	s_mov_b64 s[2:3], 0
	s_and_b32 s20, vcc_lo, exec_lo
; %bb.24:                               ;   in Loop: Header=BB219_4 Depth=1
	s_or_saveexec_b32 s21, s21
	v_dual_mov_b32 v8, s3 :: v_dual_mov_b32 v7, s2
	s_xor_b32 exec_lo, exec_lo, s21
; %bb.25:                               ;   in Loop: Header=BB219_4 Depth=1
	v_cmp_ne_u16_e32 vcc_lo, 0, v14
	v_mov_b32_e32 v7, 0
	v_mov_b32_e32 v8, 0
	s_and_not1_b32 s2, s20, exec_lo
	s_and_b32 s3, vcc_lo, exec_lo
	s_delay_alu instid0(SALU_CYCLE_1)
	s_or_b32 s20, s2, s3
; %bb.26:                               ;   in Loop: Header=BB219_4 Depth=1
	s_or_b32 exec_lo, exec_lo, s21
	s_and_saveexec_b32 s2, s20
	s_cbranch_execz .LBB219_3
; %bb.27:                               ;   in Loop: Header=BB219_4 Depth=1
	v_bfe_u32 v7, v13, 24, 2
	s_delay_alu instid0(VALU_DEP_1) | instskip(NEXT) | instid1(VALU_DEP_1)
	v_clz_i32_u32_e32 v8, v7
	v_min_u32_e32 v8, 32, v8
	s_delay_alu instid0(VALU_DEP_1) | instskip(SKIP_1) | instid1(VALU_DEP_2)
	v_subrev_nc_u32_e32 v15, 29, v8
	v_sub_nc_u32_e32 v8, 30, v8
	v_lshlrev_b32_e32 v14, v15, v14
	v_bfe_u32 v15, v13, 26, 5
	v_and_b32_e32 v13, 0x80000000, v13
	s_delay_alu instid0(VALU_DEP_3) | instskip(NEXT) | instid1(VALU_DEP_3)
	v_and_b32_e32 v14, 3, v14
	v_cmp_eq_u32_e32 vcc_lo, 0, v15
	v_cndmask_b32_e32 v8, v15, v8, vcc_lo
	s_delay_alu instid0(VALU_DEP_3) | instskip(NEXT) | instid1(VALU_DEP_2)
	v_cndmask_b32_e32 v7, v7, v14, vcc_lo
	v_lshl_add_u32 v8, v8, 23, 0x37800000
	s_delay_alu instid0(VALU_DEP_2) | instskip(NEXT) | instid1(VALU_DEP_1)
	v_lshlrev_b32_e32 v7, 21, v7
	v_or3_b32 v7, v13, v8, v7
	s_delay_alu instid0(VALU_DEP_1) | instskip(NEXT) | instid1(VALU_DEP_1)
	v_trunc_f32_e32 v7, v7
	v_mul_f32_e64 v8, 0x2f800000, |v7|
	v_ashrrev_i32_e32 v14, 31, v7
	s_delay_alu instid0(VALU_DEP_2) | instskip(NEXT) | instid1(VALU_DEP_1)
	v_floor_f32_e32 v8, v8
	v_fma_f32 v13, 0xcf800000, v8, |v7|
	v_cvt_u32_f32_e32 v8, v8
	s_delay_alu instid0(VALU_DEP_2) | instskip(NEXT) | instid1(VALU_DEP_2)
	v_cvt_u32_f32_e32 v7, v13
	v_xor_b32_e32 v8, v8, v14
	s_delay_alu instid0(VALU_DEP_2) | instskip(NEXT) | instid1(VALU_DEP_1)
	v_xor_b32_e32 v7, v7, v14
	v_sub_co_u32 v7, vcc_lo, v7, v14
	s_delay_alu instid0(VALU_DEP_3)
	v_sub_co_ci_u32_e32 v8, vcc_lo, v8, v14, vcc_lo
	s_branch .LBB219_3
.LBB219_28:
	s_or_b32 exec_lo, exec_lo, s16
	s_mov_b32 s2, 0
.LBB219_29:
	s_delay_alu instid0(SALU_CYCLE_1)
	s_and_not1_b32 vcc_lo, exec_lo, s2
	s_cbranch_vccnz .LBB219_73
; %bb.30:
	v_cmp_lt_i64_e64 s2, s[4:5], 1
	s_delay_alu instid0(VALU_DEP_1)
	s_and_b32 vcc_lo, exec_lo, s2
	s_cbranch_vccnz .LBB219_73
; %bb.31:
	s_load_b32 s0, s[0:1], 0xc5c
	v_cmp_gt_u64_e64 s1, 0x10000, s[4:5]
	v_add_co_u32 v3, s2, s8, v0
	v_lshlrev_b32_e32 v1, 3, v0
	v_add_co_ci_u32_e64 v4, null, s9, 0, s2
	s_delay_alu instid0(VALU_DEP_3) | instskip(NEXT) | instid1(VALU_DEP_2)
	v_add_co_u32 v21, vcc_lo, s6, v3
                                        ; implicit-def: $vgpr35
                                        ; implicit-def: $vgpr36
                                        ; implicit-def: $vgpr37
                                        ; implicit-def: $vgpr38
	v_add_co_ci_u32_e32 v22, vcc_lo, s7, v4, vcc_lo
	s_waitcnt lgkmcnt(0)
	s_and_b32 s14, s0, 0xffff
	s_and_b32 s0, s1, exec_lo
	s_cselect_b32 s3, s5, 0
	s_cselect_b32 s2, s4, 0x10000
	s_lshl_b64 s[0:1], s[10:11], 19
	s_lshl_b32 s15, s14, 1
	s_lshl_b32 s10, s14, 2
	s_add_u32 s0, s12, s0
	s_mul_i32 s16, s14, 3
	s_addc_u32 s1, s13, s1
	s_lshl_b32 s11, s14, 5
	v_add_co_u32 v1, s13, s0, v1
	s_add_u32 s12, s8, s16
	v_add_co_ci_u32_e64 v2, null, s1, 0, s13
	s_addc_u32 s13, s9, 0
	s_add_u32 s12, s6, s12
	s_addc_u32 s13, s7, s13
	s_add_u32 s8, s8, s15
	;; [unrolled: 2-line block ×3, first 2 shown]
	s_addc_u32 s9, s7, s9
	v_add_co_u32 v27, s8, s8, v0
	s_delay_alu instid0(VALU_DEP_1) | instskip(SKIP_1) | instid1(VALU_DEP_1)
	v_add_co_ci_u32_e64 v28, null, s9, 0, s8
	v_add_co_u32 v29, s9, s15, v0
	v_add_co_ci_u32_e64 v30, null, 0, 0, s9
	v_add_co_u32 v31, s9, v0, s14
	s_lshl_b32 s8, s14, 4
	v_add_co_u32 v23, s12, s12, v0
	s_delay_alu instid0(VALU_DEP_2)
	v_lshlrev_b32_e32 v5, 3, v31
	s_add_u32 s6, s6, s14
	v_add_co_ci_u32_e64 v24, null, s13, 0, s12
	v_add_co_u32 v25, s12, s16, v0
	s_addc_u32 s7, s7, 0
	v_add_co_u32 v33, vcc_lo, s6, v3
	v_add_co_u32 v3, s0, s0, v5
	v_add_co_ci_u32_e64 v26, null, 0, 0, s12
	v_add_co_ci_u32_e64 v32, null, 0, 0, s9
	v_add_co_ci_u32_e32 v34, vcc_lo, s7, v4, vcc_lo
	v_add_co_ci_u32_e64 v4, null, s1, 0, s0
	s_mul_i32 s9, s14, 24
	s_mov_b64 s[6:7], 0
	s_branch .LBB219_33
.LBB219_32:                             ;   in Loop: Header=BB219_33 Depth=1
	s_or_b32 exec_lo, exec_lo, s0
	s_add_u32 s6, s6, s10
	s_addc_u32 s7, s7, 0
	v_add_co_u32 v1, vcc_lo, v1, s11
	v_cmp_ge_i64_e64 s0, s[6:7], s[4:5]
	v_cmp_lt_u64_e64 s1, 0xffff, s[6:7]
	v_add_co_ci_u32_e32 v2, vcc_lo, 0, v2, vcc_lo
	v_add_co_u32 v3, vcc_lo, v3, s11
	v_add_co_ci_u32_e32 v4, vcc_lo, 0, v4, vcc_lo
	s_delay_alu instid0(VALU_DEP_4) | instskip(NEXT) | instid1(SALU_CYCLE_1)
	s_or_b32 s0, s0, s1
	s_and_b32 vcc_lo, exec_lo, s0
	s_cbranch_vccnz .LBB219_73
.LBB219_33:                             ; =>This Inner Loop Header: Depth=1
	v_add_co_u32 v5, s0, v0, s6
	s_delay_alu instid0(VALU_DEP_1) | instskip(NEXT) | instid1(VALU_DEP_1)
	v_add_co_ci_u32_e64 v6, null, 0, s7, s0
	v_cmp_gt_i64_e32 vcc_lo, s[4:5], v[5:6]
	v_cmp_gt_u64_e64 s0, 0x10000, v[5:6]
	s_delay_alu instid0(VALU_DEP_1) | instskip(NEXT) | instid1(SALU_CYCLE_1)
	s_and_b32 s1, vcc_lo, s0
	s_and_saveexec_b32 s0, s1
	s_cbranch_execz .LBB219_35
; %bb.34:                               ;   in Loop: Header=BB219_33 Depth=1
	v_add_co_u32 v7, vcc_lo, v21, s6
	v_add_co_ci_u32_e32 v8, vcc_lo, s7, v22, vcc_lo
	global_load_u8 v38, v[7:8], off
.LBB219_35:                             ;   in Loop: Header=BB219_33 Depth=1
	s_or_b32 exec_lo, exec_lo, s0
	v_add_co_u32 v7, vcc_lo, v31, s6
	v_add_co_ci_u32_e32 v8, vcc_lo, s7, v32, vcc_lo
	s_delay_alu instid0(VALU_DEP_1) | instskip(SKIP_1) | instid1(VALU_DEP_1)
	v_cmp_gt_i64_e32 vcc_lo, s[4:5], v[7:8]
	v_cmp_gt_u64_e64 s0, 0x10000, v[7:8]
	s_and_b32 s1, vcc_lo, s0
	s_delay_alu instid0(SALU_CYCLE_1)
	s_and_saveexec_b32 s0, s1
	s_cbranch_execz .LBB219_37
; %bb.36:                               ;   in Loop: Header=BB219_33 Depth=1
	v_add_co_u32 v9, vcc_lo, v33, s6
	v_add_co_ci_u32_e32 v10, vcc_lo, s7, v34, vcc_lo
	global_load_u8 v37, v[9:10], off
.LBB219_37:                             ;   in Loop: Header=BB219_33 Depth=1
	s_or_b32 exec_lo, exec_lo, s0
	v_add_co_u32 v9, vcc_lo, v29, s6
	v_add_co_ci_u32_e32 v10, vcc_lo, s7, v30, vcc_lo
	s_delay_alu instid0(VALU_DEP_1) | instskip(SKIP_1) | instid1(VALU_DEP_1)
	v_cmp_gt_i64_e32 vcc_lo, s[4:5], v[9:10]
	v_cmp_gt_u64_e64 s0, 0x10000, v[9:10]
	s_and_b32 s1, vcc_lo, s0
	s_delay_alu instid0(SALU_CYCLE_1)
	;; [unrolled: 15-line block ×3, first 2 shown]
	s_and_saveexec_b32 s0, s1
	s_cbranch_execz .LBB219_41
; %bb.40:                               ;   in Loop: Header=BB219_33 Depth=1
	v_add_co_u32 v13, vcc_lo, v23, s6
	v_add_co_ci_u32_e32 v14, vcc_lo, s7, v24, vcc_lo
	global_load_u8 v35, v[13:14], off
.LBB219_41:                             ;   in Loop: Header=BB219_33 Depth=1
	s_or_b32 exec_lo, exec_lo, s0
	s_waitcnt vmcnt(0)
	v_and_b32_e32 v15, 0xff, v38
	s_mov_b32 s12, 0
	s_mov_b32 s13, exec_lo
                                        ; implicit-def: $sgpr0_sgpr1
	s_delay_alu instid0(VALU_DEP_1)
	v_cmpx_lt_i16_e32 0x7f, v15
	s_xor_b32 s13, exec_lo, s13
; %bb.42:                               ;   in Loop: Header=BB219_33 Depth=1
	v_cmp_ne_u16_e32 vcc_lo, 0x80, v15
	s_mov_b64 s[0:1], 0
                                        ; implicit-def: $vgpr15
	s_and_b32 s12, vcc_lo, exec_lo
; %bb.43:                               ;   in Loop: Header=BB219_33 Depth=1
	s_or_saveexec_b32 s13, s13
	v_dual_mov_b32 v14, s1 :: v_dual_mov_b32 v13, s0
	s_xor_b32 exec_lo, exec_lo, s13
; %bb.44:                               ;   in Loop: Header=BB219_33 Depth=1
	v_cmp_ne_u16_e32 vcc_lo, 0, v15
	v_mov_b32_e32 v13, 0
	v_mov_b32_e32 v14, 0
	s_and_not1_b32 s0, s12, exec_lo
	s_and_b32 s1, vcc_lo, exec_lo
	s_delay_alu instid0(SALU_CYCLE_1)
	s_or_b32 s12, s0, s1
; %bb.45:                               ;   in Loop: Header=BB219_33 Depth=1
	s_or_b32 exec_lo, exec_lo, s13
	s_and_saveexec_b32 s0, s12
	s_cbranch_execz .LBB219_47
; %bb.46:                               ;   in Loop: Header=BB219_33 Depth=1
	v_and_b32_e32 v13, 3, v38
	v_lshrrev_b16 v16, 2, v38
	v_lshlrev_b32_e32 v17, 24, v38
	s_delay_alu instid0(VALU_DEP_3) | instskip(NEXT) | instid1(VALU_DEP_1)
	v_clz_i32_u32_e32 v14, v13
	v_min_u32_e32 v14, 32, v14
	s_delay_alu instid0(VALU_DEP_1) | instskip(SKIP_1) | instid1(VALU_DEP_2)
	v_subrev_nc_u32_e32 v15, 29, v14
	v_sub_nc_u32_e32 v14, 30, v14
	v_lshlrev_b32_e32 v15, v15, v38
	s_delay_alu instid0(VALU_DEP_1) | instskip(SKIP_1) | instid1(VALU_DEP_1)
	v_and_b32_e32 v15, 3, v15
	v_and_b32_e32 v16, 31, v16
	v_cmp_eq_u32_e32 vcc_lo, 0, v16
	s_delay_alu instid0(VALU_DEP_3) | instskip(SKIP_1) | instid1(VALU_DEP_2)
	v_dual_cndmask_b32 v13, v13, v15 :: v_dual_cndmask_b32 v14, v16, v14
	v_and_b32_e32 v15, 0x80000000, v17
	v_lshlrev_b32_e32 v13, 21, v13
	s_delay_alu instid0(VALU_DEP_3) | instskip(NEXT) | instid1(VALU_DEP_1)
	v_lshl_add_u32 v14, v14, 23, 0x37800000
	v_or3_b32 v13, v15, v14, v13
	s_delay_alu instid0(VALU_DEP_1) | instskip(NEXT) | instid1(VALU_DEP_1)
	v_trunc_f32_e32 v13, v13
	v_mul_f32_e64 v14, 0x2f800000, |v13|
	v_ashrrev_i32_e32 v16, 31, v13
	s_delay_alu instid0(VALU_DEP_2) | instskip(NEXT) | instid1(VALU_DEP_1)
	v_floor_f32_e32 v14, v14
	v_fma_f32 v15, 0xcf800000, v14, |v13|
	v_cvt_u32_f32_e32 v14, v14
	s_delay_alu instid0(VALU_DEP_2) | instskip(NEXT) | instid1(VALU_DEP_2)
	v_cvt_u32_f32_e32 v13, v15
	v_xor_b32_e32 v14, v14, v16
	s_delay_alu instid0(VALU_DEP_2) | instskip(NEXT) | instid1(VALU_DEP_1)
	v_xor_b32_e32 v13, v13, v16
	v_sub_co_u32 v13, vcc_lo, v13, v16
	s_delay_alu instid0(VALU_DEP_3)
	v_sub_co_ci_u32_e32 v14, vcc_lo, v14, v16, vcc_lo
.LBB219_47:                             ;   in Loop: Header=BB219_33 Depth=1
	s_or_b32 exec_lo, exec_lo, s0
	v_and_b32_e32 v17, 0xff, v37
	s_mov_b32 s12, 0
	s_mov_b32 s13, exec_lo
                                        ; implicit-def: $sgpr0_sgpr1
	s_delay_alu instid0(VALU_DEP_1)
	v_cmpx_lt_i16_e32 0x7f, v17
	s_xor_b32 s13, exec_lo, s13
; %bb.48:                               ;   in Loop: Header=BB219_33 Depth=1
	v_cmp_ne_u16_e32 vcc_lo, 0x80, v17
	s_mov_b64 s[0:1], 0
                                        ; implicit-def: $vgpr17
	s_and_b32 s12, vcc_lo, exec_lo
; %bb.49:                               ;   in Loop: Header=BB219_33 Depth=1
	s_or_saveexec_b32 s13, s13
	v_dual_mov_b32 v16, s1 :: v_dual_mov_b32 v15, s0
	s_xor_b32 exec_lo, exec_lo, s13
; %bb.50:                               ;   in Loop: Header=BB219_33 Depth=1
	v_cmp_ne_u16_e32 vcc_lo, 0, v17
	v_mov_b32_e32 v15, 0
	v_mov_b32_e32 v16, 0
	s_and_not1_b32 s0, s12, exec_lo
	s_and_b32 s1, vcc_lo, exec_lo
	s_delay_alu instid0(SALU_CYCLE_1)
	s_or_b32 s12, s0, s1
; %bb.51:                               ;   in Loop: Header=BB219_33 Depth=1
	s_or_b32 exec_lo, exec_lo, s13
	s_and_saveexec_b32 s0, s12
	s_cbranch_execz .LBB219_53
; %bb.52:                               ;   in Loop: Header=BB219_33 Depth=1
	v_lshrrev_b16 v18, 2, v37
	v_lshlrev_b32_e32 v19, 24, v37
	s_delay_alu instid0(VALU_DEP_2) | instskip(NEXT) | instid1(VALU_DEP_1)
	v_and_b32_e32 v18, 31, v18
	v_cmp_eq_u32_e32 vcc_lo, 0, v18
	v_and_b32_e32 v15, 3, v37
	s_delay_alu instid0(VALU_DEP_1) | instskip(NEXT) | instid1(VALU_DEP_1)
	v_clz_i32_u32_e32 v16, v15
	v_min_u32_e32 v16, 32, v16
	s_delay_alu instid0(VALU_DEP_1) | instskip(SKIP_1) | instid1(VALU_DEP_1)
	v_subrev_nc_u32_e32 v17, 29, v16
	v_sub_nc_u32_e32 v16, 30, v16
	v_dual_cndmask_b32 v16, v18, v16 :: v_dual_lshlrev_b32 v17, v17, v37
	s_delay_alu instid0(VALU_DEP_1) | instskip(NEXT) | instid1(VALU_DEP_2)
	v_and_b32_e32 v17, 3, v17
	v_lshl_add_u32 v16, v16, 23, 0x37800000
	s_delay_alu instid0(VALU_DEP_2) | instskip(SKIP_1) | instid1(VALU_DEP_2)
	v_cndmask_b32_e32 v15, v15, v17, vcc_lo
	v_and_b32_e32 v17, 0x80000000, v19
	v_lshlrev_b32_e32 v15, 21, v15
	s_delay_alu instid0(VALU_DEP_1) | instskip(NEXT) | instid1(VALU_DEP_1)
	v_or3_b32 v15, v17, v16, v15
	v_trunc_f32_e32 v15, v15
	s_delay_alu instid0(VALU_DEP_1) | instskip(SKIP_1) | instid1(VALU_DEP_2)
	v_mul_f32_e64 v16, 0x2f800000, |v15|
	v_ashrrev_i32_e32 v18, 31, v15
	v_floor_f32_e32 v16, v16
	s_delay_alu instid0(VALU_DEP_1) | instskip(SKIP_1) | instid1(VALU_DEP_2)
	v_fma_f32 v17, 0xcf800000, v16, |v15|
	v_cvt_u32_f32_e32 v16, v16
	v_cvt_u32_f32_e32 v15, v17
	s_delay_alu instid0(VALU_DEP_2) | instskip(NEXT) | instid1(VALU_DEP_2)
	v_xor_b32_e32 v16, v16, v18
	v_xor_b32_e32 v15, v15, v18
	s_delay_alu instid0(VALU_DEP_1) | instskip(NEXT) | instid1(VALU_DEP_3)
	v_sub_co_u32 v15, vcc_lo, v15, v18
	v_sub_co_ci_u32_e32 v16, vcc_lo, v16, v18, vcc_lo
.LBB219_53:                             ;   in Loop: Header=BB219_33 Depth=1
	s_or_b32 exec_lo, exec_lo, s0
	v_and_b32_e32 v19, 0xff, v36
	s_mov_b32 s12, 0
	s_mov_b32 s13, exec_lo
                                        ; implicit-def: $sgpr0_sgpr1
	s_delay_alu instid0(VALU_DEP_1)
	v_cmpx_lt_i16_e32 0x7f, v19
	s_xor_b32 s13, exec_lo, s13
; %bb.54:                               ;   in Loop: Header=BB219_33 Depth=1
	v_cmp_ne_u16_e32 vcc_lo, 0x80, v19
	s_mov_b64 s[0:1], 0
                                        ; implicit-def: $vgpr19
	s_and_b32 s12, vcc_lo, exec_lo
; %bb.55:                               ;   in Loop: Header=BB219_33 Depth=1
	s_or_saveexec_b32 s13, s13
	v_dual_mov_b32 v18, s1 :: v_dual_mov_b32 v17, s0
	s_xor_b32 exec_lo, exec_lo, s13
; %bb.56:                               ;   in Loop: Header=BB219_33 Depth=1
	v_cmp_ne_u16_e32 vcc_lo, 0, v19
	v_mov_b32_e32 v17, 0
	v_mov_b32_e32 v18, 0
	s_and_not1_b32 s0, s12, exec_lo
	s_and_b32 s1, vcc_lo, exec_lo
	s_delay_alu instid0(SALU_CYCLE_1)
	s_or_b32 s12, s0, s1
; %bb.57:                               ;   in Loop: Header=BB219_33 Depth=1
	s_or_b32 exec_lo, exec_lo, s13
	s_and_saveexec_b32 s0, s12
	s_cbranch_execz .LBB219_59
; %bb.58:                               ;   in Loop: Header=BB219_33 Depth=1
	v_lshrrev_b16 v20, 2, v36
	v_lshlrev_b32_e32 v39, 24, v36
	s_delay_alu instid0(VALU_DEP_2) | instskip(NEXT) | instid1(VALU_DEP_1)
	v_and_b32_e32 v20, 31, v20
	v_cmp_eq_u32_e32 vcc_lo, 0, v20
	v_and_b32_e32 v17, 3, v36
	s_delay_alu instid0(VALU_DEP_1) | instskip(NEXT) | instid1(VALU_DEP_1)
	v_clz_i32_u32_e32 v18, v17
	v_min_u32_e32 v18, 32, v18
	s_delay_alu instid0(VALU_DEP_1) | instskip(SKIP_1) | instid1(VALU_DEP_1)
	v_subrev_nc_u32_e32 v19, 29, v18
	v_sub_nc_u32_e32 v18, 30, v18
	v_dual_cndmask_b32 v18, v20, v18 :: v_dual_lshlrev_b32 v19, v19, v36
	s_delay_alu instid0(VALU_DEP_1) | instskip(NEXT) | instid1(VALU_DEP_2)
	v_and_b32_e32 v19, 3, v19
	v_lshl_add_u32 v18, v18, 23, 0x37800000
	s_delay_alu instid0(VALU_DEP_2) | instskip(SKIP_1) | instid1(VALU_DEP_2)
	v_cndmask_b32_e32 v17, v17, v19, vcc_lo
	v_and_b32_e32 v19, 0x80000000, v39
	v_lshlrev_b32_e32 v17, 21, v17
	s_delay_alu instid0(VALU_DEP_1) | instskip(NEXT) | instid1(VALU_DEP_1)
	v_or3_b32 v17, v19, v18, v17
	v_trunc_f32_e32 v17, v17
	s_delay_alu instid0(VALU_DEP_1) | instskip(SKIP_1) | instid1(VALU_DEP_2)
	v_mul_f32_e64 v18, 0x2f800000, |v17|
	v_ashrrev_i32_e32 v20, 31, v17
	v_floor_f32_e32 v18, v18
	s_delay_alu instid0(VALU_DEP_1) | instskip(SKIP_1) | instid1(VALU_DEP_2)
	v_fma_f32 v19, 0xcf800000, v18, |v17|
	v_cvt_u32_f32_e32 v18, v18
	v_cvt_u32_f32_e32 v17, v19
	s_delay_alu instid0(VALU_DEP_2) | instskip(NEXT) | instid1(VALU_DEP_2)
	v_xor_b32_e32 v18, v18, v20
	v_xor_b32_e32 v17, v17, v20
	s_delay_alu instid0(VALU_DEP_1) | instskip(NEXT) | instid1(VALU_DEP_3)
	v_sub_co_u32 v17, vcc_lo, v17, v20
	v_sub_co_ci_u32_e32 v18, vcc_lo, v18, v20, vcc_lo
.LBB219_59:                             ;   in Loop: Header=BB219_33 Depth=1
	s_or_b32 exec_lo, exec_lo, s0
	v_and_b32_e32 v39, 0xff, v35
	s_mov_b32 s12, 0
	s_mov_b32 s13, exec_lo
                                        ; implicit-def: $sgpr0_sgpr1
	s_delay_alu instid0(VALU_DEP_1)
	v_cmpx_lt_i16_e32 0x7f, v39
	s_xor_b32 s13, exec_lo, s13
; %bb.60:                               ;   in Loop: Header=BB219_33 Depth=1
	v_cmp_ne_u16_e32 vcc_lo, 0x80, v39
	s_mov_b64 s[0:1], 0
                                        ; implicit-def: $vgpr39
	s_and_b32 s12, vcc_lo, exec_lo
; %bb.61:                               ;   in Loop: Header=BB219_33 Depth=1
	s_or_saveexec_b32 s13, s13
	v_dual_mov_b32 v20, s1 :: v_dual_mov_b32 v19, s0
	s_xor_b32 exec_lo, exec_lo, s13
; %bb.62:                               ;   in Loop: Header=BB219_33 Depth=1
	v_cmp_ne_u16_e32 vcc_lo, 0, v39
	v_mov_b32_e32 v19, 0
	v_mov_b32_e32 v20, 0
	s_and_not1_b32 s0, s12, exec_lo
	s_and_b32 s1, vcc_lo, exec_lo
	s_delay_alu instid0(SALU_CYCLE_1)
	s_or_b32 s12, s0, s1
; %bb.63:                               ;   in Loop: Header=BB219_33 Depth=1
	s_or_b32 exec_lo, exec_lo, s13
	s_and_saveexec_b32 s0, s12
	s_cbranch_execz .LBB219_65
; %bb.64:                               ;   in Loop: Header=BB219_33 Depth=1
	v_lshrrev_b16 v40, 2, v35
	v_lshlrev_b32_e32 v41, 24, v35
	s_delay_alu instid0(VALU_DEP_2) | instskip(NEXT) | instid1(VALU_DEP_1)
	v_and_b32_e32 v40, 31, v40
	v_cmp_eq_u32_e32 vcc_lo, 0, v40
	v_and_b32_e32 v19, 3, v35
	s_delay_alu instid0(VALU_DEP_1) | instskip(NEXT) | instid1(VALU_DEP_1)
	v_clz_i32_u32_e32 v20, v19
	v_min_u32_e32 v20, 32, v20
	s_delay_alu instid0(VALU_DEP_1) | instskip(SKIP_1) | instid1(VALU_DEP_1)
	v_subrev_nc_u32_e32 v39, 29, v20
	v_sub_nc_u32_e32 v20, 30, v20
	v_dual_cndmask_b32 v20, v40, v20 :: v_dual_lshlrev_b32 v39, v39, v35
	s_delay_alu instid0(VALU_DEP_1) | instskip(NEXT) | instid1(VALU_DEP_2)
	v_and_b32_e32 v39, 3, v39
	v_lshl_add_u32 v20, v20, 23, 0x37800000
	s_delay_alu instid0(VALU_DEP_2) | instskip(SKIP_1) | instid1(VALU_DEP_2)
	v_cndmask_b32_e32 v19, v19, v39, vcc_lo
	v_and_b32_e32 v39, 0x80000000, v41
	v_lshlrev_b32_e32 v19, 21, v19
	s_delay_alu instid0(VALU_DEP_1) | instskip(NEXT) | instid1(VALU_DEP_1)
	v_or3_b32 v19, v39, v20, v19
	v_trunc_f32_e32 v19, v19
	s_delay_alu instid0(VALU_DEP_1) | instskip(SKIP_1) | instid1(VALU_DEP_2)
	v_mul_f32_e64 v20, 0x2f800000, |v19|
	v_ashrrev_i32_e32 v40, 31, v19
	v_floor_f32_e32 v20, v20
	s_delay_alu instid0(VALU_DEP_1) | instskip(SKIP_1) | instid1(VALU_DEP_2)
	v_fma_f32 v39, 0xcf800000, v20, |v19|
	v_cvt_u32_f32_e32 v20, v20
	v_cvt_u32_f32_e32 v19, v39
	s_delay_alu instid0(VALU_DEP_2) | instskip(NEXT) | instid1(VALU_DEP_2)
	v_xor_b32_e32 v20, v20, v40
	v_xor_b32_e32 v19, v19, v40
	s_delay_alu instid0(VALU_DEP_1) | instskip(NEXT) | instid1(VALU_DEP_3)
	v_sub_co_u32 v19, vcc_lo, v19, v40
	v_sub_co_ci_u32_e32 v20, vcc_lo, v20, v40, vcc_lo
.LBB219_65:                             ;   in Loop: Header=BB219_33 Depth=1
	s_or_b32 exec_lo, exec_lo, s0
	s_delay_alu instid0(SALU_CYCLE_1)
	s_mov_b32 s0, exec_lo
	v_cmpx_gt_u64_e64 s[2:3], v[5:6]
	s_xor_b32 s0, exec_lo, s0
	s_cbranch_execnz .LBB219_69
; %bb.66:                               ;   in Loop: Header=BB219_33 Depth=1
	s_or_b32 exec_lo, exec_lo, s0
	s_delay_alu instid0(SALU_CYCLE_1)
	s_mov_b32 s0, exec_lo
	v_cmpx_gt_u64_e64 s[2:3], v[7:8]
	s_cbranch_execnz .LBB219_70
.LBB219_67:                             ;   in Loop: Header=BB219_33 Depth=1
	s_or_b32 exec_lo, exec_lo, s0
	s_delay_alu instid0(SALU_CYCLE_1)
	s_mov_b32 s0, exec_lo
	v_cmpx_gt_u64_e64 s[2:3], v[9:10]
	s_cbranch_execnz .LBB219_71
.LBB219_68:                             ;   in Loop: Header=BB219_33 Depth=1
	s_or_b32 exec_lo, exec_lo, s0
	s_delay_alu instid0(SALU_CYCLE_1)
	s_mov_b32 s0, exec_lo
	v_cmpx_gt_u64_e64 s[2:3], v[11:12]
	s_cbranch_execz .LBB219_32
	s_branch .LBB219_72
.LBB219_69:                             ;   in Loop: Header=BB219_33 Depth=1
	global_store_b64 v[1:2], v[13:14], off
	s_or_b32 exec_lo, exec_lo, s0
	s_delay_alu instid0(SALU_CYCLE_1)
	s_mov_b32 s0, exec_lo
	v_cmpx_gt_u64_e64 s[2:3], v[7:8]
	s_cbranch_execz .LBB219_67
.LBB219_70:                             ;   in Loop: Header=BB219_33 Depth=1
	global_store_b64 v[3:4], v[15:16], off
	s_or_b32 exec_lo, exec_lo, s0
	s_delay_alu instid0(SALU_CYCLE_1)
	s_mov_b32 s0, exec_lo
	v_cmpx_gt_u64_e64 s[2:3], v[9:10]
	s_cbranch_execz .LBB219_68
.LBB219_71:                             ;   in Loop: Header=BB219_33 Depth=1
	v_add_co_u32 v5, vcc_lo, v1, s8
	v_add_co_ci_u32_e32 v6, vcc_lo, 0, v2, vcc_lo
	global_store_b64 v[5:6], v[17:18], off
	s_or_b32 exec_lo, exec_lo, s0
	s_delay_alu instid0(SALU_CYCLE_1)
	s_mov_b32 s0, exec_lo
	v_cmpx_gt_u64_e64 s[2:3], v[11:12]
	s_cbranch_execz .LBB219_32
.LBB219_72:                             ;   in Loop: Header=BB219_33 Depth=1
	v_add_co_u32 v5, vcc_lo, v1, s9
	v_add_co_ci_u32_e32 v6, vcc_lo, 0, v2, vcc_lo
	global_store_b64 v[5:6], v[19:20], off
	s_branch .LBB219_32
.LBB219_73:
	s_nop 0
	s_sendmsg sendmsg(MSG_DEALLOC_VGPRS)
	s_endpgm
	.section	.rodata,"a",@progbits
	.p2align	6, 0x0
	.amdhsa_kernel _ZN2at6native12_GLOBAL__N_125multi_tensor_apply_kernelINS1_18TensorListMetadataILi2EEENS1_11CopyFunctorIlN3c1015Float8_e5m2fnuzELi2ELi1ELi1EEEJNS0_4CopyIlS7_EEEEEvT_T0_DpT1_
		.amdhsa_group_segment_fixed_size 0
		.amdhsa_private_segment_fixed_size 0
		.amdhsa_kernarg_size 3408
		.amdhsa_user_sgpr_count 15
		.amdhsa_user_sgpr_dispatch_ptr 0
		.amdhsa_user_sgpr_queue_ptr 0
		.amdhsa_user_sgpr_kernarg_segment_ptr 1
		.amdhsa_user_sgpr_dispatch_id 0
		.amdhsa_user_sgpr_private_segment_size 0
		.amdhsa_wavefront_size32 1
		.amdhsa_uses_dynamic_stack 0
		.amdhsa_enable_private_segment 0
		.amdhsa_system_sgpr_workgroup_id_x 1
		.amdhsa_system_sgpr_workgroup_id_y 0
		.amdhsa_system_sgpr_workgroup_id_z 0
		.amdhsa_system_sgpr_workgroup_info 0
		.amdhsa_system_vgpr_workitem_id 0
		.amdhsa_next_free_vgpr 42
		.amdhsa_next_free_sgpr 22
		.amdhsa_reserve_vcc 1
		.amdhsa_float_round_mode_32 0
		.amdhsa_float_round_mode_16_64 0
		.amdhsa_float_denorm_mode_32 3
		.amdhsa_float_denorm_mode_16_64 3
		.amdhsa_dx10_clamp 1
		.amdhsa_ieee_mode 1
		.amdhsa_fp16_overflow 0
		.amdhsa_workgroup_processor_mode 1
		.amdhsa_memory_ordered 1
		.amdhsa_forward_progress 0
		.amdhsa_shared_vgpr_count 0
		.amdhsa_exception_fp_ieee_invalid_op 0
		.amdhsa_exception_fp_denorm_src 0
		.amdhsa_exception_fp_ieee_div_zero 0
		.amdhsa_exception_fp_ieee_overflow 0
		.amdhsa_exception_fp_ieee_underflow 0
		.amdhsa_exception_fp_ieee_inexact 0
		.amdhsa_exception_int_div_zero 0
	.end_amdhsa_kernel
	.section	.text._ZN2at6native12_GLOBAL__N_125multi_tensor_apply_kernelINS1_18TensorListMetadataILi2EEENS1_11CopyFunctorIlN3c1015Float8_e5m2fnuzELi2ELi1ELi1EEEJNS0_4CopyIlS7_EEEEEvT_T0_DpT1_,"axG",@progbits,_ZN2at6native12_GLOBAL__N_125multi_tensor_apply_kernelINS1_18TensorListMetadataILi2EEENS1_11CopyFunctorIlN3c1015Float8_e5m2fnuzELi2ELi1ELi1EEEJNS0_4CopyIlS7_EEEEEvT_T0_DpT1_,comdat
.Lfunc_end219:
	.size	_ZN2at6native12_GLOBAL__N_125multi_tensor_apply_kernelINS1_18TensorListMetadataILi2EEENS1_11CopyFunctorIlN3c1015Float8_e5m2fnuzELi2ELi1ELi1EEEJNS0_4CopyIlS7_EEEEEvT_T0_DpT1_, .Lfunc_end219-_ZN2at6native12_GLOBAL__N_125multi_tensor_apply_kernelINS1_18TensorListMetadataILi2EEENS1_11CopyFunctorIlN3c1015Float8_e5m2fnuzELi2ELi1ELi1EEEJNS0_4CopyIlS7_EEEEEvT_T0_DpT1_
                                        ; -- End function
	.section	.AMDGPU.csdata,"",@progbits
; Kernel info:
; codeLenInByte = 3740
; NumSgprs: 24
; NumVgprs: 42
; ScratchSize: 0
; MemoryBound: 0
; FloatMode: 240
; IeeeMode: 1
; LDSByteSize: 0 bytes/workgroup (compile time only)
; SGPRBlocks: 2
; VGPRBlocks: 5
; NumSGPRsForWavesPerEU: 24
; NumVGPRsForWavesPerEU: 42
; Occupancy: 16
; WaveLimiterHint : 0
; COMPUTE_PGM_RSRC2:SCRATCH_EN: 0
; COMPUTE_PGM_RSRC2:USER_SGPR: 15
; COMPUTE_PGM_RSRC2:TRAP_HANDLER: 0
; COMPUTE_PGM_RSRC2:TGID_X_EN: 1
; COMPUTE_PGM_RSRC2:TGID_Y_EN: 0
; COMPUTE_PGM_RSRC2:TGID_Z_EN: 0
; COMPUTE_PGM_RSRC2:TIDIG_COMP_CNT: 0
	.section	.text._ZN2at6native12_GLOBAL__N_125multi_tensor_apply_kernelINS1_18TensorListMetadataILi2EEENS1_11CopyFunctorIshLi2ELi1ELi1EEEJNS0_4CopyIshEEEEEvT_T0_DpT1_,"axG",@progbits,_ZN2at6native12_GLOBAL__N_125multi_tensor_apply_kernelINS1_18TensorListMetadataILi2EEENS1_11CopyFunctorIshLi2ELi1ELi1EEEJNS0_4CopyIshEEEEEvT_T0_DpT1_,comdat
	.globl	_ZN2at6native12_GLOBAL__N_125multi_tensor_apply_kernelINS1_18TensorListMetadataILi2EEENS1_11CopyFunctorIshLi2ELi1ELi1EEEJNS0_4CopyIshEEEEEvT_T0_DpT1_ ; -- Begin function _ZN2at6native12_GLOBAL__N_125multi_tensor_apply_kernelINS1_18TensorListMetadataILi2EEENS1_11CopyFunctorIshLi2ELi1ELi1EEEJNS0_4CopyIshEEEEEvT_T0_DpT1_
	.p2align	8
	.type	_ZN2at6native12_GLOBAL__N_125multi_tensor_apply_kernelINS1_18TensorListMetadataILi2EEENS1_11CopyFunctorIshLi2ELi1ELi1EEEJNS0_4CopyIshEEEEEvT_T0_DpT1_,@function
_ZN2at6native12_GLOBAL__N_125multi_tensor_apply_kernelINS1_18TensorListMetadataILi2EEENS1_11CopyFunctorIshLi2ELi1ELi1EEEJNS0_4CopyIshEEEEEvT_T0_DpT1_: ; @_ZN2at6native12_GLOBAL__N_125multi_tensor_apply_kernelINS1_18TensorListMetadataILi2EEENS1_11CopyFunctorIshLi2ELi1ELi1EEEJNS0_4CopyIshEEEEEvT_T0_DpT1_
; %bb.0:
	v_mov_b32_e32 v1, s15
	s_add_u32 s2, s0, s15
	s_mul_hi_u32 s3, s15, 3
	s_mul_i32 s15, s15, 3
	s_addc_u32 s4, s1, 0
	global_load_u8 v1, v1, s[0:1] offset:1536
	s_add_u32 s2, s2, s15
	s_addc_u32 s3, s4, s3
	s_mov_b32 s17, 0
	s_load_b32 s10, s[2:3], 0x740
	s_mov_b32 s19, s17
	s_waitcnt lgkmcnt(0)
	s_ashr_i32 s11, s10, 31
	s_delay_alu instid0(SALU_CYCLE_1) | instskip(SKIP_2) | instid1(VALU_DEP_1)
	s_lshl_b64 s[8:9], s[10:11], 16
	s_waitcnt vmcnt(0)
	v_readfirstlane_b32 s5, v1
	s_lshl_b32 s2, s5, 3
	s_clause 0x2
	s_load_b64 s[6:7], s[0:1], s2 offset:0x0
	s_load_b64 s[12:13], s[0:1], s2 offset:0x200
	;; [unrolled: 1-line block ×3, first 2 shown]
	s_waitcnt lgkmcnt(0)
	s_add_u32 s3, s6, s8
	s_addc_u32 s14, s7, s9
	s_and_b32 s2, s12, 7
	s_and_b32 s15, s4, 3
	;; [unrolled: 1-line block ×3, first 2 shown]
	s_or_b32 s18, s15, s2
	s_mov_b32 s2, -1
	s_or_b64 s[16:17], s[16:17], s[18:19]
	s_sub_u32 s4, s4, s8
	s_subb_u32 s5, s5, s9
	s_cmp_eq_u64 s[16:17], 0
	s_cbranch_scc0 .LBB220_5
; %bb.1:
	v_dual_mov_b32 v2, 0 :: v_dual_lshlrev_b32 v1, 2, v0
	s_mov_b32 s15, exec_lo
	s_delay_alu instid0(VALU_DEP_1)
	v_cmpx_gt_i64_e64 s[4:5], v[1:2]
	s_cbranch_execz .LBB220_4
; %bb.2:
	s_load_b32 s2, s[0:1], 0xc5c
	v_lshlrev_b32_e32 v3, 3, v0
	s_lshl_b64 s[18:19], s[10:11], 17
	s_waitcnt lgkmcnt(0)
	s_and_b32 s2, s2, 0xffff
	s_delay_alu instid0(SALU_CYCLE_1) | instskip(SKIP_3) | instid1(VALU_DEP_1)
	s_lshl_b32 s16, s2, 2
	s_add_u32 s17, s12, s18
	s_addc_u32 s18, s13, s19
	v_add_co_u32 v3, s17, s17, v3
	v_add_co_ci_u32_e64 v4, null, s18, 0, s17
	s_mov_b32 s17, 0
	s_lshl_b32 s18, s2, 3
	s_set_inst_prefetch_distance 0x1
	.p2align	6
.LBB220_3:                              ; =>This Inner Loop Header: Depth=1
	v_add_co_u32 v5, vcc_lo, s3, v1
	v_add_co_ci_u32_e32 v6, vcc_lo, s14, v2, vcc_lo
	v_add_co_u32 v1, vcc_lo, s16, v1
	v_add_co_ci_u32_e32 v2, vcc_lo, 0, v2, vcc_lo
	global_load_b32 v5, v[5:6], off
	v_cmp_le_i64_e32 vcc_lo, s[4:5], v[1:2]
	v_cmp_lt_u64_e64 s2, 0xffff, v[1:2]
	s_delay_alu instid0(VALU_DEP_1) | instskip(NEXT) | instid1(SALU_CYCLE_1)
	s_or_b32 s2, vcc_lo, s2
	s_and_b32 s2, exec_lo, s2
	s_delay_alu instid0(SALU_CYCLE_1)
	s_or_b32 s17, s2, s17
	s_waitcnt vmcnt(0)
	v_lshrrev_b32_e32 v6, 16, v5
	v_lshrrev_b32_e32 v7, 24, v5
	v_lshrrev_b16 v8, 8, v5
	v_and_b32_e32 v5, 0xff, v5
	s_delay_alu instid0(VALU_DEP_4) | instskip(NEXT) | instid1(VALU_DEP_2)
	v_and_b32_e32 v6, 0xff, v6
	v_perm_b32 v5, v8, v5, 0x5040100
	s_delay_alu instid0(VALU_DEP_2)
	v_perm_b32 v6, v7, v6, 0x5040100
	global_store_b64 v[3:4], v[5:6], off
	v_add_co_u32 v3, vcc_lo, v3, s18
	v_add_co_ci_u32_e32 v4, vcc_lo, 0, v4, vcc_lo
	s_and_not1_b32 exec_lo, exec_lo, s17
	s_cbranch_execnz .LBB220_3
.LBB220_4:
	s_set_inst_prefetch_distance 0x2
	s_or_b32 exec_lo, exec_lo, s15
	s_mov_b32 s2, 0
.LBB220_5:
	s_delay_alu instid0(SALU_CYCLE_1)
	s_and_not1_b32 vcc_lo, exec_lo, s2
	s_cbranch_vccnz .LBB220_25
; %bb.6:
	v_cmp_lt_i64_e64 s2, s[4:5], 1
	s_delay_alu instid0(VALU_DEP_1)
	s_and_b32 vcc_lo, exec_lo, s2
	s_cbranch_vccnz .LBB220_25
; %bb.7:
	s_load_b32 s0, s[0:1], 0xc5c
	v_cmp_gt_u64_e64 s1, 0x10000, s[4:5]
	v_add_co_u32 v3, s2, s8, v0
	v_lshlrev_b32_e32 v1, 1, v0
	v_add_co_ci_u32_e64 v4, null, s9, 0, s2
	s_delay_alu instid0(VALU_DEP_3) | instskip(NEXT) | instid1(VALU_DEP_2)
	v_add_co_u32 v13, vcc_lo, s6, v3
                                        ; implicit-def: $vgpr27
                                        ; implicit-def: $vgpr28
                                        ; implicit-def: $vgpr29
                                        ; implicit-def: $vgpr30
	v_add_co_ci_u32_e32 v14, vcc_lo, s7, v4, vcc_lo
	s_waitcnt lgkmcnt(0)
	s_and_b32 s0, s0, 0xffff
	s_and_b32 s1, s1, exec_lo
	s_cselect_b32 s3, s5, 0
	s_cselect_b32 s2, s4, 0x10000
	s_lshl_b64 s[10:11], s[10:11], 17
	s_lshl_b32 s14, s0, 1
	s_lshl_b32 s1, s0, 2
	s_add_u32 s12, s12, s10
	s_mul_i32 s15, s0, 3
	s_addc_u32 s11, s13, s11
	s_lshl_b32 s10, s0, 3
	v_add_co_u32 v1, s16, s12, v1
	s_add_u32 s13, s8, s15
	v_add_co_ci_u32_e64 v2, null, s11, 0, s16
	s_addc_u32 s16, s9, 0
	s_add_u32 s13, s6, s13
	s_addc_u32 s16, s7, s16
	s_add_u32 s8, s8, s14
	;; [unrolled: 2-line block ×3, first 2 shown]
	s_addc_u32 s9, s7, s9
	v_add_co_u32 v19, s8, s8, v0
	s_delay_alu instid0(VALU_DEP_1) | instskip(SKIP_1) | instid1(VALU_DEP_1)
	v_add_co_ci_u32_e64 v20, null, s9, 0, s8
	v_add_co_u32 v21, s8, s14, v0
	v_add_co_ci_u32_e64 v22, null, 0, 0, s8
	v_add_co_u32 v23, s8, v0, s0
	v_add_co_u32 v15, s13, s13, v0
	s_add_u32 s6, s6, s0
	s_delay_alu instid0(VALU_DEP_2)
	v_lshlrev_b32_e32 v5, 1, v23
	v_add_co_ci_u32_e64 v16, null, s16, 0, s13
	v_add_co_u32 v17, s13, s15, v0
	s_addc_u32 s7, s7, 0
	v_add_co_u32 v25, vcc_lo, s6, v3
	v_add_co_u32 v3, s6, s12, v5
	v_add_co_ci_u32_e64 v18, null, 0, 0, s13
	v_add_co_ci_u32_e64 v24, null, 0, 0, s8
	v_add_co_ci_u32_e32 v26, vcc_lo, s7, v4, vcc_lo
	v_add_co_ci_u32_e64 v4, null, s11, 0, s6
	s_mul_i32 s8, s0, 6
	s_mov_b64 s[6:7], 0
	s_branch .LBB220_9
.LBB220_8:                              ;   in Loop: Header=BB220_9 Depth=1
	s_or_b32 exec_lo, exec_lo, s0
	s_add_u32 s6, s6, s1
	s_addc_u32 s7, s7, 0
	v_add_co_u32 v1, vcc_lo, v1, s10
	v_cmp_ge_i64_e64 s0, s[6:7], s[4:5]
	v_cmp_lt_u64_e64 s9, 0xffff, s[6:7]
	v_add_co_ci_u32_e32 v2, vcc_lo, 0, v2, vcc_lo
	v_add_co_u32 v3, vcc_lo, v3, s10
	v_add_co_ci_u32_e32 v4, vcc_lo, 0, v4, vcc_lo
	s_delay_alu instid0(VALU_DEP_4) | instskip(NEXT) | instid1(SALU_CYCLE_1)
	s_or_b32 s0, s0, s9
	s_and_b32 vcc_lo, exec_lo, s0
	s_cbranch_vccnz .LBB220_25
.LBB220_9:                              ; =>This Inner Loop Header: Depth=1
	v_add_co_u32 v5, s0, v0, s6
	s_delay_alu instid0(VALU_DEP_1) | instskip(NEXT) | instid1(VALU_DEP_1)
	v_add_co_ci_u32_e64 v6, null, 0, s7, s0
	v_cmp_gt_i64_e32 vcc_lo, s[4:5], v[5:6]
	v_cmp_gt_u64_e64 s0, 0x10000, v[5:6]
	s_delay_alu instid0(VALU_DEP_1) | instskip(NEXT) | instid1(SALU_CYCLE_1)
	s_and_b32 s9, vcc_lo, s0
	s_and_saveexec_b32 s0, s9
	s_cbranch_execz .LBB220_11
; %bb.10:                               ;   in Loop: Header=BB220_9 Depth=1
	v_add_co_u32 v7, vcc_lo, v13, s6
	v_add_co_ci_u32_e32 v8, vcc_lo, s7, v14, vcc_lo
	global_load_u8 v27, v[7:8], off
.LBB220_11:                             ;   in Loop: Header=BB220_9 Depth=1
	s_or_b32 exec_lo, exec_lo, s0
	v_add_co_u32 v7, vcc_lo, v23, s6
	v_add_co_ci_u32_e32 v8, vcc_lo, s7, v24, vcc_lo
	s_delay_alu instid0(VALU_DEP_1) | instskip(SKIP_1) | instid1(VALU_DEP_1)
	v_cmp_gt_i64_e32 vcc_lo, s[4:5], v[7:8]
	v_cmp_gt_u64_e64 s0, 0x10000, v[7:8]
	s_and_b32 s9, vcc_lo, s0
	s_delay_alu instid0(SALU_CYCLE_1)
	s_and_saveexec_b32 s0, s9
	s_cbranch_execz .LBB220_13
; %bb.12:                               ;   in Loop: Header=BB220_9 Depth=1
	v_add_co_u32 v9, vcc_lo, v25, s6
	v_add_co_ci_u32_e32 v10, vcc_lo, s7, v26, vcc_lo
	global_load_u8 v28, v[9:10], off
.LBB220_13:                             ;   in Loop: Header=BB220_9 Depth=1
	s_or_b32 exec_lo, exec_lo, s0
	v_add_co_u32 v9, vcc_lo, v21, s6
	v_add_co_ci_u32_e32 v10, vcc_lo, s7, v22, vcc_lo
	s_delay_alu instid0(VALU_DEP_1) | instskip(SKIP_1) | instid1(VALU_DEP_1)
	v_cmp_gt_i64_e32 vcc_lo, s[4:5], v[9:10]
	v_cmp_gt_u64_e64 s0, 0x10000, v[9:10]
	s_and_b32 s9, vcc_lo, s0
	s_delay_alu instid0(SALU_CYCLE_1)
	;; [unrolled: 15-line block ×3, first 2 shown]
	s_and_saveexec_b32 s0, s9
	s_cbranch_execnz .LBB220_20
; %bb.16:                               ;   in Loop: Header=BB220_9 Depth=1
	s_or_b32 exec_lo, exec_lo, s0
	s_delay_alu instid0(SALU_CYCLE_1)
	s_mov_b32 s0, exec_lo
	v_cmpx_gt_u64_e64 s[2:3], v[5:6]
	s_cbranch_execnz .LBB220_21
.LBB220_17:                             ;   in Loop: Header=BB220_9 Depth=1
	s_or_b32 exec_lo, exec_lo, s0
	s_delay_alu instid0(SALU_CYCLE_1)
	s_mov_b32 s0, exec_lo
	v_cmpx_gt_u64_e64 s[2:3], v[7:8]
	s_cbranch_execnz .LBB220_22
.LBB220_18:                             ;   in Loop: Header=BB220_9 Depth=1
	s_or_b32 exec_lo, exec_lo, s0
	s_delay_alu instid0(SALU_CYCLE_1)
	s_mov_b32 s0, exec_lo
	v_cmpx_gt_u64_e64 s[2:3], v[9:10]
	s_cbranch_execnz .LBB220_23
.LBB220_19:                             ;   in Loop: Header=BB220_9 Depth=1
	s_or_b32 exec_lo, exec_lo, s0
	s_delay_alu instid0(SALU_CYCLE_1)
	s_mov_b32 s0, exec_lo
	v_cmpx_gt_u64_e64 s[2:3], v[11:12]
	s_cbranch_execz .LBB220_8
	s_branch .LBB220_24
.LBB220_20:                             ;   in Loop: Header=BB220_9 Depth=1
	s_waitcnt vmcnt(0)
	v_add_co_u32 v30, vcc_lo, v15, s6
	v_add_co_ci_u32_e32 v31, vcc_lo, s7, v16, vcc_lo
	global_load_u8 v30, v[30:31], off
	s_or_b32 exec_lo, exec_lo, s0
	s_delay_alu instid0(SALU_CYCLE_1)
	s_mov_b32 s0, exec_lo
	v_cmpx_gt_u64_e64 s[2:3], v[5:6]
	s_cbranch_execz .LBB220_17
.LBB220_21:                             ;   in Loop: Header=BB220_9 Depth=1
	s_waitcnt vmcnt(0)
	v_and_b32_e32 v5, 0xff, v27
	global_store_b16 v[1:2], v5, off
	s_or_b32 exec_lo, exec_lo, s0
	s_delay_alu instid0(SALU_CYCLE_1)
	s_mov_b32 s0, exec_lo
	v_cmpx_gt_u64_e64 s[2:3], v[7:8]
	s_cbranch_execz .LBB220_18
.LBB220_22:                             ;   in Loop: Header=BB220_9 Depth=1
	s_waitcnt vmcnt(0)
	v_and_b32_e32 v5, 0xff, v28
	global_store_b16 v[3:4], v5, off
	s_or_b32 exec_lo, exec_lo, s0
	s_delay_alu instid0(SALU_CYCLE_1)
	s_mov_b32 s0, exec_lo
	v_cmpx_gt_u64_e64 s[2:3], v[9:10]
	s_cbranch_execz .LBB220_19
.LBB220_23:                             ;   in Loop: Header=BB220_9 Depth=1
	v_add_co_u32 v5, vcc_lo, v1, s1
	s_waitcnt vmcnt(0)
	v_and_b32_e32 v7, 0xff, v29
	v_add_co_ci_u32_e32 v6, vcc_lo, 0, v2, vcc_lo
	global_store_b16 v[5:6], v7, off
	s_or_b32 exec_lo, exec_lo, s0
	s_delay_alu instid0(SALU_CYCLE_1)
	s_mov_b32 s0, exec_lo
	v_cmpx_gt_u64_e64 s[2:3], v[11:12]
	s_cbranch_execz .LBB220_8
.LBB220_24:                             ;   in Loop: Header=BB220_9 Depth=1
	v_add_co_u32 v5, vcc_lo, v1, s8
	s_waitcnt vmcnt(0)
	v_and_b32_e32 v7, 0xff, v30
	v_add_co_ci_u32_e32 v6, vcc_lo, 0, v2, vcc_lo
	global_store_b16 v[5:6], v7, off
	s_branch .LBB220_8
.LBB220_25:
	s_nop 0
	s_sendmsg sendmsg(MSG_DEALLOC_VGPRS)
	s_endpgm
	.section	.rodata,"a",@progbits
	.p2align	6, 0x0
	.amdhsa_kernel _ZN2at6native12_GLOBAL__N_125multi_tensor_apply_kernelINS1_18TensorListMetadataILi2EEENS1_11CopyFunctorIshLi2ELi1ELi1EEEJNS0_4CopyIshEEEEEvT_T0_DpT1_
		.amdhsa_group_segment_fixed_size 0
		.amdhsa_private_segment_fixed_size 0
		.amdhsa_kernarg_size 3408
		.amdhsa_user_sgpr_count 15
		.amdhsa_user_sgpr_dispatch_ptr 0
		.amdhsa_user_sgpr_queue_ptr 0
		.amdhsa_user_sgpr_kernarg_segment_ptr 1
		.amdhsa_user_sgpr_dispatch_id 0
		.amdhsa_user_sgpr_private_segment_size 0
		.amdhsa_wavefront_size32 1
		.amdhsa_uses_dynamic_stack 0
		.amdhsa_enable_private_segment 0
		.amdhsa_system_sgpr_workgroup_id_x 1
		.amdhsa_system_sgpr_workgroup_id_y 0
		.amdhsa_system_sgpr_workgroup_id_z 0
		.amdhsa_system_sgpr_workgroup_info 0
		.amdhsa_system_vgpr_workitem_id 0
		.amdhsa_next_free_vgpr 32
		.amdhsa_next_free_sgpr 20
		.amdhsa_reserve_vcc 1
		.amdhsa_float_round_mode_32 0
		.amdhsa_float_round_mode_16_64 0
		.amdhsa_float_denorm_mode_32 3
		.amdhsa_float_denorm_mode_16_64 3
		.amdhsa_dx10_clamp 1
		.amdhsa_ieee_mode 1
		.amdhsa_fp16_overflow 0
		.amdhsa_workgroup_processor_mode 1
		.amdhsa_memory_ordered 1
		.amdhsa_forward_progress 0
		.amdhsa_shared_vgpr_count 0
		.amdhsa_exception_fp_ieee_invalid_op 0
		.amdhsa_exception_fp_denorm_src 0
		.amdhsa_exception_fp_ieee_div_zero 0
		.amdhsa_exception_fp_ieee_overflow 0
		.amdhsa_exception_fp_ieee_underflow 0
		.amdhsa_exception_fp_ieee_inexact 0
		.amdhsa_exception_int_div_zero 0
	.end_amdhsa_kernel
	.section	.text._ZN2at6native12_GLOBAL__N_125multi_tensor_apply_kernelINS1_18TensorListMetadataILi2EEENS1_11CopyFunctorIshLi2ELi1ELi1EEEJNS0_4CopyIshEEEEEvT_T0_DpT1_,"axG",@progbits,_ZN2at6native12_GLOBAL__N_125multi_tensor_apply_kernelINS1_18TensorListMetadataILi2EEENS1_11CopyFunctorIshLi2ELi1ELi1EEEJNS0_4CopyIshEEEEEvT_T0_DpT1_,comdat
.Lfunc_end220:
	.size	_ZN2at6native12_GLOBAL__N_125multi_tensor_apply_kernelINS1_18TensorListMetadataILi2EEENS1_11CopyFunctorIshLi2ELi1ELi1EEEJNS0_4CopyIshEEEEEvT_T0_DpT1_, .Lfunc_end220-_ZN2at6native12_GLOBAL__N_125multi_tensor_apply_kernelINS1_18TensorListMetadataILi2EEENS1_11CopyFunctorIshLi2ELi1ELi1EEEJNS0_4CopyIshEEEEEvT_T0_DpT1_
                                        ; -- End function
	.section	.AMDGPU.csdata,"",@progbits
; Kernel info:
; codeLenInByte = 1448
; NumSgprs: 22
; NumVgprs: 32
; ScratchSize: 0
; MemoryBound: 0
; FloatMode: 240
; IeeeMode: 1
; LDSByteSize: 0 bytes/workgroup (compile time only)
; SGPRBlocks: 2
; VGPRBlocks: 3
; NumSGPRsForWavesPerEU: 22
; NumVGPRsForWavesPerEU: 32
; Occupancy: 16
; WaveLimiterHint : 0
; COMPUTE_PGM_RSRC2:SCRATCH_EN: 0
; COMPUTE_PGM_RSRC2:USER_SGPR: 15
; COMPUTE_PGM_RSRC2:TRAP_HANDLER: 0
; COMPUTE_PGM_RSRC2:TGID_X_EN: 1
; COMPUTE_PGM_RSRC2:TGID_Y_EN: 0
; COMPUTE_PGM_RSRC2:TGID_Z_EN: 0
; COMPUTE_PGM_RSRC2:TIDIG_COMP_CNT: 0
	.section	.text._ZN2at6native12_GLOBAL__N_125multi_tensor_apply_kernelINS1_18TensorListMetadataILi2EEENS1_11CopyFunctorIsaLi2ELi1ELi1EEEJNS0_4CopyIsaEEEEEvT_T0_DpT1_,"axG",@progbits,_ZN2at6native12_GLOBAL__N_125multi_tensor_apply_kernelINS1_18TensorListMetadataILi2EEENS1_11CopyFunctorIsaLi2ELi1ELi1EEEJNS0_4CopyIsaEEEEEvT_T0_DpT1_,comdat
	.globl	_ZN2at6native12_GLOBAL__N_125multi_tensor_apply_kernelINS1_18TensorListMetadataILi2EEENS1_11CopyFunctorIsaLi2ELi1ELi1EEEJNS0_4CopyIsaEEEEEvT_T0_DpT1_ ; -- Begin function _ZN2at6native12_GLOBAL__N_125multi_tensor_apply_kernelINS1_18TensorListMetadataILi2EEENS1_11CopyFunctorIsaLi2ELi1ELi1EEEJNS0_4CopyIsaEEEEEvT_T0_DpT1_
	.p2align	8
	.type	_ZN2at6native12_GLOBAL__N_125multi_tensor_apply_kernelINS1_18TensorListMetadataILi2EEENS1_11CopyFunctorIsaLi2ELi1ELi1EEEJNS0_4CopyIsaEEEEEvT_T0_DpT1_,@function
_ZN2at6native12_GLOBAL__N_125multi_tensor_apply_kernelINS1_18TensorListMetadataILi2EEENS1_11CopyFunctorIsaLi2ELi1ELi1EEEJNS0_4CopyIsaEEEEEvT_T0_DpT1_: ; @_ZN2at6native12_GLOBAL__N_125multi_tensor_apply_kernelINS1_18TensorListMetadataILi2EEENS1_11CopyFunctorIsaLi2ELi1ELi1EEEJNS0_4CopyIsaEEEEEvT_T0_DpT1_
; %bb.0:
	v_mov_b32_e32 v1, s15
	s_add_u32 s2, s0, s15
	s_mul_hi_u32 s3, s15, 3
	s_mul_i32 s15, s15, 3
	s_addc_u32 s4, s1, 0
	global_load_u8 v1, v1, s[0:1] offset:1536
	s_add_u32 s2, s2, s15
	s_addc_u32 s3, s4, s3
	s_mov_b32 s17, 0
	s_load_b32 s10, s[2:3], 0x740
	s_mov_b32 s19, s17
	s_waitcnt lgkmcnt(0)
	s_ashr_i32 s11, s10, 31
	s_delay_alu instid0(SALU_CYCLE_1) | instskip(SKIP_2) | instid1(VALU_DEP_1)
	s_lshl_b64 s[8:9], s[10:11], 16
	s_waitcnt vmcnt(0)
	v_readfirstlane_b32 s5, v1
	s_lshl_b32 s2, s5, 3
	s_clause 0x2
	s_load_b64 s[6:7], s[0:1], s2 offset:0x0
	s_load_b64 s[12:13], s[0:1], s2 offset:0x200
	;; [unrolled: 1-line block ×3, first 2 shown]
	s_waitcnt lgkmcnt(0)
	s_add_u32 s3, s6, s8
	s_addc_u32 s14, s7, s9
	s_and_b32 s2, s12, 7
	s_and_b32 s15, s4, 3
	;; [unrolled: 1-line block ×3, first 2 shown]
	s_or_b32 s18, s15, s2
	s_mov_b32 s2, -1
	s_or_b64 s[16:17], s[16:17], s[18:19]
	s_sub_u32 s4, s4, s8
	s_subb_u32 s5, s5, s9
	s_cmp_eq_u64 s[16:17], 0
	s_cbranch_scc0 .LBB221_5
; %bb.1:
	v_dual_mov_b32 v2, 0 :: v_dual_lshlrev_b32 v1, 2, v0
	s_mov_b32 s15, exec_lo
	s_delay_alu instid0(VALU_DEP_1)
	v_cmpx_gt_i64_e64 s[4:5], v[1:2]
	s_cbranch_execz .LBB221_4
; %bb.2:
	s_load_b32 s2, s[0:1], 0xc5c
	v_lshlrev_b32_e32 v3, 3, v0
	s_lshl_b64 s[18:19], s[10:11], 17
	s_waitcnt lgkmcnt(0)
	s_and_b32 s2, s2, 0xffff
	s_delay_alu instid0(SALU_CYCLE_1) | instskip(SKIP_3) | instid1(VALU_DEP_1)
	s_lshl_b32 s16, s2, 2
	s_add_u32 s17, s12, s18
	s_addc_u32 s18, s13, s19
	v_add_co_u32 v3, s17, s17, v3
	v_add_co_ci_u32_e64 v4, null, s18, 0, s17
	s_mov_b32 s17, 0
	s_lshl_b32 s18, s2, 3
	s_set_inst_prefetch_distance 0x1
	.p2align	6
.LBB221_3:                              ; =>This Inner Loop Header: Depth=1
	v_add_co_u32 v5, vcc_lo, s3, v1
	v_add_co_ci_u32_e32 v6, vcc_lo, s14, v2, vcc_lo
	v_add_co_u32 v1, vcc_lo, s16, v1
	v_add_co_ci_u32_e32 v2, vcc_lo, 0, v2, vcc_lo
	global_load_b32 v5, v[5:6], off
	v_cmp_le_i64_e32 vcc_lo, s[4:5], v[1:2]
	v_cmp_lt_u64_e64 s2, 0xffff, v[1:2]
	s_delay_alu instid0(VALU_DEP_1) | instskip(NEXT) | instid1(SALU_CYCLE_1)
	s_or_b32 s2, vcc_lo, s2
	s_and_b32 s2, exec_lo, s2
	s_delay_alu instid0(SALU_CYCLE_1)
	s_or_b32 s17, s2, s17
	s_waitcnt vmcnt(0)
	v_lshrrev_b32_e32 v6, 16, v5
	v_lshrrev_b32_e32 v7, 24, v5
	;; [unrolled: 1-line block ×3, first 2 shown]
	v_bfe_i32 v5, v5, 0, 8
	s_delay_alu instid0(VALU_DEP_4) | instskip(NEXT) | instid1(VALU_DEP_4)
	v_bfe_i32 v6, v6, 0, 8
	v_bfe_i32 v7, v7, 0, 8
	s_delay_alu instid0(VALU_DEP_4) | instskip(NEXT) | instid1(VALU_DEP_2)
	v_bfe_i32 v8, v8, 0, 8
	v_perm_b32 v6, v7, v6, 0x5040100
	s_delay_alu instid0(VALU_DEP_2)
	v_perm_b32 v5, v8, v5, 0x5040100
	global_store_b64 v[3:4], v[5:6], off
	v_add_co_u32 v3, vcc_lo, v3, s18
	v_add_co_ci_u32_e32 v4, vcc_lo, 0, v4, vcc_lo
	s_and_not1_b32 exec_lo, exec_lo, s17
	s_cbranch_execnz .LBB221_3
.LBB221_4:
	s_set_inst_prefetch_distance 0x2
	s_or_b32 exec_lo, exec_lo, s15
	s_mov_b32 s2, 0
.LBB221_5:
	s_delay_alu instid0(SALU_CYCLE_1)
	s_and_not1_b32 vcc_lo, exec_lo, s2
	s_cbranch_vccnz .LBB221_25
; %bb.6:
	v_cmp_lt_i64_e64 s2, s[4:5], 1
	s_delay_alu instid0(VALU_DEP_1)
	s_and_b32 vcc_lo, exec_lo, s2
	s_cbranch_vccnz .LBB221_25
; %bb.7:
	s_load_b32 s0, s[0:1], 0xc5c
	v_cmp_gt_u64_e64 s1, 0x10000, s[4:5]
	v_add_co_u32 v3, s2, s8, v0
	v_lshlrev_b32_e32 v1, 1, v0
	v_add_co_ci_u32_e64 v4, null, s9, 0, s2
	s_delay_alu instid0(VALU_DEP_3) | instskip(NEXT) | instid1(VALU_DEP_2)
	v_add_co_u32 v13, vcc_lo, s6, v3
                                        ; implicit-def: $vgpr27
                                        ; implicit-def: $vgpr28
                                        ; implicit-def: $vgpr29
                                        ; implicit-def: $vgpr30
	v_add_co_ci_u32_e32 v14, vcc_lo, s7, v4, vcc_lo
	s_waitcnt lgkmcnt(0)
	s_and_b32 s0, s0, 0xffff
	s_and_b32 s1, s1, exec_lo
	s_cselect_b32 s3, s5, 0
	s_cselect_b32 s2, s4, 0x10000
	s_lshl_b64 s[10:11], s[10:11], 17
	s_lshl_b32 s14, s0, 1
	s_lshl_b32 s1, s0, 2
	s_add_u32 s12, s12, s10
	s_mul_i32 s15, s0, 3
	s_addc_u32 s11, s13, s11
	s_lshl_b32 s10, s0, 3
	v_add_co_u32 v1, s16, s12, v1
	s_add_u32 s13, s8, s15
	v_add_co_ci_u32_e64 v2, null, s11, 0, s16
	s_addc_u32 s16, s9, 0
	s_add_u32 s13, s6, s13
	s_addc_u32 s16, s7, s16
	s_add_u32 s8, s8, s14
	;; [unrolled: 2-line block ×3, first 2 shown]
	s_addc_u32 s9, s7, s9
	v_add_co_u32 v19, s8, s8, v0
	s_delay_alu instid0(VALU_DEP_1) | instskip(SKIP_1) | instid1(VALU_DEP_1)
	v_add_co_ci_u32_e64 v20, null, s9, 0, s8
	v_add_co_u32 v21, s8, s14, v0
	v_add_co_ci_u32_e64 v22, null, 0, 0, s8
	v_add_co_u32 v23, s8, v0, s0
	v_add_co_u32 v15, s13, s13, v0
	s_add_u32 s6, s6, s0
	s_delay_alu instid0(VALU_DEP_2)
	v_lshlrev_b32_e32 v5, 1, v23
	v_add_co_ci_u32_e64 v16, null, s16, 0, s13
	v_add_co_u32 v17, s13, s15, v0
	s_addc_u32 s7, s7, 0
	v_add_co_u32 v25, vcc_lo, s6, v3
	v_add_co_u32 v3, s6, s12, v5
	v_add_co_ci_u32_e64 v18, null, 0, 0, s13
	v_add_co_ci_u32_e64 v24, null, 0, 0, s8
	v_add_co_ci_u32_e32 v26, vcc_lo, s7, v4, vcc_lo
	v_add_co_ci_u32_e64 v4, null, s11, 0, s6
	s_mul_i32 s8, s0, 6
	s_mov_b64 s[6:7], 0
	s_branch .LBB221_9
.LBB221_8:                              ;   in Loop: Header=BB221_9 Depth=1
	s_or_b32 exec_lo, exec_lo, s0
	s_add_u32 s6, s6, s1
	s_addc_u32 s7, s7, 0
	v_add_co_u32 v1, vcc_lo, v1, s10
	v_cmp_ge_i64_e64 s0, s[6:7], s[4:5]
	v_cmp_lt_u64_e64 s9, 0xffff, s[6:7]
	v_add_co_ci_u32_e32 v2, vcc_lo, 0, v2, vcc_lo
	v_add_co_u32 v3, vcc_lo, v3, s10
	v_add_co_ci_u32_e32 v4, vcc_lo, 0, v4, vcc_lo
	s_delay_alu instid0(VALU_DEP_4) | instskip(NEXT) | instid1(SALU_CYCLE_1)
	s_or_b32 s0, s0, s9
	s_and_b32 vcc_lo, exec_lo, s0
	s_cbranch_vccnz .LBB221_25
.LBB221_9:                              ; =>This Inner Loop Header: Depth=1
	v_add_co_u32 v5, s0, v0, s6
	s_delay_alu instid0(VALU_DEP_1) | instskip(NEXT) | instid1(VALU_DEP_1)
	v_add_co_ci_u32_e64 v6, null, 0, s7, s0
	v_cmp_gt_i64_e32 vcc_lo, s[4:5], v[5:6]
	v_cmp_gt_u64_e64 s0, 0x10000, v[5:6]
	s_delay_alu instid0(VALU_DEP_1) | instskip(NEXT) | instid1(SALU_CYCLE_1)
	s_and_b32 s9, vcc_lo, s0
	s_and_saveexec_b32 s0, s9
	s_cbranch_execz .LBB221_11
; %bb.10:                               ;   in Loop: Header=BB221_9 Depth=1
	v_add_co_u32 v7, vcc_lo, v13, s6
	v_add_co_ci_u32_e32 v8, vcc_lo, s7, v14, vcc_lo
	global_load_u8 v27, v[7:8], off
.LBB221_11:                             ;   in Loop: Header=BB221_9 Depth=1
	s_or_b32 exec_lo, exec_lo, s0
	v_add_co_u32 v7, vcc_lo, v23, s6
	v_add_co_ci_u32_e32 v8, vcc_lo, s7, v24, vcc_lo
	s_delay_alu instid0(VALU_DEP_1) | instskip(SKIP_1) | instid1(VALU_DEP_1)
	v_cmp_gt_i64_e32 vcc_lo, s[4:5], v[7:8]
	v_cmp_gt_u64_e64 s0, 0x10000, v[7:8]
	s_and_b32 s9, vcc_lo, s0
	s_delay_alu instid0(SALU_CYCLE_1)
	s_and_saveexec_b32 s0, s9
	s_cbranch_execz .LBB221_13
; %bb.12:                               ;   in Loop: Header=BB221_9 Depth=1
	v_add_co_u32 v9, vcc_lo, v25, s6
	v_add_co_ci_u32_e32 v10, vcc_lo, s7, v26, vcc_lo
	global_load_u8 v28, v[9:10], off
.LBB221_13:                             ;   in Loop: Header=BB221_9 Depth=1
	s_or_b32 exec_lo, exec_lo, s0
	v_add_co_u32 v9, vcc_lo, v21, s6
	v_add_co_ci_u32_e32 v10, vcc_lo, s7, v22, vcc_lo
	s_delay_alu instid0(VALU_DEP_1) | instskip(SKIP_1) | instid1(VALU_DEP_1)
	v_cmp_gt_i64_e32 vcc_lo, s[4:5], v[9:10]
	v_cmp_gt_u64_e64 s0, 0x10000, v[9:10]
	s_and_b32 s9, vcc_lo, s0
	s_delay_alu instid0(SALU_CYCLE_1)
	;; [unrolled: 15-line block ×3, first 2 shown]
	s_and_saveexec_b32 s0, s9
	s_cbranch_execnz .LBB221_20
; %bb.16:                               ;   in Loop: Header=BB221_9 Depth=1
	s_or_b32 exec_lo, exec_lo, s0
	s_delay_alu instid0(SALU_CYCLE_1)
	s_mov_b32 s0, exec_lo
	v_cmpx_gt_u64_e64 s[2:3], v[5:6]
	s_cbranch_execnz .LBB221_21
.LBB221_17:                             ;   in Loop: Header=BB221_9 Depth=1
	s_or_b32 exec_lo, exec_lo, s0
	s_delay_alu instid0(SALU_CYCLE_1)
	s_mov_b32 s0, exec_lo
	v_cmpx_gt_u64_e64 s[2:3], v[7:8]
	s_cbranch_execnz .LBB221_22
.LBB221_18:                             ;   in Loop: Header=BB221_9 Depth=1
	s_or_b32 exec_lo, exec_lo, s0
	s_delay_alu instid0(SALU_CYCLE_1)
	s_mov_b32 s0, exec_lo
	v_cmpx_gt_u64_e64 s[2:3], v[9:10]
	s_cbranch_execnz .LBB221_23
.LBB221_19:                             ;   in Loop: Header=BB221_9 Depth=1
	s_or_b32 exec_lo, exec_lo, s0
	s_delay_alu instid0(SALU_CYCLE_1)
	s_mov_b32 s0, exec_lo
	v_cmpx_gt_u64_e64 s[2:3], v[11:12]
	s_cbranch_execz .LBB221_8
	s_branch .LBB221_24
.LBB221_20:                             ;   in Loop: Header=BB221_9 Depth=1
	s_waitcnt vmcnt(0)
	v_add_co_u32 v30, vcc_lo, v15, s6
	v_add_co_ci_u32_e32 v31, vcc_lo, s7, v16, vcc_lo
	global_load_u8 v30, v[30:31], off
	s_or_b32 exec_lo, exec_lo, s0
	s_delay_alu instid0(SALU_CYCLE_1)
	s_mov_b32 s0, exec_lo
	v_cmpx_gt_u64_e64 s[2:3], v[5:6]
	s_cbranch_execz .LBB221_17
.LBB221_21:                             ;   in Loop: Header=BB221_9 Depth=1
	s_waitcnt vmcnt(0)
	v_bfe_i32 v5, v27, 0, 8
	global_store_b16 v[1:2], v5, off
	s_or_b32 exec_lo, exec_lo, s0
	s_delay_alu instid0(SALU_CYCLE_1)
	s_mov_b32 s0, exec_lo
	v_cmpx_gt_u64_e64 s[2:3], v[7:8]
	s_cbranch_execz .LBB221_18
.LBB221_22:                             ;   in Loop: Header=BB221_9 Depth=1
	s_waitcnt vmcnt(0)
	v_bfe_i32 v5, v28, 0, 8
	global_store_b16 v[3:4], v5, off
	s_or_b32 exec_lo, exec_lo, s0
	s_delay_alu instid0(SALU_CYCLE_1)
	s_mov_b32 s0, exec_lo
	v_cmpx_gt_u64_e64 s[2:3], v[9:10]
	s_cbranch_execz .LBB221_19
.LBB221_23:                             ;   in Loop: Header=BB221_9 Depth=1
	v_add_co_u32 v5, vcc_lo, v1, s1
	s_waitcnt vmcnt(0)
	v_bfe_i32 v7, v29, 0, 8
	v_add_co_ci_u32_e32 v6, vcc_lo, 0, v2, vcc_lo
	global_store_b16 v[5:6], v7, off
	s_or_b32 exec_lo, exec_lo, s0
	s_delay_alu instid0(SALU_CYCLE_1)
	s_mov_b32 s0, exec_lo
	v_cmpx_gt_u64_e64 s[2:3], v[11:12]
	s_cbranch_execz .LBB221_8
.LBB221_24:                             ;   in Loop: Header=BB221_9 Depth=1
	v_add_co_u32 v5, vcc_lo, v1, s8
	s_waitcnt vmcnt(0)
	v_bfe_i32 v7, v30, 0, 8
	v_add_co_ci_u32_e32 v6, vcc_lo, 0, v2, vcc_lo
	global_store_b16 v[5:6], v7, off
	s_branch .LBB221_8
.LBB221_25:
	s_nop 0
	s_sendmsg sendmsg(MSG_DEALLOC_VGPRS)
	s_endpgm
	.section	.rodata,"a",@progbits
	.p2align	6, 0x0
	.amdhsa_kernel _ZN2at6native12_GLOBAL__N_125multi_tensor_apply_kernelINS1_18TensorListMetadataILi2EEENS1_11CopyFunctorIsaLi2ELi1ELi1EEEJNS0_4CopyIsaEEEEEvT_T0_DpT1_
		.amdhsa_group_segment_fixed_size 0
		.amdhsa_private_segment_fixed_size 0
		.amdhsa_kernarg_size 3408
		.amdhsa_user_sgpr_count 15
		.amdhsa_user_sgpr_dispatch_ptr 0
		.amdhsa_user_sgpr_queue_ptr 0
		.amdhsa_user_sgpr_kernarg_segment_ptr 1
		.amdhsa_user_sgpr_dispatch_id 0
		.amdhsa_user_sgpr_private_segment_size 0
		.amdhsa_wavefront_size32 1
		.amdhsa_uses_dynamic_stack 0
		.amdhsa_enable_private_segment 0
		.amdhsa_system_sgpr_workgroup_id_x 1
		.amdhsa_system_sgpr_workgroup_id_y 0
		.amdhsa_system_sgpr_workgroup_id_z 0
		.amdhsa_system_sgpr_workgroup_info 0
		.amdhsa_system_vgpr_workitem_id 0
		.amdhsa_next_free_vgpr 32
		.amdhsa_next_free_sgpr 20
		.amdhsa_reserve_vcc 1
		.amdhsa_float_round_mode_32 0
		.amdhsa_float_round_mode_16_64 0
		.amdhsa_float_denorm_mode_32 3
		.amdhsa_float_denorm_mode_16_64 3
		.amdhsa_dx10_clamp 1
		.amdhsa_ieee_mode 1
		.amdhsa_fp16_overflow 0
		.amdhsa_workgroup_processor_mode 1
		.amdhsa_memory_ordered 1
		.amdhsa_forward_progress 0
		.amdhsa_shared_vgpr_count 0
		.amdhsa_exception_fp_ieee_invalid_op 0
		.amdhsa_exception_fp_denorm_src 0
		.amdhsa_exception_fp_ieee_div_zero 0
		.amdhsa_exception_fp_ieee_overflow 0
		.amdhsa_exception_fp_ieee_underflow 0
		.amdhsa_exception_fp_ieee_inexact 0
		.amdhsa_exception_int_div_zero 0
	.end_amdhsa_kernel
	.section	.text._ZN2at6native12_GLOBAL__N_125multi_tensor_apply_kernelINS1_18TensorListMetadataILi2EEENS1_11CopyFunctorIsaLi2ELi1ELi1EEEJNS0_4CopyIsaEEEEEvT_T0_DpT1_,"axG",@progbits,_ZN2at6native12_GLOBAL__N_125multi_tensor_apply_kernelINS1_18TensorListMetadataILi2EEENS1_11CopyFunctorIsaLi2ELi1ELi1EEEJNS0_4CopyIsaEEEEEvT_T0_DpT1_,comdat
.Lfunc_end221:
	.size	_ZN2at6native12_GLOBAL__N_125multi_tensor_apply_kernelINS1_18TensorListMetadataILi2EEENS1_11CopyFunctorIsaLi2ELi1ELi1EEEJNS0_4CopyIsaEEEEEvT_T0_DpT1_, .Lfunc_end221-_ZN2at6native12_GLOBAL__N_125multi_tensor_apply_kernelINS1_18TensorListMetadataILi2EEENS1_11CopyFunctorIsaLi2ELi1ELi1EEEJNS0_4CopyIsaEEEEEvT_T0_DpT1_
                                        ; -- End function
	.section	.AMDGPU.csdata,"",@progbits
; Kernel info:
; codeLenInByte = 1464
; NumSgprs: 22
; NumVgprs: 32
; ScratchSize: 0
; MemoryBound: 0
; FloatMode: 240
; IeeeMode: 1
; LDSByteSize: 0 bytes/workgroup (compile time only)
; SGPRBlocks: 2
; VGPRBlocks: 3
; NumSGPRsForWavesPerEU: 22
; NumVGPRsForWavesPerEU: 32
; Occupancy: 16
; WaveLimiterHint : 0
; COMPUTE_PGM_RSRC2:SCRATCH_EN: 0
; COMPUTE_PGM_RSRC2:USER_SGPR: 15
; COMPUTE_PGM_RSRC2:TRAP_HANDLER: 0
; COMPUTE_PGM_RSRC2:TGID_X_EN: 1
; COMPUTE_PGM_RSRC2:TGID_Y_EN: 0
; COMPUTE_PGM_RSRC2:TGID_Z_EN: 0
; COMPUTE_PGM_RSRC2:TIDIG_COMP_CNT: 0
	.section	.text._ZN2at6native12_GLOBAL__N_125multi_tensor_apply_kernelINS1_18TensorListMetadataILi2EEENS1_11CopyFunctorIslLi2ELi1ELi1EEEJNS0_4CopyIslEEEEEvT_T0_DpT1_,"axG",@progbits,_ZN2at6native12_GLOBAL__N_125multi_tensor_apply_kernelINS1_18TensorListMetadataILi2EEENS1_11CopyFunctorIslLi2ELi1ELi1EEEJNS0_4CopyIslEEEEEvT_T0_DpT1_,comdat
	.globl	_ZN2at6native12_GLOBAL__N_125multi_tensor_apply_kernelINS1_18TensorListMetadataILi2EEENS1_11CopyFunctorIslLi2ELi1ELi1EEEJNS0_4CopyIslEEEEEvT_T0_DpT1_ ; -- Begin function _ZN2at6native12_GLOBAL__N_125multi_tensor_apply_kernelINS1_18TensorListMetadataILi2EEENS1_11CopyFunctorIslLi2ELi1ELi1EEEJNS0_4CopyIslEEEEEvT_T0_DpT1_
	.p2align	8
	.type	_ZN2at6native12_GLOBAL__N_125multi_tensor_apply_kernelINS1_18TensorListMetadataILi2EEENS1_11CopyFunctorIslLi2ELi1ELi1EEEJNS0_4CopyIslEEEEEvT_T0_DpT1_,@function
_ZN2at6native12_GLOBAL__N_125multi_tensor_apply_kernelINS1_18TensorListMetadataILi2EEENS1_11CopyFunctorIslLi2ELi1ELi1EEEJNS0_4CopyIslEEEEEvT_T0_DpT1_: ; @_ZN2at6native12_GLOBAL__N_125multi_tensor_apply_kernelINS1_18TensorListMetadataILi2EEENS1_11CopyFunctorIslLi2ELi1ELi1EEEJNS0_4CopyIslEEEEEvT_T0_DpT1_
; %bb.0:
	v_mov_b32_e32 v1, s15
	s_add_u32 s2, s0, s15
	s_mul_hi_u32 s3, s15, 3
	s_mul_i32 s15, s15, 3
	s_addc_u32 s4, s1, 0
	global_load_u8 v1, v1, s[0:1] offset:1536
	s_add_u32 s2, s2, s15
	s_addc_u32 s3, s4, s3
	s_mov_b32 s15, 0
	s_load_b32 s8, s[2:3], 0x740
	s_waitcnt lgkmcnt(0)
	s_ashr_i32 s9, s8, 31
	s_delay_alu instid0(SALU_CYCLE_1) | instskip(SKIP_3) | instid1(VALU_DEP_1)
	s_lshl_b64 s[10:11], s[8:9], 19
	s_lshl_b64 s[16:17], s[8:9], 16
	s_waitcnt vmcnt(0)
	v_readfirstlane_b32 s5, v1
	s_lshl_b32 s4, s5, 3
	s_clause 0x2
	s_load_b64 s[2:3], s[0:1], s4 offset:0x0
	s_load_b64 s[6:7], s[0:1], s4 offset:0x200
	;; [unrolled: 1-line block ×3, first 2 shown]
	s_waitcnt lgkmcnt(0)
	s_add_u32 s12, s2, s10
	s_addc_u32 s13, s3, s11
	s_and_b32 s18, s6, 7
	s_and_b32 s19, s4, 3
	;; [unrolled: 1-line block ×3, first 2 shown]
	s_or_b32 s18, s19, s18
	s_mov_b32 s19, s15
	s_delay_alu instid0(SALU_CYCLE_1)
	s_or_b64 s[14:15], s[14:15], s[18:19]
	s_sub_u32 s4, s4, s16
	s_subb_u32 s5, s5, s17
	s_cmp_eq_u64 s[14:15], 0
	s_mov_b32 s14, -1
	s_cbranch_scc0 .LBB222_5
; %bb.1:
	v_dual_mov_b32 v2, 0 :: v_dual_lshlrev_b32 v1, 2, v0
	s_mov_b32 s14, exec_lo
	s_delay_alu instid0(VALU_DEP_1)
	v_cmpx_gt_i64_e64 s[4:5], v[1:2]
	s_cbranch_execz .LBB222_4
; %bb.2:
	s_load_b32 s15, s[0:1], 0xc5c
	v_lshlrev_b32_e32 v3, 5, v0
	v_lshlrev_b32_e32 v5, 3, v0
	s_waitcnt lgkmcnt(0)
	s_and_b32 s16, s15, 0xffff
	s_delay_alu instid0(SALU_CYCLE_1)
	s_lshl_b32 s15, s16, 2
	s_add_u32 s17, s2, s10
	s_addc_u32 s11, s3, s11
	v_add_co_u32 v3, s17, s17, v3
	s_lshl_b64 s[2:3], s[8:9], 17
	s_lshl_b32 s10, s16, 5
	v_add_co_ci_u32_e64 v4, null, s11, 0, s17
	s_add_u32 s2, s6, s2
	s_addc_u32 s3, s7, s3
	v_add_co_u32 v3, vcc_lo, v3, 16
	v_add_co_u32 v5, s2, s2, v5
	v_add_lshl_u32 v1, v0, s16, 2
	v_add_co_ci_u32_e32 v4, vcc_lo, 0, v4, vcc_lo
	v_add_co_ci_u32_e64 v6, null, s3, 0, s2
	s_mov_b32 s11, 0
	s_lshl_b32 s16, s16, 3
	.p2align	6
.LBB222_3:                              ; =>This Inner Loop Header: Depth=1
	s_clause 0x1
	global_load_b128 v[7:10], v[3:4], off
	global_load_b128 v[10:13], v[3:4], off offset:-16
	v_cmp_le_i64_e32 vcc_lo, s[4:5], v[1:2]
	v_cmp_lt_u64_e64 s2, 0xffff, v[1:2]
	v_add_co_u32 v1, s3, v1, s15
	s_delay_alu instid0(VALU_DEP_1) | instskip(SKIP_1) | instid1(VALU_DEP_4)
	v_add_co_ci_u32_e64 v2, s3, 0, v2, s3
	v_add_co_u32 v3, s3, v3, s10
	s_or_b32 s2, vcc_lo, s2
	v_add_co_ci_u32_e64 v4, s3, 0, v4, s3
	s_and_b32 s2, exec_lo, s2
	s_delay_alu instid0(SALU_CYCLE_1)
	s_or_b32 s11, s2, s11
	s_waitcnt vmcnt(1)
	v_perm_b32 v8, v9, v7, 0x5040100
	s_waitcnt vmcnt(0)
	v_perm_b32 v7, v12, v10, 0x5040100
	global_store_b64 v[5:6], v[7:8], off
	v_add_co_u32 v5, vcc_lo, v5, s16
	v_add_co_ci_u32_e32 v6, vcc_lo, 0, v6, vcc_lo
	s_and_not1_b32 exec_lo, exec_lo, s11
	s_cbranch_execnz .LBB222_3
.LBB222_4:
	s_or_b32 exec_lo, exec_lo, s14
	s_mov_b32 s14, 0
.LBB222_5:
	s_delay_alu instid0(SALU_CYCLE_1)
	s_and_not1_b32 vcc_lo, exec_lo, s14
	s_cbranch_vccnz .LBB222_25
; %bb.6:
	v_cmp_lt_i64_e64 s2, s[4:5], 1
	s_delay_alu instid0(VALU_DEP_1)
	s_and_b32 vcc_lo, exec_lo, s2
	s_cbranch_vccnz .LBB222_25
; %bb.7:
	s_load_b32 s0, s[0:1], 0xc5c
	v_cmp_gt_u64_e64 s1, 0x10000, s[4:5]
	v_dual_mov_b32 v2, 0 :: v_dual_lshlrev_b32 v5, 1, v0
	v_lshlrev_b32_e32 v1, 3, v0
                                        ; implicit-def: $vgpr9_vgpr10
                                        ; implicit-def: $vgpr11_vgpr12
                                        ; implicit-def: $vgpr13_vgpr14
                                        ; implicit-def: $vgpr15_vgpr16
	s_waitcnt lgkmcnt(0)
	s_and_b32 s0, s0, 0xffff
	s_delay_alu instid0(VALU_DEP_3)
	s_and_b32 s1, s1, exec_lo
	s_cselect_b32 s3, s5, 0
	s_cselect_b32 s2, s4, 0x10000
	s_lshl_b64 s[8:9], s[8:9], 17
	s_lshl_b32 s11, s0, 1
	s_lshl_b32 s1, s0, 2
	;; [unrolled: 1-line block ×3, first 2 shown]
	s_add_u32 s6, s6, s8
	s_addc_u32 s7, s7, s9
	v_add_co_u32 v5, s9, s6, v5
	s_delay_alu instid0(VALU_DEP_1) | instskip(SKIP_4) | instid1(VALU_DEP_3)
	v_add_co_ci_u32_e64 v6, null, s7, 0, s9
	v_add_co_u32 v26, s9, v0, s0
	s_mul_i32 s14, s0, 3
	v_mad_u64_u32 v[3:4], null, s0, 24, v[1:2]
	v_add_co_u32 v2, s8, s14, v0
	v_lshlrev_b32_e32 v7, 1, v26
	v_add_co_ci_u32_e64 v25, null, 0, 0, s8
	s_lshl_b32 s8, s0, 4
	v_add_co_ci_u32_e64 v29, null, 0, 0, s9
	v_add_co_u32 v27, s8, s8, v1
	s_delay_alu instid0(VALU_DEP_1)
	v_add_co_ci_u32_e64 v28, null, 0, 0, s8
	v_add_co_u32 v30, s8, s11, v0
	v_add_co_u32 v7, s6, s6, v7
	v_add_co_ci_u32_e64 v31, null, 0, 0, s8
	v_lshlrev_b32_e32 v32, 3, v26
	v_add_co_ci_u32_e64 v8, null, s7, 0, s6
	s_lshl_b32 s8, s0, 3
	s_mul_i32 s9, s0, 6
	s_mov_b64 s[6:7], 0
	s_branch .LBB222_9
.LBB222_8:                              ;   in Loop: Header=BB222_9 Depth=1
	s_or_b32 exec_lo, exec_lo, s0
	s_add_u32 s6, s6, s1
	s_addc_u32 s7, s7, 0
	v_add_co_u32 v5, vcc_lo, v5, s8
	v_cmp_ge_i64_e64 s0, s[6:7], s[4:5]
	v_cmp_lt_u64_e64 s11, 0xffff, s[6:7]
	v_add_co_ci_u32_e32 v6, vcc_lo, 0, v6, vcc_lo
	v_add_co_u32 v7, vcc_lo, v7, s8
	v_add_co_ci_u32_e32 v8, vcc_lo, 0, v8, vcc_lo
	s_delay_alu instid0(VALU_DEP_4)
	s_or_b32 s0, s0, s11
	s_add_u32 s12, s12, s10
	s_addc_u32 s13, s13, 0
	s_and_b32 vcc_lo, exec_lo, s0
	s_cbranch_vccnz .LBB222_25
.LBB222_9:                              ; =>This Inner Loop Header: Depth=1
	v_add_co_u32 v17, s0, v0, s6
	s_delay_alu instid0(VALU_DEP_1) | instskip(NEXT) | instid1(VALU_DEP_1)
	v_add_co_ci_u32_e64 v18, null, 0, s7, s0
	v_cmp_gt_i64_e32 vcc_lo, s[4:5], v[17:18]
	v_cmp_gt_u64_e64 s0, 0x10000, v[17:18]
	s_delay_alu instid0(VALU_DEP_1) | instskip(NEXT) | instid1(SALU_CYCLE_1)
	s_and_b32 s11, vcc_lo, s0
	s_and_saveexec_b32 s0, s11
	s_cbranch_execz .LBB222_11
; %bb.10:                               ;   in Loop: Header=BB222_9 Depth=1
	s_waitcnt vmcnt(0)
	v_add_co_u32 v14, s11, s12, v1
	s_delay_alu instid0(VALU_DEP_1)
	v_add_co_ci_u32_e64 v15, null, s13, 0, s11
	global_load_b64 v[15:16], v[14:15], off
.LBB222_11:                             ;   in Loop: Header=BB222_9 Depth=1
	s_or_b32 exec_lo, exec_lo, s0
	v_add_co_u32 v19, vcc_lo, v26, s6
	v_add_co_ci_u32_e32 v20, vcc_lo, s7, v29, vcc_lo
	s_delay_alu instid0(VALU_DEP_1) | instskip(SKIP_1) | instid1(VALU_DEP_1)
	v_cmp_gt_i64_e32 vcc_lo, s[4:5], v[19:20]
	v_cmp_gt_u64_e64 s0, 0x10000, v[19:20]
	s_and_b32 s11, vcc_lo, s0
	s_delay_alu instid0(SALU_CYCLE_1)
	s_and_saveexec_b32 s0, s11
	s_cbranch_execz .LBB222_13
; %bb.12:                               ;   in Loop: Header=BB222_9 Depth=1
	s_waitcnt vmcnt(0)
	v_add_co_u32 v12, s11, s12, v32
	s_delay_alu instid0(VALU_DEP_1)
	v_add_co_ci_u32_e64 v13, null, s13, 0, s11
	global_load_b64 v[13:14], v[12:13], off
.LBB222_13:                             ;   in Loop: Header=BB222_9 Depth=1
	s_or_b32 exec_lo, exec_lo, s0
	v_add_co_u32 v21, vcc_lo, v30, s6
	v_add_co_ci_u32_e32 v22, vcc_lo, s7, v31, vcc_lo
	s_delay_alu instid0(VALU_DEP_1) | instskip(SKIP_1) | instid1(VALU_DEP_1)
	v_cmp_gt_i64_e32 vcc_lo, s[4:5], v[21:22]
	v_cmp_gt_u64_e64 s0, 0x10000, v[21:22]
	s_and_b32 s11, vcc_lo, s0
	s_delay_alu instid0(SALU_CYCLE_1)
	s_and_saveexec_b32 s0, s11
	s_cbranch_execz .LBB222_15
; %bb.14:                               ;   in Loop: Header=BB222_9 Depth=1
	s_waitcnt vmcnt(0)
	v_add_co_u32 v10, vcc_lo, s12, v27
	v_add_co_ci_u32_e32 v11, vcc_lo, s13, v28, vcc_lo
	global_load_b64 v[11:12], v[10:11], off
.LBB222_15:                             ;   in Loop: Header=BB222_9 Depth=1
	s_or_b32 exec_lo, exec_lo, s0
	v_add_co_u32 v23, vcc_lo, v2, s6
	v_add_co_ci_u32_e32 v24, vcc_lo, s7, v25, vcc_lo
	s_delay_alu instid0(VALU_DEP_1) | instskip(SKIP_1) | instid1(VALU_DEP_1)
	v_cmp_gt_i64_e32 vcc_lo, s[4:5], v[23:24]
	v_cmp_gt_u64_e64 s0, 0x10000, v[23:24]
	s_and_b32 s11, vcc_lo, s0
	s_delay_alu instid0(SALU_CYCLE_1)
	s_and_saveexec_b32 s0, s11
	s_cbranch_execnz .LBB222_20
; %bb.16:                               ;   in Loop: Header=BB222_9 Depth=1
	s_or_b32 exec_lo, exec_lo, s0
	s_delay_alu instid0(SALU_CYCLE_1)
	s_mov_b32 s0, exec_lo
	v_cmpx_gt_u64_e64 s[2:3], v[17:18]
	s_cbranch_execnz .LBB222_21
.LBB222_17:                             ;   in Loop: Header=BB222_9 Depth=1
	s_or_b32 exec_lo, exec_lo, s0
	s_delay_alu instid0(SALU_CYCLE_1)
	s_mov_b32 s0, exec_lo
	v_cmpx_gt_u64_e64 s[2:3], v[19:20]
	s_cbranch_execnz .LBB222_22
.LBB222_18:                             ;   in Loop: Header=BB222_9 Depth=1
	s_or_b32 exec_lo, exec_lo, s0
	s_delay_alu instid0(SALU_CYCLE_1)
	s_mov_b32 s0, exec_lo
	v_cmpx_gt_u64_e64 s[2:3], v[21:22]
	s_cbranch_execnz .LBB222_23
.LBB222_19:                             ;   in Loop: Header=BB222_9 Depth=1
	s_or_b32 exec_lo, exec_lo, s0
	s_delay_alu instid0(SALU_CYCLE_1)
	s_mov_b32 s0, exec_lo
	v_cmpx_gt_u64_e64 s[2:3], v[23:24]
	s_cbranch_execz .LBB222_8
	s_branch .LBB222_24
.LBB222_20:                             ;   in Loop: Header=BB222_9 Depth=1
	s_waitcnt vmcnt(0)
	v_add_co_u32 v9, vcc_lo, s12, v3
	v_add_co_ci_u32_e32 v10, vcc_lo, s13, v4, vcc_lo
	global_load_b64 v[9:10], v[9:10], off
	s_or_b32 exec_lo, exec_lo, s0
	s_delay_alu instid0(SALU_CYCLE_1)
	s_mov_b32 s0, exec_lo
	v_cmpx_gt_u64_e64 s[2:3], v[17:18]
	s_cbranch_execz .LBB222_17
.LBB222_21:                             ;   in Loop: Header=BB222_9 Depth=1
	s_waitcnt vmcnt(0)
	global_store_b16 v[5:6], v15, off
	s_or_b32 exec_lo, exec_lo, s0
	s_delay_alu instid0(SALU_CYCLE_1)
	s_mov_b32 s0, exec_lo
	v_cmpx_gt_u64_e64 s[2:3], v[19:20]
	s_cbranch_execz .LBB222_18
.LBB222_22:                             ;   in Loop: Header=BB222_9 Depth=1
	s_waitcnt vmcnt(0)
	global_store_b16 v[7:8], v13, off
	s_or_b32 exec_lo, exec_lo, s0
	s_delay_alu instid0(SALU_CYCLE_1)
	s_mov_b32 s0, exec_lo
	v_cmpx_gt_u64_e64 s[2:3], v[21:22]
	s_cbranch_execz .LBB222_19
.LBB222_23:                             ;   in Loop: Header=BB222_9 Depth=1
	s_waitcnt vmcnt(0)
	v_add_co_u32 v16, vcc_lo, v5, s1
	v_add_co_ci_u32_e32 v17, vcc_lo, 0, v6, vcc_lo
	global_store_b16 v[16:17], v11, off
	s_or_b32 exec_lo, exec_lo, s0
	s_delay_alu instid0(SALU_CYCLE_1)
	s_mov_b32 s0, exec_lo
	v_cmpx_gt_u64_e64 s[2:3], v[23:24]
	s_cbranch_execz .LBB222_8
.LBB222_24:                             ;   in Loop: Header=BB222_9 Depth=1
	s_waitcnt vmcnt(0)
	v_add_co_u32 v16, vcc_lo, v5, s9
	v_add_co_ci_u32_e32 v17, vcc_lo, 0, v6, vcc_lo
	global_store_b16 v[16:17], v9, off
	s_branch .LBB222_8
.LBB222_25:
	s_nop 0
	s_sendmsg sendmsg(MSG_DEALLOC_VGPRS)
	s_endpgm
	.section	.rodata,"a",@progbits
	.p2align	6, 0x0
	.amdhsa_kernel _ZN2at6native12_GLOBAL__N_125multi_tensor_apply_kernelINS1_18TensorListMetadataILi2EEENS1_11CopyFunctorIslLi2ELi1ELi1EEEJNS0_4CopyIslEEEEEvT_T0_DpT1_
		.amdhsa_group_segment_fixed_size 0
		.amdhsa_private_segment_fixed_size 0
		.amdhsa_kernarg_size 3408
		.amdhsa_user_sgpr_count 15
		.amdhsa_user_sgpr_dispatch_ptr 0
		.amdhsa_user_sgpr_queue_ptr 0
		.amdhsa_user_sgpr_kernarg_segment_ptr 1
		.amdhsa_user_sgpr_dispatch_id 0
		.amdhsa_user_sgpr_private_segment_size 0
		.amdhsa_wavefront_size32 1
		.amdhsa_uses_dynamic_stack 0
		.amdhsa_enable_private_segment 0
		.amdhsa_system_sgpr_workgroup_id_x 1
		.amdhsa_system_sgpr_workgroup_id_y 0
		.amdhsa_system_sgpr_workgroup_id_z 0
		.amdhsa_system_sgpr_workgroup_info 0
		.amdhsa_system_vgpr_workitem_id 0
		.amdhsa_next_free_vgpr 33
		.amdhsa_next_free_sgpr 20
		.amdhsa_reserve_vcc 1
		.amdhsa_float_round_mode_32 0
		.amdhsa_float_round_mode_16_64 0
		.amdhsa_float_denorm_mode_32 3
		.amdhsa_float_denorm_mode_16_64 3
		.amdhsa_dx10_clamp 1
		.amdhsa_ieee_mode 1
		.amdhsa_fp16_overflow 0
		.amdhsa_workgroup_processor_mode 1
		.amdhsa_memory_ordered 1
		.amdhsa_forward_progress 0
		.amdhsa_shared_vgpr_count 0
		.amdhsa_exception_fp_ieee_invalid_op 0
		.amdhsa_exception_fp_denorm_src 0
		.amdhsa_exception_fp_ieee_div_zero 0
		.amdhsa_exception_fp_ieee_overflow 0
		.amdhsa_exception_fp_ieee_underflow 0
		.amdhsa_exception_fp_ieee_inexact 0
		.amdhsa_exception_int_div_zero 0
	.end_amdhsa_kernel
	.section	.text._ZN2at6native12_GLOBAL__N_125multi_tensor_apply_kernelINS1_18TensorListMetadataILi2EEENS1_11CopyFunctorIslLi2ELi1ELi1EEEJNS0_4CopyIslEEEEEvT_T0_DpT1_,"axG",@progbits,_ZN2at6native12_GLOBAL__N_125multi_tensor_apply_kernelINS1_18TensorListMetadataILi2EEENS1_11CopyFunctorIslLi2ELi1ELi1EEEJNS0_4CopyIslEEEEEvT_T0_DpT1_,comdat
.Lfunc_end222:
	.size	_ZN2at6native12_GLOBAL__N_125multi_tensor_apply_kernelINS1_18TensorListMetadataILi2EEENS1_11CopyFunctorIslLi2ELi1ELi1EEEJNS0_4CopyIslEEEEEvT_T0_DpT1_, .Lfunc_end222-_ZN2at6native12_GLOBAL__N_125multi_tensor_apply_kernelINS1_18TensorListMetadataILi2EEENS1_11CopyFunctorIslLi2ELi1ELi1EEEJNS0_4CopyIslEEEEEvT_T0_DpT1_
                                        ; -- End function
	.section	.AMDGPU.csdata,"",@progbits
; Kernel info:
; codeLenInByte = 1420
; NumSgprs: 22
; NumVgprs: 33
; ScratchSize: 0
; MemoryBound: 0
; FloatMode: 240
; IeeeMode: 1
; LDSByteSize: 0 bytes/workgroup (compile time only)
; SGPRBlocks: 2
; VGPRBlocks: 4
; NumSGPRsForWavesPerEU: 22
; NumVGPRsForWavesPerEU: 33
; Occupancy: 16
; WaveLimiterHint : 0
; COMPUTE_PGM_RSRC2:SCRATCH_EN: 0
; COMPUTE_PGM_RSRC2:USER_SGPR: 15
; COMPUTE_PGM_RSRC2:TRAP_HANDLER: 0
; COMPUTE_PGM_RSRC2:TGID_X_EN: 1
; COMPUTE_PGM_RSRC2:TGID_Y_EN: 0
; COMPUTE_PGM_RSRC2:TGID_Z_EN: 0
; COMPUTE_PGM_RSRC2:TIDIG_COMP_CNT: 0
	.section	.text._ZN2at6native12_GLOBAL__N_125multi_tensor_apply_kernelINS1_18TensorListMetadataILi2EEENS1_14UnaryOpFunctorIsLi2ELi1ELi1EEEJNS0_4CopyIssEEEEEvT_T0_DpT1_,"axG",@progbits,_ZN2at6native12_GLOBAL__N_125multi_tensor_apply_kernelINS1_18TensorListMetadataILi2EEENS1_14UnaryOpFunctorIsLi2ELi1ELi1EEEJNS0_4CopyIssEEEEEvT_T0_DpT1_,comdat
	.globl	_ZN2at6native12_GLOBAL__N_125multi_tensor_apply_kernelINS1_18TensorListMetadataILi2EEENS1_14UnaryOpFunctorIsLi2ELi1ELi1EEEJNS0_4CopyIssEEEEEvT_T0_DpT1_ ; -- Begin function _ZN2at6native12_GLOBAL__N_125multi_tensor_apply_kernelINS1_18TensorListMetadataILi2EEENS1_14UnaryOpFunctorIsLi2ELi1ELi1EEEJNS0_4CopyIssEEEEEvT_T0_DpT1_
	.p2align	8
	.type	_ZN2at6native12_GLOBAL__N_125multi_tensor_apply_kernelINS1_18TensorListMetadataILi2EEENS1_14UnaryOpFunctorIsLi2ELi1ELi1EEEJNS0_4CopyIssEEEEEvT_T0_DpT1_,@function
_ZN2at6native12_GLOBAL__N_125multi_tensor_apply_kernelINS1_18TensorListMetadataILi2EEENS1_14UnaryOpFunctorIsLi2ELi1ELi1EEEJNS0_4CopyIssEEEEEvT_T0_DpT1_: ; @_ZN2at6native12_GLOBAL__N_125multi_tensor_apply_kernelINS1_18TensorListMetadataILi2EEENS1_14UnaryOpFunctorIsLi2ELi1ELi1EEEJNS0_4CopyIssEEEEEvT_T0_DpT1_
; %bb.0:
	v_mov_b32_e32 v1, s15
	s_add_u32 s2, s0, s15
	s_mul_hi_u32 s3, s15, 3
	s_mul_i32 s15, s15, 3
	s_addc_u32 s4, s1, 0
	global_load_u8 v1, v1, s[0:1] offset:1536
	s_add_u32 s2, s2, s15
	s_addc_u32 s3, s4, s3
	s_mov_b32 s9, 0
	s_load_b32 s2, s[2:3], 0x740
	s_mov_b32 s17, s9
	s_mov_b32 s15, s9
	s_waitcnt vmcnt(0)
	v_readfirstlane_b32 s5, v1
	s_delay_alu instid0(VALU_DEP_1)
	s_lshl_b32 s3, s5, 3
	s_clause 0x2
	s_load_b64 s[10:11], s[0:1], s3 offset:0x0
	s_load_b64 s[12:13], s[0:1], s3 offset:0x200
	;; [unrolled: 1-line block ×3, first 2 shown]
	s_waitcnt lgkmcnt(0)
	s_ashr_i32 s3, s2, 31
	s_delay_alu instid0(SALU_CYCLE_1) | instskip(SKIP_4) | instid1(SALU_CYCLE_1)
	s_lshl_b64 s[4:5], s[2:3], 17
	s_lshl_b64 s[2:3], s[2:3], 16
	s_and_b32 s8, s10, 7
	s_and_b32 s14, s12, 7
	s_and_b32 s16, s6, 3
	s_or_b64 s[8:9], s[8:9], s[16:17]
	s_delay_alu instid0(SALU_CYCLE_1)
	s_or_b64 s[8:9], s[14:15], s[8:9]
	s_sub_u32 s6, s6, s2
	s_subb_u32 s7, s7, s3
	s_cmp_eq_u64 s[8:9], 0
	s_mov_b32 s2, -1
	s_cbranch_scc0 .LBB223_5
; %bb.1:
	v_dual_mov_b32 v2, 0 :: v_dual_lshlrev_b32 v1, 2, v0
	s_mov_b32 s8, exec_lo
	s_delay_alu instid0(VALU_DEP_1)
	v_cmpx_gt_i64_e64 s[6:7], v[1:2]
	s_cbranch_execz .LBB223_4
; %bb.2:
	s_load_b32 s2, s[0:1], 0xc5c
	v_lshlrev_b32_e32 v1, 3, v0
	s_mov_b32 s9, 0
	s_delay_alu instid0(VALU_DEP_1) | instskip(NEXT) | instid1(VALU_DEP_1)
	v_add_co_u32 v3, s3, s4, v1
	v_add_co_ci_u32_e64 v4, null, s5, 0, s3
	s_waitcnt lgkmcnt(0)
	s_and_b32 s2, s2, 0xffff
	s_delay_alu instid0(SALU_CYCLE_1)
	v_add_lshl_u32 v1, v0, s2, 2
	s_lshl_b32 s14, s2, 3
	s_lshl_b32 s15, s2, 2
	.p2align	6
.LBB223_3:                              ; =>This Inner Loop Header: Depth=1
	v_add_co_u32 v5, vcc_lo, s10, v3
	v_add_co_ci_u32_e32 v6, vcc_lo, s11, v4, vcc_lo
	v_add_co_u32 v7, vcc_lo, s12, v3
	v_add_co_ci_u32_e32 v8, vcc_lo, s13, v4, vcc_lo
	global_load_b64 v[5:6], v[5:6], off
	v_cmp_le_i64_e32 vcc_lo, s[6:7], v[1:2]
	v_cmp_lt_u64_e64 s2, 0xffff, v[1:2]
	v_add_co_u32 v3, s3, v3, s14
	s_delay_alu instid0(VALU_DEP_1) | instskip(SKIP_1) | instid1(VALU_DEP_4)
	v_add_co_ci_u32_e64 v4, s3, 0, v4, s3
	v_add_co_u32 v1, s3, v1, s15
	s_or_b32 s2, vcc_lo, s2
	v_add_co_ci_u32_e64 v2, vcc_lo, 0, v2, s3
	s_and_b32 s2, exec_lo, s2
	s_delay_alu instid0(SALU_CYCLE_1)
	s_or_b32 s9, s2, s9
	s_waitcnt vmcnt(0)
	global_store_b64 v[7:8], v[5:6], off
	s_and_not1_b32 exec_lo, exec_lo, s9
	s_cbranch_execnz .LBB223_3
.LBB223_4:
	s_or_b32 exec_lo, exec_lo, s8
	s_mov_b32 s2, 0
.LBB223_5:
	s_delay_alu instid0(SALU_CYCLE_1)
	s_and_not1_b32 vcc_lo, exec_lo, s2
	s_cbranch_vccnz .LBB223_25
; %bb.6:
	v_cmp_lt_i64_e64 s2, s[6:7], 1
	s_delay_alu instid0(VALU_DEP_1)
	s_and_b32 vcc_lo, exec_lo, s2
	s_cbranch_vccnz .LBB223_25
; %bb.7:
	s_load_b32 s0, s[0:1], 0xc5c
	v_dual_mov_b32 v10, 0 :: v_dual_lshlrev_b32 v9, 1, v0
	v_cmp_gt_u64_e64 s1, 0x10000, s[6:7]
	s_delay_alu instid0(VALU_DEP_2) | instskip(NEXT) | instid1(VALU_DEP_1)
	v_add_co_u32 v1, s2, s10, v9
	v_add_co_ci_u32_e64 v2, null, s11, 0, s2
	v_add_co_u32 v3, s2, s12, v9
	s_delay_alu instid0(VALU_DEP_1)
	v_add_co_ci_u32_e64 v4, null, s13, 0, s2
	s_waitcnt lgkmcnt(0)
	s_and_b32 s0, s0, 0xffff
	s_and_b32 s1, s1, exec_lo
	v_mad_u64_u32 v[7:8], null, s0, 6, v[9:10]
	s_cselect_b32 s9, s7, 0
	s_cselect_b32 s8, s6, 0x10000
	s_mul_i32 s2, s0, 3
	s_lshl_b32 s14, s0, 2
	s_lshl_b32 s1, s0, 1
	v_add_co_u32 v14, s3, s14, v9
	v_add_co_u32 v9, s2, s2, v0
	s_delay_alu instid0(VALU_DEP_1) | instskip(SKIP_3) | instid1(VALU_DEP_3)
	v_add_co_ci_u32_e64 v10, null, 0, 0, s2
	v_add_co_u32 v13, s2, v0, s0
	v_add_co_u32 v5, vcc_lo, s10, v7
	v_add_co_ci_u32_e32 v6, vcc_lo, s11, v8, vcc_lo
	v_lshlrev_b32_e32 v21, 1, v13
	v_add_co_u32 v7, vcc_lo, s12, v7
	v_add_co_ci_u32_e64 v15, null, 0, 0, s3
	v_add_co_ci_u32_e32 v8, vcc_lo, s13, v8, vcc_lo
	v_add_co_u32 v17, s1, s1, v0
	v_add_co_u32 v11, vcc_lo, s10, v14
	v_add_co_ci_u32_e64 v18, null, 0, 0, s1
	v_add_co_u32 v19, s1, s10, v21
	v_add_co_ci_u32_e32 v12, vcc_lo, s11, v15, vcc_lo
	v_add_co_u32 v14, vcc_lo, s12, v14
	v_add_co_ci_u32_e64 v20, null, s11, 0, s1
	v_add_co_u32 v21, s1, s12, v21
	v_add_co_ci_u32_e32 v15, vcc_lo, s13, v15, vcc_lo
	v_add_co_ci_u32_e64 v16, null, 0, 0, s2
	v_add_co_ci_u32_e64 v22, null, s13, 0, s1
	s_lshl_b32 s12, s0, 3
	s_mov_b64 s[10:11], 0
	s_branch .LBB223_9
.LBB223_8:                              ;   in Loop: Header=BB223_9 Depth=1
	s_or_b32 exec_lo, exec_lo, s0
	v_add_co_u32 v1, vcc_lo, v1, s12
	v_add_co_ci_u32_e32 v2, vcc_lo, 0, v2, vcc_lo
	v_add_co_u32 v3, vcc_lo, v3, s12
	v_add_co_ci_u32_e32 v4, vcc_lo, 0, v4, vcc_lo
	;; [unrolled: 2-line block ×5, first 2 shown]
	s_add_u32 s10, s10, s14
	v_add_co_u32 v14, vcc_lo, v14, s12
	s_addc_u32 s11, s11, 0
	v_add_co_ci_u32_e32 v15, vcc_lo, 0, v15, vcc_lo
	v_cmp_ge_i64_e64 s0, s[10:11], s[6:7]
	v_cmp_lt_u64_e64 s1, 0xffff, s[10:11]
	v_add_co_u32 v19, vcc_lo, v19, s12
	v_add_co_ci_u32_e32 v20, vcc_lo, 0, v20, vcc_lo
	v_add_co_u32 v21, vcc_lo, v21, s12
	v_add_co_ci_u32_e32 v22, vcc_lo, 0, v22, vcc_lo
	s_or_b32 s0, s0, s1
	s_delay_alu instid0(SALU_CYCLE_1)
	s_and_b32 vcc_lo, exec_lo, s0
	s_cbranch_vccnz .LBB223_25
.LBB223_9:                              ; =>This Inner Loop Header: Depth=1
	s_waitcnt vmcnt(0)
	v_add_co_u32 v23, s0, v0, s10
	s_delay_alu instid0(VALU_DEP_1) | instskip(NEXT) | instid1(VALU_DEP_1)
	v_add_co_ci_u32_e64 v24, null, 0, s11, s0
	v_cmp_gt_u64_e32 vcc_lo, s[8:9], v[23:24]
	v_mov_b32_e32 v23, 0
	s_and_saveexec_b32 s1, vcc_lo
	s_cbranch_execz .LBB223_11
; %bb.10:                               ;   in Loop: Header=BB223_9 Depth=1
	v_add_co_u32 v23, s0, v1, s4
	s_delay_alu instid0(VALU_DEP_1)
	v_add_co_ci_u32_e64 v24, s0, s5, v2, s0
	global_load_u16 v23, v[23:24], off
.LBB223_11:                             ;   in Loop: Header=BB223_9 Depth=1
	s_or_b32 exec_lo, exec_lo, s1
	v_add_co_u32 v24, s0, v13, s10
	s_delay_alu instid0(VALU_DEP_1) | instskip(NEXT) | instid1(VALU_DEP_1)
	v_add_co_ci_u32_e64 v25, s0, s11, v16, s0
	v_cmp_gt_u64_e64 s0, s[8:9], v[24:25]
	v_mov_b32_e32 v25, 0
	s_delay_alu instid0(VALU_DEP_2)
	s_and_saveexec_b32 s2, s0
	s_cbranch_execz .LBB223_13
; %bb.12:                               ;   in Loop: Header=BB223_9 Depth=1
	v_add_co_u32 v24, s1, v19, s4
	s_delay_alu instid0(VALU_DEP_1)
	v_add_co_ci_u32_e64 v25, s1, s5, v20, s1
	global_load_u16 v25, v[24:25], off
.LBB223_13:                             ;   in Loop: Header=BB223_9 Depth=1
	s_or_b32 exec_lo, exec_lo, s2
	v_add_co_u32 v26, s1, v17, s10
	s_delay_alu instid0(VALU_DEP_1) | instskip(SKIP_1) | instid1(VALU_DEP_2)
	v_add_co_ci_u32_e64 v27, s1, s11, v18, s1
	v_mov_b32_e32 v24, 0
	v_cmp_gt_u64_e64 s1, s[8:9], v[26:27]
	v_mov_b32_e32 v26, 0
	s_delay_alu instid0(VALU_DEP_2)
	s_and_saveexec_b32 s3, s1
	s_cbranch_execz .LBB223_15
; %bb.14:                               ;   in Loop: Header=BB223_9 Depth=1
	v_add_co_u32 v26, s2, v11, s4
	s_delay_alu instid0(VALU_DEP_1)
	v_add_co_ci_u32_e64 v27, s2, s5, v12, s2
	global_load_u16 v26, v[26:27], off
.LBB223_15:                             ;   in Loop: Header=BB223_9 Depth=1
	s_or_b32 exec_lo, exec_lo, s3
	v_add_co_u32 v27, s2, v9, s10
	s_delay_alu instid0(VALU_DEP_1) | instskip(NEXT) | instid1(VALU_DEP_1)
	v_add_co_ci_u32_e64 v28, s2, s11, v10, s2
	v_cmp_gt_u64_e64 s2, s[8:9], v[27:28]
	s_delay_alu instid0(VALU_DEP_1)
	s_and_saveexec_b32 s13, s2
	s_cbranch_execnz .LBB223_20
; %bb.16:                               ;   in Loop: Header=BB223_9 Depth=1
	s_or_b32 exec_lo, exec_lo, s13
	s_and_saveexec_b32 s3, vcc_lo
	s_cbranch_execnz .LBB223_21
.LBB223_17:                             ;   in Loop: Header=BB223_9 Depth=1
	s_or_b32 exec_lo, exec_lo, s3
	s_and_saveexec_b32 s3, s0
	s_cbranch_execnz .LBB223_22
.LBB223_18:                             ;   in Loop: Header=BB223_9 Depth=1
	s_or_b32 exec_lo, exec_lo, s3
	s_and_saveexec_b32 s0, s1
	s_cbranch_execnz .LBB223_23
.LBB223_19:                             ;   in Loop: Header=BB223_9 Depth=1
	s_or_b32 exec_lo, exec_lo, s0
	s_and_saveexec_b32 s0, s2
	s_cbranch_execz .LBB223_8
	s_branch .LBB223_24
.LBB223_20:                             ;   in Loop: Header=BB223_9 Depth=1
	v_add_co_u32 v27, s3, v5, s4
	s_delay_alu instid0(VALU_DEP_1)
	v_add_co_ci_u32_e64 v28, s3, s5, v6, s3
	global_load_u16 v24, v[27:28], off
	s_or_b32 exec_lo, exec_lo, s13
	s_and_saveexec_b32 s3, vcc_lo
	s_cbranch_execz .LBB223_17
.LBB223_21:                             ;   in Loop: Header=BB223_9 Depth=1
	v_add_co_u32 v27, vcc_lo, v3, s4
	v_add_co_ci_u32_e32 v28, vcc_lo, s5, v4, vcc_lo
	s_waitcnt vmcnt(0)
	global_store_b16 v[27:28], v23, off
	s_or_b32 exec_lo, exec_lo, s3
	s_and_saveexec_b32 s3, s0
	s_cbranch_execz .LBB223_18
.LBB223_22:                             ;   in Loop: Header=BB223_9 Depth=1
	v_add_co_u32 v27, vcc_lo, v21, s4
	v_add_co_ci_u32_e32 v28, vcc_lo, s5, v22, vcc_lo
	s_waitcnt vmcnt(0)
	global_store_b16 v[27:28], v25, off
	s_or_b32 exec_lo, exec_lo, s3
	s_and_saveexec_b32 s0, s1
	s_cbranch_execz .LBB223_19
.LBB223_23:                             ;   in Loop: Header=BB223_9 Depth=1
	v_add_co_u32 v27, vcc_lo, v14, s4
	v_add_co_ci_u32_e32 v28, vcc_lo, s5, v15, vcc_lo
	s_waitcnt vmcnt(0)
	global_store_b16 v[27:28], v26, off
	s_or_b32 exec_lo, exec_lo, s0
	s_and_saveexec_b32 s0, s2
	s_cbranch_execz .LBB223_8
.LBB223_24:                             ;   in Loop: Header=BB223_9 Depth=1
	s_waitcnt vmcnt(0)
	v_add_co_u32 v25, vcc_lo, v7, s4
	v_add_co_ci_u32_e32 v26, vcc_lo, s5, v8, vcc_lo
	global_store_b16 v[25:26], v24, off
	s_branch .LBB223_8
.LBB223_25:
	s_nop 0
	s_sendmsg sendmsg(MSG_DEALLOC_VGPRS)
	s_endpgm
	.section	.rodata,"a",@progbits
	.p2align	6, 0x0
	.amdhsa_kernel _ZN2at6native12_GLOBAL__N_125multi_tensor_apply_kernelINS1_18TensorListMetadataILi2EEENS1_14UnaryOpFunctorIsLi2ELi1ELi1EEEJNS0_4CopyIssEEEEEvT_T0_DpT1_
		.amdhsa_group_segment_fixed_size 0
		.amdhsa_private_segment_fixed_size 0
		.amdhsa_kernarg_size 3408
		.amdhsa_user_sgpr_count 15
		.amdhsa_user_sgpr_dispatch_ptr 0
		.amdhsa_user_sgpr_queue_ptr 0
		.amdhsa_user_sgpr_kernarg_segment_ptr 1
		.amdhsa_user_sgpr_dispatch_id 0
		.amdhsa_user_sgpr_private_segment_size 0
		.amdhsa_wavefront_size32 1
		.amdhsa_uses_dynamic_stack 0
		.amdhsa_enable_private_segment 0
		.amdhsa_system_sgpr_workgroup_id_x 1
		.amdhsa_system_sgpr_workgroup_id_y 0
		.amdhsa_system_sgpr_workgroup_id_z 0
		.amdhsa_system_sgpr_workgroup_info 0
		.amdhsa_system_vgpr_workitem_id 0
		.amdhsa_next_free_vgpr 29
		.amdhsa_next_free_sgpr 18
		.amdhsa_reserve_vcc 1
		.amdhsa_float_round_mode_32 0
		.amdhsa_float_round_mode_16_64 0
		.amdhsa_float_denorm_mode_32 3
		.amdhsa_float_denorm_mode_16_64 3
		.amdhsa_dx10_clamp 1
		.amdhsa_ieee_mode 1
		.amdhsa_fp16_overflow 0
		.amdhsa_workgroup_processor_mode 1
		.amdhsa_memory_ordered 1
		.amdhsa_forward_progress 0
		.amdhsa_shared_vgpr_count 0
		.amdhsa_exception_fp_ieee_invalid_op 0
		.amdhsa_exception_fp_denorm_src 0
		.amdhsa_exception_fp_ieee_div_zero 0
		.amdhsa_exception_fp_ieee_overflow 0
		.amdhsa_exception_fp_ieee_underflow 0
		.amdhsa_exception_fp_ieee_inexact 0
		.amdhsa_exception_int_div_zero 0
	.end_amdhsa_kernel
	.section	.text._ZN2at6native12_GLOBAL__N_125multi_tensor_apply_kernelINS1_18TensorListMetadataILi2EEENS1_14UnaryOpFunctorIsLi2ELi1ELi1EEEJNS0_4CopyIssEEEEEvT_T0_DpT1_,"axG",@progbits,_ZN2at6native12_GLOBAL__N_125multi_tensor_apply_kernelINS1_18TensorListMetadataILi2EEENS1_14UnaryOpFunctorIsLi2ELi1ELi1EEEJNS0_4CopyIssEEEEEvT_T0_DpT1_,comdat
.Lfunc_end223:
	.size	_ZN2at6native12_GLOBAL__N_125multi_tensor_apply_kernelINS1_18TensorListMetadataILi2EEENS1_14UnaryOpFunctorIsLi2ELi1ELi1EEEJNS0_4CopyIssEEEEEvT_T0_DpT1_, .Lfunc_end223-_ZN2at6native12_GLOBAL__N_125multi_tensor_apply_kernelINS1_18TensorListMetadataILi2EEENS1_14UnaryOpFunctorIsLi2ELi1ELi1EEEJNS0_4CopyIssEEEEEvT_T0_DpT1_
                                        ; -- End function
	.section	.AMDGPU.csdata,"",@progbits
; Kernel info:
; codeLenInByte = 1352
; NumSgprs: 20
; NumVgprs: 29
; ScratchSize: 0
; MemoryBound: 0
; FloatMode: 240
; IeeeMode: 1
; LDSByteSize: 0 bytes/workgroup (compile time only)
; SGPRBlocks: 2
; VGPRBlocks: 3
; NumSGPRsForWavesPerEU: 20
; NumVGPRsForWavesPerEU: 29
; Occupancy: 16
; WaveLimiterHint : 0
; COMPUTE_PGM_RSRC2:SCRATCH_EN: 0
; COMPUTE_PGM_RSRC2:USER_SGPR: 15
; COMPUTE_PGM_RSRC2:TRAP_HANDLER: 0
; COMPUTE_PGM_RSRC2:TGID_X_EN: 1
; COMPUTE_PGM_RSRC2:TGID_Y_EN: 0
; COMPUTE_PGM_RSRC2:TGID_Z_EN: 0
; COMPUTE_PGM_RSRC2:TIDIG_COMP_CNT: 0
	.section	.text._ZN2at6native12_GLOBAL__N_125multi_tensor_apply_kernelINS1_18TensorListMetadataILi2EEENS1_11CopyFunctorIsiLi2ELi1ELi1EEEJNS0_4CopyIsiEEEEEvT_T0_DpT1_,"axG",@progbits,_ZN2at6native12_GLOBAL__N_125multi_tensor_apply_kernelINS1_18TensorListMetadataILi2EEENS1_11CopyFunctorIsiLi2ELi1ELi1EEEJNS0_4CopyIsiEEEEEvT_T0_DpT1_,comdat
	.globl	_ZN2at6native12_GLOBAL__N_125multi_tensor_apply_kernelINS1_18TensorListMetadataILi2EEENS1_11CopyFunctorIsiLi2ELi1ELi1EEEJNS0_4CopyIsiEEEEEvT_T0_DpT1_ ; -- Begin function _ZN2at6native12_GLOBAL__N_125multi_tensor_apply_kernelINS1_18TensorListMetadataILi2EEENS1_11CopyFunctorIsiLi2ELi1ELi1EEEJNS0_4CopyIsiEEEEEvT_T0_DpT1_
	.p2align	8
	.type	_ZN2at6native12_GLOBAL__N_125multi_tensor_apply_kernelINS1_18TensorListMetadataILi2EEENS1_11CopyFunctorIsiLi2ELi1ELi1EEEJNS0_4CopyIsiEEEEEvT_T0_DpT1_,@function
_ZN2at6native12_GLOBAL__N_125multi_tensor_apply_kernelINS1_18TensorListMetadataILi2EEENS1_11CopyFunctorIsiLi2ELi1ELi1EEEJNS0_4CopyIsiEEEEEvT_T0_DpT1_: ; @_ZN2at6native12_GLOBAL__N_125multi_tensor_apply_kernelINS1_18TensorListMetadataILi2EEENS1_11CopyFunctorIsiLi2ELi1ELi1EEEJNS0_4CopyIsiEEEEEvT_T0_DpT1_
; %bb.0:
	v_mov_b32_e32 v1, s15
	s_add_u32 s2, s0, s15
	s_mul_hi_u32 s3, s15, 3
	s_mul_i32 s15, s15, 3
	s_addc_u32 s4, s1, 0
	global_load_u8 v1, v1, s[0:1] offset:1536
	s_add_u32 s2, s2, s15
	s_addc_u32 s3, s4, s3
	s_mov_b32 s15, 0
	s_load_b32 s8, s[2:3], 0x740
	s_waitcnt lgkmcnt(0)
	s_ashr_i32 s9, s8, 31
	s_delay_alu instid0(SALU_CYCLE_1) | instskip(SKIP_3) | instid1(VALU_DEP_1)
	s_lshl_b64 s[10:11], s[8:9], 18
	s_lshl_b64 s[16:17], s[8:9], 16
	s_waitcnt vmcnt(0)
	v_readfirstlane_b32 s5, v1
	s_lshl_b32 s4, s5, 3
	s_clause 0x2
	s_load_b64 s[2:3], s[0:1], s4 offset:0x0
	s_load_b64 s[6:7], s[0:1], s4 offset:0x200
	s_load_b64 s[4:5], s[0:1], s4 offset:0x400
	s_waitcnt lgkmcnt(0)
	s_add_u32 s12, s2, s10
	s_addc_u32 s13, s3, s11
	s_and_b32 s18, s6, 7
	s_and_b32 s19, s4, 3
	;; [unrolled: 1-line block ×3, first 2 shown]
	s_or_b32 s18, s19, s18
	s_mov_b32 s19, s15
	s_delay_alu instid0(SALU_CYCLE_1)
	s_or_b64 s[14:15], s[14:15], s[18:19]
	s_sub_u32 s4, s4, s16
	s_subb_u32 s5, s5, s17
	s_cmp_eq_u64 s[14:15], 0
	s_mov_b32 s14, -1
	s_cbranch_scc0 .LBB224_5
; %bb.1:
	v_dual_mov_b32 v2, 0 :: v_dual_lshlrev_b32 v1, 2, v0
	s_mov_b32 s14, exec_lo
	s_delay_alu instid0(VALU_DEP_1)
	v_cmpx_gt_i64_e64 s[4:5], v[1:2]
	s_cbranch_execz .LBB224_4
; %bb.2:
	s_load_b32 s15, s[0:1], 0xc5c
	v_lshlrev_b32_e32 v3, 4, v0
	v_lshlrev_b32_e32 v5, 3, v0
	s_waitcnt lgkmcnt(0)
	s_and_b32 s16, s15, 0xffff
	s_delay_alu instid0(SALU_CYCLE_1)
	s_lshl_b32 s15, s16, 2
	s_add_u32 s17, s2, s10
	s_addc_u32 s11, s3, s11
	v_add_co_u32 v3, s17, s17, v3
	s_lshl_b64 s[2:3], s[8:9], 17
	s_lshl_b32 s10, s16, 4
	v_add_co_ci_u32_e64 v4, null, s11, 0, s17
	s_add_u32 s2, s6, s2
	s_addc_u32 s3, s7, s3
	v_add_co_u32 v3, vcc_lo, v3, 8
	v_add_co_u32 v5, s2, s2, v5
	v_add_lshl_u32 v1, v0, s16, 2
	v_add_co_ci_u32_e32 v4, vcc_lo, 0, v4, vcc_lo
	v_add_co_ci_u32_e64 v6, null, s3, 0, s2
	s_mov_b32 s11, 0
	s_lshl_b32 s16, s16, 3
	.p2align	6
.LBB224_3:                              ; =>This Inner Loop Header: Depth=1
	global_load_b128 v[7:10], v[3:4], off offset:-8
	v_cmp_le_i64_e32 vcc_lo, s[4:5], v[1:2]
	v_cmp_lt_u64_e64 s2, 0xffff, v[1:2]
	v_add_co_u32 v1, s3, v1, s15
	s_delay_alu instid0(VALU_DEP_1) | instskip(SKIP_1) | instid1(VALU_DEP_4)
	v_add_co_ci_u32_e64 v2, s3, 0, v2, s3
	v_add_co_u32 v3, s3, v3, s10
	s_or_b32 s2, vcc_lo, s2
	v_add_co_ci_u32_e64 v4, s3, 0, v4, s3
	s_and_b32 s2, exec_lo, s2
	s_delay_alu instid0(SALU_CYCLE_1)
	s_or_b32 s11, s2, s11
	s_waitcnt vmcnt(0)
	v_perm_b32 v9, v10, v9, 0x5040100
	v_perm_b32 v8, v8, v7, 0x5040100
	global_store_b64 v[5:6], v[8:9], off
	v_add_co_u32 v5, vcc_lo, v5, s16
	v_add_co_ci_u32_e32 v6, vcc_lo, 0, v6, vcc_lo
	s_and_not1_b32 exec_lo, exec_lo, s11
	s_cbranch_execnz .LBB224_3
.LBB224_4:
	s_or_b32 exec_lo, exec_lo, s14
	s_mov_b32 s14, 0
.LBB224_5:
	s_delay_alu instid0(SALU_CYCLE_1)
	s_and_not1_b32 vcc_lo, exec_lo, s14
	s_cbranch_vccnz .LBB224_25
; %bb.6:
	v_cmp_lt_i64_e64 s2, s[4:5], 1
	s_delay_alu instid0(VALU_DEP_1)
	s_and_b32 vcc_lo, exec_lo, s2
	s_cbranch_vccnz .LBB224_25
; %bb.7:
	s_load_b32 s0, s[0:1], 0xc5c
	v_cmp_gt_u64_e64 s1, 0x10000, s[4:5]
	v_dual_mov_b32 v2, 0 :: v_dual_lshlrev_b32 v5, 1, v0
	v_lshlrev_b32_e32 v1, 2, v0
                                        ; implicit-def: $vgpr25
                                        ; implicit-def: $vgpr26
                                        ; implicit-def: $vgpr27
                                        ; implicit-def: $vgpr28
	s_waitcnt lgkmcnt(0)
	s_and_b32 s0, s0, 0xffff
	s_delay_alu instid0(VALU_DEP_3)
	s_and_b32 s1, s1, exec_lo
	s_cselect_b32 s3, s5, 0
	s_cselect_b32 s2, s4, 0x10000
	s_lshl_b64 s[8:9], s[8:9], 17
	s_lshl_b32 s11, s0, 1
	s_lshl_b32 s1, s0, 2
	;; [unrolled: 1-line block ×3, first 2 shown]
	s_add_u32 s6, s6, s8
	s_addc_u32 s7, s7, s9
	v_add_co_u32 v5, s9, s6, v5
	s_delay_alu instid0(VALU_DEP_1) | instskip(SKIP_3) | instid1(VALU_DEP_2)
	v_add_co_ci_u32_e64 v6, null, s7, 0, s9
	v_add_co_u32 v18, s9, v0, s0
	s_mul_i32 s14, s0, 3
	v_mad_u64_u32 v[3:4], null, s0, 12, v[1:2]
	v_lshlrev_b32_e32 v7, 1, v18
	v_add_co_u32 v2, s8, s14, v0
	s_delay_alu instid0(VALU_DEP_1)
	v_add_co_ci_u32_e64 v17, null, 0, 0, s8
	s_lshl_b32 s8, s0, 3
	v_add_co_ci_u32_e64 v21, null, 0, 0, s9
	v_add_co_u32 v19, s14, s8, v1
	v_add_co_u32 v22, s9, s11, v0
	;; [unrolled: 1-line block ×3, first 2 shown]
	v_add_co_ci_u32_e64 v20, null, 0, 0, s14
	v_add_co_ci_u32_e64 v23, null, 0, 0, s9
	v_lshlrev_b32_e32 v24, 2, v18
	v_add_co_ci_u32_e64 v8, null, s7, 0, s6
	s_mul_i32 s9, s0, 6
	s_mov_b64 s[6:7], 0
	s_branch .LBB224_9
.LBB224_8:                              ;   in Loop: Header=BB224_9 Depth=1
	s_or_b32 exec_lo, exec_lo, s0
	s_add_u32 s6, s6, s1
	s_addc_u32 s7, s7, 0
	v_add_co_u32 v5, vcc_lo, v5, s8
	v_cmp_ge_i64_e64 s0, s[6:7], s[4:5]
	v_cmp_lt_u64_e64 s11, 0xffff, s[6:7]
	v_add_co_ci_u32_e32 v6, vcc_lo, 0, v6, vcc_lo
	v_add_co_u32 v7, vcc_lo, v7, s8
	v_add_co_ci_u32_e32 v8, vcc_lo, 0, v8, vcc_lo
	s_delay_alu instid0(VALU_DEP_4)
	s_or_b32 s0, s0, s11
	s_add_u32 s12, s12, s10
	s_addc_u32 s13, s13, 0
	s_and_b32 vcc_lo, exec_lo, s0
	s_cbranch_vccnz .LBB224_25
.LBB224_9:                              ; =>This Inner Loop Header: Depth=1
	v_add_co_u32 v9, s0, v0, s6
	s_delay_alu instid0(VALU_DEP_1) | instskip(NEXT) | instid1(VALU_DEP_1)
	v_add_co_ci_u32_e64 v10, null, 0, s7, s0
	v_cmp_gt_i64_e32 vcc_lo, s[4:5], v[9:10]
	v_cmp_gt_u64_e64 s0, 0x10000, v[9:10]
	s_delay_alu instid0(VALU_DEP_1) | instskip(NEXT) | instid1(SALU_CYCLE_1)
	s_and_b32 s11, vcc_lo, s0
	s_and_saveexec_b32 s0, s11
	s_cbranch_execz .LBB224_11
; %bb.10:                               ;   in Loop: Header=BB224_9 Depth=1
	v_add_co_u32 v11, s11, s12, v1
	s_delay_alu instid0(VALU_DEP_1)
	v_add_co_ci_u32_e64 v12, null, s13, 0, s11
	global_load_b32 v28, v[11:12], off
.LBB224_11:                             ;   in Loop: Header=BB224_9 Depth=1
	s_or_b32 exec_lo, exec_lo, s0
	v_add_co_u32 v11, vcc_lo, v18, s6
	v_add_co_ci_u32_e32 v12, vcc_lo, s7, v21, vcc_lo
	s_delay_alu instid0(VALU_DEP_1) | instskip(SKIP_1) | instid1(VALU_DEP_1)
	v_cmp_gt_i64_e32 vcc_lo, s[4:5], v[11:12]
	v_cmp_gt_u64_e64 s0, 0x10000, v[11:12]
	s_and_b32 s11, vcc_lo, s0
	s_delay_alu instid0(SALU_CYCLE_1)
	s_and_saveexec_b32 s0, s11
	s_cbranch_execz .LBB224_13
; %bb.12:                               ;   in Loop: Header=BB224_9 Depth=1
	v_add_co_u32 v13, s11, s12, v24
	s_delay_alu instid0(VALU_DEP_1)
	v_add_co_ci_u32_e64 v14, null, s13, 0, s11
	global_load_b32 v27, v[13:14], off
.LBB224_13:                             ;   in Loop: Header=BB224_9 Depth=1
	s_or_b32 exec_lo, exec_lo, s0
	v_add_co_u32 v13, vcc_lo, v22, s6
	v_add_co_ci_u32_e32 v14, vcc_lo, s7, v23, vcc_lo
	s_delay_alu instid0(VALU_DEP_1) | instskip(SKIP_1) | instid1(VALU_DEP_1)
	v_cmp_gt_i64_e32 vcc_lo, s[4:5], v[13:14]
	v_cmp_gt_u64_e64 s0, 0x10000, v[13:14]
	s_and_b32 s11, vcc_lo, s0
	s_delay_alu instid0(SALU_CYCLE_1)
	s_and_saveexec_b32 s0, s11
	s_cbranch_execz .LBB224_15
; %bb.14:                               ;   in Loop: Header=BB224_9 Depth=1
	v_add_co_u32 v15, vcc_lo, s12, v19
	v_add_co_ci_u32_e32 v16, vcc_lo, s13, v20, vcc_lo
	global_load_b32 v26, v[15:16], off
.LBB224_15:                             ;   in Loop: Header=BB224_9 Depth=1
	s_or_b32 exec_lo, exec_lo, s0
	v_add_co_u32 v15, vcc_lo, v2, s6
	v_add_co_ci_u32_e32 v16, vcc_lo, s7, v17, vcc_lo
	s_delay_alu instid0(VALU_DEP_1) | instskip(SKIP_1) | instid1(VALU_DEP_1)
	v_cmp_gt_i64_e32 vcc_lo, s[4:5], v[15:16]
	v_cmp_gt_u64_e64 s0, 0x10000, v[15:16]
	s_and_b32 s11, vcc_lo, s0
	s_delay_alu instid0(SALU_CYCLE_1)
	s_and_saveexec_b32 s0, s11
	s_cbranch_execnz .LBB224_20
; %bb.16:                               ;   in Loop: Header=BB224_9 Depth=1
	s_or_b32 exec_lo, exec_lo, s0
	s_delay_alu instid0(SALU_CYCLE_1)
	s_mov_b32 s0, exec_lo
	v_cmpx_gt_u64_e64 s[2:3], v[9:10]
	s_cbranch_execnz .LBB224_21
.LBB224_17:                             ;   in Loop: Header=BB224_9 Depth=1
	s_or_b32 exec_lo, exec_lo, s0
	s_delay_alu instid0(SALU_CYCLE_1)
	s_mov_b32 s0, exec_lo
	v_cmpx_gt_u64_e64 s[2:3], v[11:12]
	s_cbranch_execnz .LBB224_22
.LBB224_18:                             ;   in Loop: Header=BB224_9 Depth=1
	s_or_b32 exec_lo, exec_lo, s0
	s_delay_alu instid0(SALU_CYCLE_1)
	s_mov_b32 s0, exec_lo
	v_cmpx_gt_u64_e64 s[2:3], v[13:14]
	s_cbranch_execnz .LBB224_23
.LBB224_19:                             ;   in Loop: Header=BB224_9 Depth=1
	s_or_b32 exec_lo, exec_lo, s0
	s_delay_alu instid0(SALU_CYCLE_1)
	s_mov_b32 s0, exec_lo
	v_cmpx_gt_u64_e64 s[2:3], v[15:16]
	s_cbranch_execz .LBB224_8
	s_branch .LBB224_24
.LBB224_20:                             ;   in Loop: Header=BB224_9 Depth=1
	v_add_co_u32 v29, vcc_lo, s12, v3
	v_add_co_ci_u32_e32 v30, vcc_lo, s13, v4, vcc_lo
	global_load_b32 v25, v[29:30], off
	s_or_b32 exec_lo, exec_lo, s0
	s_delay_alu instid0(SALU_CYCLE_1)
	s_mov_b32 s0, exec_lo
	v_cmpx_gt_u64_e64 s[2:3], v[9:10]
	s_cbranch_execz .LBB224_17
.LBB224_21:                             ;   in Loop: Header=BB224_9 Depth=1
	s_waitcnt vmcnt(0)
	global_store_b16 v[5:6], v28, off
	s_or_b32 exec_lo, exec_lo, s0
	s_delay_alu instid0(SALU_CYCLE_1)
	s_mov_b32 s0, exec_lo
	v_cmpx_gt_u64_e64 s[2:3], v[11:12]
	s_cbranch_execz .LBB224_18
.LBB224_22:                             ;   in Loop: Header=BB224_9 Depth=1
	s_waitcnt vmcnt(0)
	global_store_b16 v[7:8], v27, off
	s_or_b32 exec_lo, exec_lo, s0
	s_delay_alu instid0(SALU_CYCLE_1)
	s_mov_b32 s0, exec_lo
	v_cmpx_gt_u64_e64 s[2:3], v[13:14]
	s_cbranch_execz .LBB224_19
.LBB224_23:                             ;   in Loop: Header=BB224_9 Depth=1
	v_add_co_u32 v9, vcc_lo, v5, s1
	v_add_co_ci_u32_e32 v10, vcc_lo, 0, v6, vcc_lo
	s_waitcnt vmcnt(0)
	global_store_b16 v[9:10], v26, off
	s_or_b32 exec_lo, exec_lo, s0
	s_delay_alu instid0(SALU_CYCLE_1)
	s_mov_b32 s0, exec_lo
	v_cmpx_gt_u64_e64 s[2:3], v[15:16]
	s_cbranch_execz .LBB224_8
.LBB224_24:                             ;   in Loop: Header=BB224_9 Depth=1
	v_add_co_u32 v9, vcc_lo, v5, s9
	v_add_co_ci_u32_e32 v10, vcc_lo, 0, v6, vcc_lo
	s_waitcnt vmcnt(0)
	global_store_b16 v[9:10], v25, off
	s_branch .LBB224_8
.LBB224_25:
	s_nop 0
	s_sendmsg sendmsg(MSG_DEALLOC_VGPRS)
	s_endpgm
	.section	.rodata,"a",@progbits
	.p2align	6, 0x0
	.amdhsa_kernel _ZN2at6native12_GLOBAL__N_125multi_tensor_apply_kernelINS1_18TensorListMetadataILi2EEENS1_11CopyFunctorIsiLi2ELi1ELi1EEEJNS0_4CopyIsiEEEEEvT_T0_DpT1_
		.amdhsa_group_segment_fixed_size 0
		.amdhsa_private_segment_fixed_size 0
		.amdhsa_kernarg_size 3408
		.amdhsa_user_sgpr_count 15
		.amdhsa_user_sgpr_dispatch_ptr 0
		.amdhsa_user_sgpr_queue_ptr 0
		.amdhsa_user_sgpr_kernarg_segment_ptr 1
		.amdhsa_user_sgpr_dispatch_id 0
		.amdhsa_user_sgpr_private_segment_size 0
		.amdhsa_wavefront_size32 1
		.amdhsa_uses_dynamic_stack 0
		.amdhsa_enable_private_segment 0
		.amdhsa_system_sgpr_workgroup_id_x 1
		.amdhsa_system_sgpr_workgroup_id_y 0
		.amdhsa_system_sgpr_workgroup_id_z 0
		.amdhsa_system_sgpr_workgroup_info 0
		.amdhsa_system_vgpr_workitem_id 0
		.amdhsa_next_free_vgpr 31
		.amdhsa_next_free_sgpr 20
		.amdhsa_reserve_vcc 1
		.amdhsa_float_round_mode_32 0
		.amdhsa_float_round_mode_16_64 0
		.amdhsa_float_denorm_mode_32 3
		.amdhsa_float_denorm_mode_16_64 3
		.amdhsa_dx10_clamp 1
		.amdhsa_ieee_mode 1
		.amdhsa_fp16_overflow 0
		.amdhsa_workgroup_processor_mode 1
		.amdhsa_memory_ordered 1
		.amdhsa_forward_progress 0
		.amdhsa_shared_vgpr_count 0
		.amdhsa_exception_fp_ieee_invalid_op 0
		.amdhsa_exception_fp_denorm_src 0
		.amdhsa_exception_fp_ieee_div_zero 0
		.amdhsa_exception_fp_ieee_overflow 0
		.amdhsa_exception_fp_ieee_underflow 0
		.amdhsa_exception_fp_ieee_inexact 0
		.amdhsa_exception_int_div_zero 0
	.end_amdhsa_kernel
	.section	.text._ZN2at6native12_GLOBAL__N_125multi_tensor_apply_kernelINS1_18TensorListMetadataILi2EEENS1_11CopyFunctorIsiLi2ELi1ELi1EEEJNS0_4CopyIsiEEEEEvT_T0_DpT1_,"axG",@progbits,_ZN2at6native12_GLOBAL__N_125multi_tensor_apply_kernelINS1_18TensorListMetadataILi2EEENS1_11CopyFunctorIsiLi2ELi1ELi1EEEJNS0_4CopyIsiEEEEEvT_T0_DpT1_,comdat
.Lfunc_end224:
	.size	_ZN2at6native12_GLOBAL__N_125multi_tensor_apply_kernelINS1_18TensorListMetadataILi2EEENS1_11CopyFunctorIsiLi2ELi1ELi1EEEJNS0_4CopyIsiEEEEEvT_T0_DpT1_, .Lfunc_end224-_ZN2at6native12_GLOBAL__N_125multi_tensor_apply_kernelINS1_18TensorListMetadataILi2EEENS1_11CopyFunctorIsiLi2ELi1ELi1EEEJNS0_4CopyIsiEEEEEvT_T0_DpT1_
                                        ; -- End function
	.section	.AMDGPU.csdata,"",@progbits
; Kernel info:
; codeLenInByte = 1384
; NumSgprs: 22
; NumVgprs: 31
; ScratchSize: 0
; MemoryBound: 0
; FloatMode: 240
; IeeeMode: 1
; LDSByteSize: 0 bytes/workgroup (compile time only)
; SGPRBlocks: 2
; VGPRBlocks: 3
; NumSGPRsForWavesPerEU: 22
; NumVGPRsForWavesPerEU: 31
; Occupancy: 16
; WaveLimiterHint : 0
; COMPUTE_PGM_RSRC2:SCRATCH_EN: 0
; COMPUTE_PGM_RSRC2:USER_SGPR: 15
; COMPUTE_PGM_RSRC2:TRAP_HANDLER: 0
; COMPUTE_PGM_RSRC2:TGID_X_EN: 1
; COMPUTE_PGM_RSRC2:TGID_Y_EN: 0
; COMPUTE_PGM_RSRC2:TGID_Z_EN: 0
; COMPUTE_PGM_RSRC2:TIDIG_COMP_CNT: 0
	.section	.text._ZN2at6native12_GLOBAL__N_125multi_tensor_apply_kernelINS1_18TensorListMetadataILi2EEENS1_11CopyFunctorIsdLi2ELi1ELi1EEEJNS0_4CopyIsdEEEEEvT_T0_DpT1_,"axG",@progbits,_ZN2at6native12_GLOBAL__N_125multi_tensor_apply_kernelINS1_18TensorListMetadataILi2EEENS1_11CopyFunctorIsdLi2ELi1ELi1EEEJNS0_4CopyIsdEEEEEvT_T0_DpT1_,comdat
	.globl	_ZN2at6native12_GLOBAL__N_125multi_tensor_apply_kernelINS1_18TensorListMetadataILi2EEENS1_11CopyFunctorIsdLi2ELi1ELi1EEEJNS0_4CopyIsdEEEEEvT_T0_DpT1_ ; -- Begin function _ZN2at6native12_GLOBAL__N_125multi_tensor_apply_kernelINS1_18TensorListMetadataILi2EEENS1_11CopyFunctorIsdLi2ELi1ELi1EEEJNS0_4CopyIsdEEEEEvT_T0_DpT1_
	.p2align	8
	.type	_ZN2at6native12_GLOBAL__N_125multi_tensor_apply_kernelINS1_18TensorListMetadataILi2EEENS1_11CopyFunctorIsdLi2ELi1ELi1EEEJNS0_4CopyIsdEEEEEvT_T0_DpT1_,@function
_ZN2at6native12_GLOBAL__N_125multi_tensor_apply_kernelINS1_18TensorListMetadataILi2EEENS1_11CopyFunctorIsdLi2ELi1ELi1EEEJNS0_4CopyIsdEEEEEvT_T0_DpT1_: ; @_ZN2at6native12_GLOBAL__N_125multi_tensor_apply_kernelINS1_18TensorListMetadataILi2EEENS1_11CopyFunctorIsdLi2ELi1ELi1EEEJNS0_4CopyIsdEEEEEvT_T0_DpT1_
; %bb.0:
	v_mov_b32_e32 v1, s15
	s_add_u32 s2, s0, s15
	s_mul_hi_u32 s3, s15, 3
	s_mul_i32 s15, s15, 3
	s_addc_u32 s4, s1, 0
	global_load_u8 v1, v1, s[0:1] offset:1536
	s_add_u32 s2, s2, s15
	s_addc_u32 s3, s4, s3
	s_mov_b32 s15, 0
	s_load_b32 s8, s[2:3], 0x740
	s_waitcnt lgkmcnt(0)
	s_ashr_i32 s9, s8, 31
	s_delay_alu instid0(SALU_CYCLE_1) | instskip(SKIP_3) | instid1(VALU_DEP_1)
	s_lshl_b64 s[10:11], s[8:9], 19
	s_lshl_b64 s[16:17], s[8:9], 16
	s_waitcnt vmcnt(0)
	v_readfirstlane_b32 s5, v1
	s_lshl_b32 s4, s5, 3
	s_clause 0x2
	s_load_b64 s[2:3], s[0:1], s4 offset:0x0
	s_load_b64 s[6:7], s[0:1], s4 offset:0x200
	;; [unrolled: 1-line block ×3, first 2 shown]
	s_waitcnt lgkmcnt(0)
	s_add_u32 s12, s2, s10
	s_addc_u32 s13, s3, s11
	s_and_b32 s18, s6, 7
	s_and_b32 s19, s4, 3
	;; [unrolled: 1-line block ×3, first 2 shown]
	s_or_b32 s18, s19, s18
	s_mov_b32 s19, s15
	s_delay_alu instid0(SALU_CYCLE_1)
	s_or_b64 s[14:15], s[14:15], s[18:19]
	s_sub_u32 s4, s4, s16
	s_subb_u32 s5, s5, s17
	s_cmp_eq_u64 s[14:15], 0
	s_mov_b32 s14, -1
	s_cbranch_scc0 .LBB225_5
; %bb.1:
	v_dual_mov_b32 v2, 0 :: v_dual_lshlrev_b32 v1, 2, v0
	s_mov_b32 s14, exec_lo
	s_delay_alu instid0(VALU_DEP_1)
	v_cmpx_gt_i64_e64 s[4:5], v[1:2]
	s_cbranch_execz .LBB225_4
; %bb.2:
	s_load_b32 s15, s[0:1], 0xc5c
	v_lshlrev_b32_e32 v3, 5, v0
	v_lshlrev_b32_e32 v5, 3, v0
	s_waitcnt lgkmcnt(0)
	s_and_b32 s16, s15, 0xffff
	s_delay_alu instid0(SALU_CYCLE_1)
	s_lshl_b32 s15, s16, 2
	s_add_u32 s17, s2, s10
	s_addc_u32 s11, s3, s11
	v_add_co_u32 v3, s17, s17, v3
	s_lshl_b64 s[2:3], s[8:9], 17
	s_lshl_b32 s10, s16, 5
	v_add_co_ci_u32_e64 v4, null, s11, 0, s17
	s_add_u32 s2, s6, s2
	s_addc_u32 s3, s7, s3
	v_add_co_u32 v3, vcc_lo, v3, 16
	v_add_co_u32 v5, s2, s2, v5
	v_add_lshl_u32 v1, v0, s16, 2
	v_add_co_ci_u32_e32 v4, vcc_lo, 0, v4, vcc_lo
	v_add_co_ci_u32_e64 v6, null, s3, 0, s2
	s_mov_b32 s11, 0
	s_lshl_b32 s16, s16, 3
	s_set_inst_prefetch_distance 0x1
	.p2align	6
.LBB225_3:                              ; =>This Inner Loop Header: Depth=1
	s_clause 0x1
	global_load_b128 v[7:10], v[3:4], off offset:-16
	global_load_b128 v[11:14], v[3:4], off
	v_cmp_le_i64_e32 vcc_lo, s[4:5], v[1:2]
	v_cmp_lt_u64_e64 s2, 0xffff, v[1:2]
	v_add_co_u32 v1, s3, v1, s15
	s_delay_alu instid0(VALU_DEP_1) | instskip(SKIP_1) | instid1(VALU_DEP_4)
	v_add_co_ci_u32_e64 v2, s3, 0, v2, s3
	v_add_co_u32 v3, s3, v3, s10
	s_or_b32 s2, vcc_lo, s2
	v_add_co_ci_u32_e64 v4, s3, 0, v4, s3
	s_and_b32 s2, exec_lo, s2
	s_delay_alu instid0(SALU_CYCLE_1)
	s_or_b32 s11, s2, s11
	s_waitcnt vmcnt(1)
	v_cvt_i32_f64_e32 v7, v[7:8]
	s_waitcnt vmcnt(0)
	v_cvt_i32_f64_e32 v8, v[11:12]
	v_cvt_i32_f64_e32 v11, v[13:14]
	;; [unrolled: 1-line block ×3, first 2 shown]
	s_delay_alu instid0(VALU_DEP_2) | instskip(NEXT) | instid1(VALU_DEP_2)
	v_perm_b32 v8, v11, v8, 0x5040100
	v_perm_b32 v7, v9, v7, 0x5040100
	global_store_b64 v[5:6], v[7:8], off
	v_add_co_u32 v5, vcc_lo, v5, s16
	v_add_co_ci_u32_e32 v6, vcc_lo, 0, v6, vcc_lo
	s_and_not1_b32 exec_lo, exec_lo, s11
	s_cbranch_execnz .LBB225_3
.LBB225_4:
	s_set_inst_prefetch_distance 0x2
	s_or_b32 exec_lo, exec_lo, s14
	s_mov_b32 s14, 0
.LBB225_5:
	s_delay_alu instid0(SALU_CYCLE_1)
	s_and_not1_b32 vcc_lo, exec_lo, s14
	s_cbranch_vccnz .LBB225_25
; %bb.6:
	v_cmp_lt_i64_e64 s2, s[4:5], 1
	s_delay_alu instid0(VALU_DEP_1)
	s_and_b32 vcc_lo, exec_lo, s2
	s_cbranch_vccnz .LBB225_25
; %bb.7:
	s_load_b32 s0, s[0:1], 0xc5c
	v_cmp_gt_u64_e64 s1, 0x10000, s[4:5]
	v_dual_mov_b32 v2, 0 :: v_dual_lshlrev_b32 v5, 1, v0
	v_lshlrev_b32_e32 v1, 3, v0
                                        ; implicit-def: $vgpr9_vgpr10
                                        ; implicit-def: $vgpr11_vgpr12
                                        ; implicit-def: $vgpr13_vgpr14
                                        ; implicit-def: $vgpr15_vgpr16
	s_waitcnt lgkmcnt(0)
	s_and_b32 s0, s0, 0xffff
	s_delay_alu instid0(VALU_DEP_3)
	s_and_b32 s1, s1, exec_lo
	s_cselect_b32 s3, s5, 0
	s_cselect_b32 s2, s4, 0x10000
	s_lshl_b64 s[8:9], s[8:9], 17
	s_lshl_b32 s11, s0, 1
	s_lshl_b32 s1, s0, 2
	;; [unrolled: 1-line block ×3, first 2 shown]
	s_add_u32 s6, s6, s8
	s_addc_u32 s7, s7, s9
	v_add_co_u32 v5, s9, s6, v5
	s_delay_alu instid0(VALU_DEP_1) | instskip(SKIP_4) | instid1(VALU_DEP_3)
	v_add_co_ci_u32_e64 v6, null, s7, 0, s9
	v_add_co_u32 v26, s9, v0, s0
	s_mul_i32 s14, s0, 3
	v_mad_u64_u32 v[3:4], null, s0, 24, v[1:2]
	v_add_co_u32 v2, s8, s14, v0
	v_lshlrev_b32_e32 v7, 1, v26
	v_add_co_ci_u32_e64 v25, null, 0, 0, s8
	s_lshl_b32 s8, s0, 4
	v_add_co_ci_u32_e64 v29, null, 0, 0, s9
	v_add_co_u32 v27, s8, s8, v1
	s_delay_alu instid0(VALU_DEP_1)
	v_add_co_ci_u32_e64 v28, null, 0, 0, s8
	v_add_co_u32 v30, s8, s11, v0
	v_add_co_u32 v7, s6, s6, v7
	v_add_co_ci_u32_e64 v31, null, 0, 0, s8
	v_lshlrev_b32_e32 v32, 3, v26
	v_add_co_ci_u32_e64 v8, null, s7, 0, s6
	s_lshl_b32 s8, s0, 3
	s_mul_i32 s9, s0, 6
	s_mov_b64 s[6:7], 0
	s_branch .LBB225_9
.LBB225_8:                              ;   in Loop: Header=BB225_9 Depth=1
	s_or_b32 exec_lo, exec_lo, s0
	s_add_u32 s6, s6, s1
	s_addc_u32 s7, s7, 0
	v_add_co_u32 v5, vcc_lo, v5, s8
	v_cmp_ge_i64_e64 s0, s[6:7], s[4:5]
	v_cmp_lt_u64_e64 s11, 0xffff, s[6:7]
	v_add_co_ci_u32_e32 v6, vcc_lo, 0, v6, vcc_lo
	v_add_co_u32 v7, vcc_lo, v7, s8
	v_add_co_ci_u32_e32 v8, vcc_lo, 0, v8, vcc_lo
	s_delay_alu instid0(VALU_DEP_4)
	s_or_b32 s0, s0, s11
	s_add_u32 s12, s12, s10
	s_addc_u32 s13, s13, 0
	s_and_b32 vcc_lo, exec_lo, s0
	s_cbranch_vccnz .LBB225_25
.LBB225_9:                              ; =>This Inner Loop Header: Depth=1
	v_add_co_u32 v17, s0, v0, s6
	s_delay_alu instid0(VALU_DEP_1) | instskip(NEXT) | instid1(VALU_DEP_1)
	v_add_co_ci_u32_e64 v18, null, 0, s7, s0
	v_cmp_gt_i64_e32 vcc_lo, s[4:5], v[17:18]
	v_cmp_gt_u64_e64 s0, 0x10000, v[17:18]
	s_delay_alu instid0(VALU_DEP_1) | instskip(NEXT) | instid1(SALU_CYCLE_1)
	s_and_b32 s11, vcc_lo, s0
	s_and_saveexec_b32 s0, s11
	s_cbranch_execz .LBB225_11
; %bb.10:                               ;   in Loop: Header=BB225_9 Depth=1
	s_waitcnt vmcnt(0)
	v_add_co_u32 v15, s11, s12, v1
	s_delay_alu instid0(VALU_DEP_1)
	v_add_co_ci_u32_e64 v16, null, s13, 0, s11
	global_load_b64 v[15:16], v[15:16], off
.LBB225_11:                             ;   in Loop: Header=BB225_9 Depth=1
	s_or_b32 exec_lo, exec_lo, s0
	v_add_co_u32 v19, vcc_lo, v26, s6
	v_add_co_ci_u32_e32 v20, vcc_lo, s7, v29, vcc_lo
	s_delay_alu instid0(VALU_DEP_1) | instskip(SKIP_1) | instid1(VALU_DEP_1)
	v_cmp_gt_i64_e32 vcc_lo, s[4:5], v[19:20]
	v_cmp_gt_u64_e64 s0, 0x10000, v[19:20]
	s_and_b32 s11, vcc_lo, s0
	s_delay_alu instid0(SALU_CYCLE_1)
	s_and_saveexec_b32 s0, s11
	s_cbranch_execz .LBB225_13
; %bb.12:                               ;   in Loop: Header=BB225_9 Depth=1
	s_waitcnt vmcnt(0)
	v_add_co_u32 v13, s11, s12, v32
	s_delay_alu instid0(VALU_DEP_1)
	v_add_co_ci_u32_e64 v14, null, s13, 0, s11
	global_load_b64 v[13:14], v[13:14], off
.LBB225_13:                             ;   in Loop: Header=BB225_9 Depth=1
	s_or_b32 exec_lo, exec_lo, s0
	v_add_co_u32 v21, vcc_lo, v30, s6
	v_add_co_ci_u32_e32 v22, vcc_lo, s7, v31, vcc_lo
	s_delay_alu instid0(VALU_DEP_1) | instskip(SKIP_1) | instid1(VALU_DEP_1)
	v_cmp_gt_i64_e32 vcc_lo, s[4:5], v[21:22]
	v_cmp_gt_u64_e64 s0, 0x10000, v[21:22]
	s_and_b32 s11, vcc_lo, s0
	s_delay_alu instid0(SALU_CYCLE_1)
	s_and_saveexec_b32 s0, s11
	s_cbranch_execz .LBB225_15
; %bb.14:                               ;   in Loop: Header=BB225_9 Depth=1
	s_waitcnt vmcnt(0)
	v_add_co_u32 v11, vcc_lo, s12, v27
	v_add_co_ci_u32_e32 v12, vcc_lo, s13, v28, vcc_lo
	global_load_b64 v[11:12], v[11:12], off
.LBB225_15:                             ;   in Loop: Header=BB225_9 Depth=1
	s_or_b32 exec_lo, exec_lo, s0
	v_add_co_u32 v23, vcc_lo, v2, s6
	v_add_co_ci_u32_e32 v24, vcc_lo, s7, v25, vcc_lo
	s_delay_alu instid0(VALU_DEP_1) | instskip(SKIP_1) | instid1(VALU_DEP_1)
	v_cmp_gt_i64_e32 vcc_lo, s[4:5], v[23:24]
	v_cmp_gt_u64_e64 s0, 0x10000, v[23:24]
	s_and_b32 s11, vcc_lo, s0
	s_delay_alu instid0(SALU_CYCLE_1)
	s_and_saveexec_b32 s0, s11
	s_cbranch_execnz .LBB225_20
; %bb.16:                               ;   in Loop: Header=BB225_9 Depth=1
	s_or_b32 exec_lo, exec_lo, s0
	s_delay_alu instid0(SALU_CYCLE_1)
	s_mov_b32 s0, exec_lo
	v_cmpx_gt_u64_e64 s[2:3], v[17:18]
	s_cbranch_execnz .LBB225_21
.LBB225_17:                             ;   in Loop: Header=BB225_9 Depth=1
	s_or_b32 exec_lo, exec_lo, s0
	s_delay_alu instid0(SALU_CYCLE_1)
	s_mov_b32 s0, exec_lo
	v_cmpx_gt_u64_e64 s[2:3], v[19:20]
	s_cbranch_execnz .LBB225_22
.LBB225_18:                             ;   in Loop: Header=BB225_9 Depth=1
	s_or_b32 exec_lo, exec_lo, s0
	s_delay_alu instid0(SALU_CYCLE_1)
	s_mov_b32 s0, exec_lo
	v_cmpx_gt_u64_e64 s[2:3], v[21:22]
	s_cbranch_execnz .LBB225_23
.LBB225_19:                             ;   in Loop: Header=BB225_9 Depth=1
	s_or_b32 exec_lo, exec_lo, s0
	s_delay_alu instid0(SALU_CYCLE_1)
	s_mov_b32 s0, exec_lo
	v_cmpx_gt_u64_e64 s[2:3], v[23:24]
	s_cbranch_execz .LBB225_8
	s_branch .LBB225_24
.LBB225_20:                             ;   in Loop: Header=BB225_9 Depth=1
	s_waitcnt vmcnt(0)
	v_add_co_u32 v9, vcc_lo, s12, v3
	v_add_co_ci_u32_e32 v10, vcc_lo, s13, v4, vcc_lo
	global_load_b64 v[9:10], v[9:10], off
	s_or_b32 exec_lo, exec_lo, s0
	s_delay_alu instid0(SALU_CYCLE_1)
	s_mov_b32 s0, exec_lo
	v_cmpx_gt_u64_e64 s[2:3], v[17:18]
	s_cbranch_execz .LBB225_17
.LBB225_21:                             ;   in Loop: Header=BB225_9 Depth=1
	s_waitcnt vmcnt(0)
	v_cvt_i32_f64_e32 v17, v[15:16]
	global_store_b16 v[5:6], v17, off
	s_or_b32 exec_lo, exec_lo, s0
	s_delay_alu instid0(SALU_CYCLE_1)
	s_mov_b32 s0, exec_lo
	v_cmpx_gt_u64_e64 s[2:3], v[19:20]
	s_cbranch_execz .LBB225_18
.LBB225_22:                             ;   in Loop: Header=BB225_9 Depth=1
	s_waitcnt vmcnt(0)
	v_cvt_i32_f64_e32 v17, v[13:14]
	global_store_b16 v[7:8], v17, off
	s_or_b32 exec_lo, exec_lo, s0
	s_delay_alu instid0(SALU_CYCLE_1)
	s_mov_b32 s0, exec_lo
	v_cmpx_gt_u64_e64 s[2:3], v[21:22]
	s_cbranch_execz .LBB225_19
.LBB225_23:                             ;   in Loop: Header=BB225_9 Depth=1
	s_waitcnt vmcnt(0)
	v_cvt_i32_f64_e32 v19, v[11:12]
	v_add_co_u32 v17, vcc_lo, v5, s1
	v_add_co_ci_u32_e32 v18, vcc_lo, 0, v6, vcc_lo
	global_store_b16 v[17:18], v19, off
	s_or_b32 exec_lo, exec_lo, s0
	s_delay_alu instid0(SALU_CYCLE_1)
	s_mov_b32 s0, exec_lo
	v_cmpx_gt_u64_e64 s[2:3], v[23:24]
	s_cbranch_execz .LBB225_8
.LBB225_24:                             ;   in Loop: Header=BB225_9 Depth=1
	s_waitcnt vmcnt(0)
	v_cvt_i32_f64_e32 v19, v[9:10]
	v_add_co_u32 v17, vcc_lo, v5, s9
	v_add_co_ci_u32_e32 v18, vcc_lo, 0, v6, vcc_lo
	global_store_b16 v[17:18], v19, off
	s_branch .LBB225_8
.LBB225_25:
	s_nop 0
	s_sendmsg sendmsg(MSG_DEALLOC_VGPRS)
	s_endpgm
	.section	.rodata,"a",@progbits
	.p2align	6, 0x0
	.amdhsa_kernel _ZN2at6native12_GLOBAL__N_125multi_tensor_apply_kernelINS1_18TensorListMetadataILi2EEENS1_11CopyFunctorIsdLi2ELi1ELi1EEEJNS0_4CopyIsdEEEEEvT_T0_DpT1_
		.amdhsa_group_segment_fixed_size 0
		.amdhsa_private_segment_fixed_size 0
		.amdhsa_kernarg_size 3408
		.amdhsa_user_sgpr_count 15
		.amdhsa_user_sgpr_dispatch_ptr 0
		.amdhsa_user_sgpr_queue_ptr 0
		.amdhsa_user_sgpr_kernarg_segment_ptr 1
		.amdhsa_user_sgpr_dispatch_id 0
		.amdhsa_user_sgpr_private_segment_size 0
		.amdhsa_wavefront_size32 1
		.amdhsa_uses_dynamic_stack 0
		.amdhsa_enable_private_segment 0
		.amdhsa_system_sgpr_workgroup_id_x 1
		.amdhsa_system_sgpr_workgroup_id_y 0
		.amdhsa_system_sgpr_workgroup_id_z 0
		.amdhsa_system_sgpr_workgroup_info 0
		.amdhsa_system_vgpr_workitem_id 0
		.amdhsa_next_free_vgpr 33
		.amdhsa_next_free_sgpr 20
		.amdhsa_reserve_vcc 1
		.amdhsa_float_round_mode_32 0
		.amdhsa_float_round_mode_16_64 0
		.amdhsa_float_denorm_mode_32 3
		.amdhsa_float_denorm_mode_16_64 3
		.amdhsa_dx10_clamp 1
		.amdhsa_ieee_mode 1
		.amdhsa_fp16_overflow 0
		.amdhsa_workgroup_processor_mode 1
		.amdhsa_memory_ordered 1
		.amdhsa_forward_progress 0
		.amdhsa_shared_vgpr_count 0
		.amdhsa_exception_fp_ieee_invalid_op 0
		.amdhsa_exception_fp_denorm_src 0
		.amdhsa_exception_fp_ieee_div_zero 0
		.amdhsa_exception_fp_ieee_overflow 0
		.amdhsa_exception_fp_ieee_underflow 0
		.amdhsa_exception_fp_ieee_inexact 0
		.amdhsa_exception_int_div_zero 0
	.end_amdhsa_kernel
	.section	.text._ZN2at6native12_GLOBAL__N_125multi_tensor_apply_kernelINS1_18TensorListMetadataILi2EEENS1_11CopyFunctorIsdLi2ELi1ELi1EEEJNS0_4CopyIsdEEEEEvT_T0_DpT1_,"axG",@progbits,_ZN2at6native12_GLOBAL__N_125multi_tensor_apply_kernelINS1_18TensorListMetadataILi2EEENS1_11CopyFunctorIsdLi2ELi1ELi1EEEJNS0_4CopyIsdEEEEEvT_T0_DpT1_,comdat
.Lfunc_end225:
	.size	_ZN2at6native12_GLOBAL__N_125multi_tensor_apply_kernelINS1_18TensorListMetadataILi2EEENS1_11CopyFunctorIsdLi2ELi1ELi1EEEJNS0_4CopyIsdEEEEEvT_T0_DpT1_, .Lfunc_end225-_ZN2at6native12_GLOBAL__N_125multi_tensor_apply_kernelINS1_18TensorListMetadataILi2EEENS1_11CopyFunctorIsdLi2ELi1ELi1EEEJNS0_4CopyIsdEEEEEvT_T0_DpT1_
                                        ; -- End function
	.section	.AMDGPU.csdata,"",@progbits
; Kernel info:
; codeLenInByte = 1464
; NumSgprs: 22
; NumVgprs: 33
; ScratchSize: 0
; MemoryBound: 0
; FloatMode: 240
; IeeeMode: 1
; LDSByteSize: 0 bytes/workgroup (compile time only)
; SGPRBlocks: 2
; VGPRBlocks: 4
; NumSGPRsForWavesPerEU: 22
; NumVGPRsForWavesPerEU: 33
; Occupancy: 16
; WaveLimiterHint : 0
; COMPUTE_PGM_RSRC2:SCRATCH_EN: 0
; COMPUTE_PGM_RSRC2:USER_SGPR: 15
; COMPUTE_PGM_RSRC2:TRAP_HANDLER: 0
; COMPUTE_PGM_RSRC2:TGID_X_EN: 1
; COMPUTE_PGM_RSRC2:TGID_Y_EN: 0
; COMPUTE_PGM_RSRC2:TGID_Z_EN: 0
; COMPUTE_PGM_RSRC2:TIDIG_COMP_CNT: 0
	.section	.text._ZN2at6native12_GLOBAL__N_125multi_tensor_apply_kernelINS1_18TensorListMetadataILi2EEENS1_11CopyFunctorIsfLi2ELi1ELi1EEEJNS0_4CopyIsfEEEEEvT_T0_DpT1_,"axG",@progbits,_ZN2at6native12_GLOBAL__N_125multi_tensor_apply_kernelINS1_18TensorListMetadataILi2EEENS1_11CopyFunctorIsfLi2ELi1ELi1EEEJNS0_4CopyIsfEEEEEvT_T0_DpT1_,comdat
	.globl	_ZN2at6native12_GLOBAL__N_125multi_tensor_apply_kernelINS1_18TensorListMetadataILi2EEENS1_11CopyFunctorIsfLi2ELi1ELi1EEEJNS0_4CopyIsfEEEEEvT_T0_DpT1_ ; -- Begin function _ZN2at6native12_GLOBAL__N_125multi_tensor_apply_kernelINS1_18TensorListMetadataILi2EEENS1_11CopyFunctorIsfLi2ELi1ELi1EEEJNS0_4CopyIsfEEEEEvT_T0_DpT1_
	.p2align	8
	.type	_ZN2at6native12_GLOBAL__N_125multi_tensor_apply_kernelINS1_18TensorListMetadataILi2EEENS1_11CopyFunctorIsfLi2ELi1ELi1EEEJNS0_4CopyIsfEEEEEvT_T0_DpT1_,@function
_ZN2at6native12_GLOBAL__N_125multi_tensor_apply_kernelINS1_18TensorListMetadataILi2EEENS1_11CopyFunctorIsfLi2ELi1ELi1EEEJNS0_4CopyIsfEEEEEvT_T0_DpT1_: ; @_ZN2at6native12_GLOBAL__N_125multi_tensor_apply_kernelINS1_18TensorListMetadataILi2EEENS1_11CopyFunctorIsfLi2ELi1ELi1EEEJNS0_4CopyIsfEEEEEvT_T0_DpT1_
; %bb.0:
	v_mov_b32_e32 v1, s15
	s_add_u32 s2, s0, s15
	s_mul_hi_u32 s3, s15, 3
	s_mul_i32 s15, s15, 3
	s_addc_u32 s4, s1, 0
	global_load_u8 v1, v1, s[0:1] offset:1536
	s_add_u32 s2, s2, s15
	s_addc_u32 s3, s4, s3
	s_mov_b32 s15, 0
	s_load_b32 s8, s[2:3], 0x740
	s_waitcnt lgkmcnt(0)
	s_ashr_i32 s9, s8, 31
	s_delay_alu instid0(SALU_CYCLE_1) | instskip(SKIP_3) | instid1(VALU_DEP_1)
	s_lshl_b64 s[10:11], s[8:9], 18
	s_lshl_b64 s[16:17], s[8:9], 16
	s_waitcnt vmcnt(0)
	v_readfirstlane_b32 s5, v1
	s_lshl_b32 s4, s5, 3
	s_clause 0x2
	s_load_b64 s[2:3], s[0:1], s4 offset:0x0
	s_load_b64 s[6:7], s[0:1], s4 offset:0x200
	;; [unrolled: 1-line block ×3, first 2 shown]
	s_waitcnt lgkmcnt(0)
	s_add_u32 s12, s2, s10
	s_addc_u32 s13, s3, s11
	s_and_b32 s18, s6, 7
	s_and_b32 s19, s4, 3
	;; [unrolled: 1-line block ×3, first 2 shown]
	s_or_b32 s18, s19, s18
	s_mov_b32 s19, s15
	s_delay_alu instid0(SALU_CYCLE_1)
	s_or_b64 s[14:15], s[14:15], s[18:19]
	s_sub_u32 s4, s4, s16
	s_subb_u32 s5, s5, s17
	s_cmp_eq_u64 s[14:15], 0
	s_mov_b32 s14, -1
	s_cbranch_scc0 .LBB226_5
; %bb.1:
	v_dual_mov_b32 v2, 0 :: v_dual_lshlrev_b32 v1, 2, v0
	s_mov_b32 s14, exec_lo
	s_delay_alu instid0(VALU_DEP_1)
	v_cmpx_gt_i64_e64 s[4:5], v[1:2]
	s_cbranch_execz .LBB226_4
; %bb.2:
	s_load_b32 s15, s[0:1], 0xc5c
	v_lshlrev_b32_e32 v3, 4, v0
	v_lshlrev_b32_e32 v5, 3, v0
	s_waitcnt lgkmcnt(0)
	s_and_b32 s16, s15, 0xffff
	s_delay_alu instid0(SALU_CYCLE_1)
	s_lshl_b32 s15, s16, 2
	s_add_u32 s17, s2, s10
	s_addc_u32 s11, s3, s11
	v_add_co_u32 v3, s17, s17, v3
	s_lshl_b64 s[2:3], s[8:9], 17
	s_lshl_b32 s10, s16, 4
	v_add_co_ci_u32_e64 v4, null, s11, 0, s17
	s_add_u32 s2, s6, s2
	s_addc_u32 s3, s7, s3
	v_add_co_u32 v3, vcc_lo, v3, 8
	v_add_co_u32 v5, s2, s2, v5
	v_add_lshl_u32 v1, v0, s16, 2
	v_add_co_ci_u32_e32 v4, vcc_lo, 0, v4, vcc_lo
	v_add_co_ci_u32_e64 v6, null, s3, 0, s2
	s_mov_b32 s11, 0
	s_lshl_b32 s16, s16, 3
	s_set_inst_prefetch_distance 0x1
	.p2align	6
.LBB226_3:                              ; =>This Inner Loop Header: Depth=1
	global_load_b128 v[7:10], v[3:4], off offset:-8
	v_cmp_le_i64_e32 vcc_lo, s[4:5], v[1:2]
	v_cmp_lt_u64_e64 s2, 0xffff, v[1:2]
	v_add_co_u32 v1, s3, v1, s15
	s_delay_alu instid0(VALU_DEP_1) | instskip(SKIP_1) | instid1(VALU_DEP_4)
	v_add_co_ci_u32_e64 v2, s3, 0, v2, s3
	v_add_co_u32 v3, s3, v3, s10
	s_or_b32 s2, vcc_lo, s2
	v_add_co_ci_u32_e64 v4, s3, 0, v4, s3
	s_and_b32 s2, exec_lo, s2
	s_delay_alu instid0(SALU_CYCLE_1)
	s_or_b32 s11, s2, s11
	s_waitcnt vmcnt(0)
	v_cvt_i32_f32_e32 v7, v7
	v_cvt_i32_f32_e32 v9, v9
	;; [unrolled: 1-line block ×4, first 2 shown]
	s_delay_alu instid0(VALU_DEP_2) | instskip(NEXT) | instid1(VALU_DEP_2)
	v_perm_b32 v8, v10, v9, 0x5040100
	v_perm_b32 v7, v11, v7, 0x5040100
	global_store_b64 v[5:6], v[7:8], off
	v_add_co_u32 v5, vcc_lo, v5, s16
	v_add_co_ci_u32_e32 v6, vcc_lo, 0, v6, vcc_lo
	s_and_not1_b32 exec_lo, exec_lo, s11
	s_cbranch_execnz .LBB226_3
.LBB226_4:
	s_set_inst_prefetch_distance 0x2
	s_or_b32 exec_lo, exec_lo, s14
	s_mov_b32 s14, 0
.LBB226_5:
	s_delay_alu instid0(SALU_CYCLE_1)
	s_and_not1_b32 vcc_lo, exec_lo, s14
	s_cbranch_vccnz .LBB226_25
; %bb.6:
	v_cmp_lt_i64_e64 s2, s[4:5], 1
	s_delay_alu instid0(VALU_DEP_1)
	s_and_b32 vcc_lo, exec_lo, s2
	s_cbranch_vccnz .LBB226_25
; %bb.7:
	s_load_b32 s0, s[0:1], 0xc5c
	v_cmp_gt_u64_e64 s1, 0x10000, s[4:5]
	v_dual_mov_b32 v2, 0 :: v_dual_lshlrev_b32 v5, 1, v0
	v_lshlrev_b32_e32 v1, 2, v0
                                        ; implicit-def: $vgpr25
                                        ; implicit-def: $vgpr26
                                        ; implicit-def: $vgpr27
                                        ; implicit-def: $vgpr28
	s_waitcnt lgkmcnt(0)
	s_and_b32 s0, s0, 0xffff
	s_delay_alu instid0(VALU_DEP_3)
	s_and_b32 s1, s1, exec_lo
	s_cselect_b32 s3, s5, 0
	s_cselect_b32 s2, s4, 0x10000
	s_lshl_b64 s[8:9], s[8:9], 17
	s_lshl_b32 s11, s0, 1
	s_lshl_b32 s1, s0, 2
	s_lshl_b32 s10, s0, 4
	s_add_u32 s6, s6, s8
	s_addc_u32 s7, s7, s9
	v_add_co_u32 v5, s9, s6, v5
	s_delay_alu instid0(VALU_DEP_1) | instskip(SKIP_3) | instid1(VALU_DEP_2)
	v_add_co_ci_u32_e64 v6, null, s7, 0, s9
	v_add_co_u32 v18, s9, v0, s0
	s_mul_i32 s14, s0, 3
	v_mad_u64_u32 v[3:4], null, s0, 12, v[1:2]
	v_lshlrev_b32_e32 v7, 1, v18
	v_add_co_u32 v2, s8, s14, v0
	s_delay_alu instid0(VALU_DEP_1)
	v_add_co_ci_u32_e64 v17, null, 0, 0, s8
	s_lshl_b32 s8, s0, 3
	v_add_co_ci_u32_e64 v21, null, 0, 0, s9
	v_add_co_u32 v19, s14, s8, v1
	v_add_co_u32 v22, s9, s11, v0
	v_add_co_u32 v7, s6, s6, v7
	v_add_co_ci_u32_e64 v20, null, 0, 0, s14
	v_add_co_ci_u32_e64 v23, null, 0, 0, s9
	v_lshlrev_b32_e32 v24, 2, v18
	v_add_co_ci_u32_e64 v8, null, s7, 0, s6
	s_mul_i32 s9, s0, 6
	s_mov_b64 s[6:7], 0
	s_branch .LBB226_9
.LBB226_8:                              ;   in Loop: Header=BB226_9 Depth=1
	s_or_b32 exec_lo, exec_lo, s0
	s_add_u32 s6, s6, s1
	s_addc_u32 s7, s7, 0
	v_add_co_u32 v5, vcc_lo, v5, s8
	v_cmp_ge_i64_e64 s0, s[6:7], s[4:5]
	v_cmp_lt_u64_e64 s11, 0xffff, s[6:7]
	v_add_co_ci_u32_e32 v6, vcc_lo, 0, v6, vcc_lo
	v_add_co_u32 v7, vcc_lo, v7, s8
	v_add_co_ci_u32_e32 v8, vcc_lo, 0, v8, vcc_lo
	s_delay_alu instid0(VALU_DEP_4)
	s_or_b32 s0, s0, s11
	s_add_u32 s12, s12, s10
	s_addc_u32 s13, s13, 0
	s_and_b32 vcc_lo, exec_lo, s0
	s_cbranch_vccnz .LBB226_25
.LBB226_9:                              ; =>This Inner Loop Header: Depth=1
	v_add_co_u32 v9, s0, v0, s6
	s_delay_alu instid0(VALU_DEP_1) | instskip(NEXT) | instid1(VALU_DEP_1)
	v_add_co_ci_u32_e64 v10, null, 0, s7, s0
	v_cmp_gt_i64_e32 vcc_lo, s[4:5], v[9:10]
	v_cmp_gt_u64_e64 s0, 0x10000, v[9:10]
	s_delay_alu instid0(VALU_DEP_1) | instskip(NEXT) | instid1(SALU_CYCLE_1)
	s_and_b32 s11, vcc_lo, s0
	s_and_saveexec_b32 s0, s11
	s_cbranch_execz .LBB226_11
; %bb.10:                               ;   in Loop: Header=BB226_9 Depth=1
	v_add_co_u32 v11, s11, s12, v1
	s_delay_alu instid0(VALU_DEP_1)
	v_add_co_ci_u32_e64 v12, null, s13, 0, s11
	global_load_b32 v28, v[11:12], off
.LBB226_11:                             ;   in Loop: Header=BB226_9 Depth=1
	s_or_b32 exec_lo, exec_lo, s0
	v_add_co_u32 v11, vcc_lo, v18, s6
	v_add_co_ci_u32_e32 v12, vcc_lo, s7, v21, vcc_lo
	s_delay_alu instid0(VALU_DEP_1) | instskip(SKIP_1) | instid1(VALU_DEP_1)
	v_cmp_gt_i64_e32 vcc_lo, s[4:5], v[11:12]
	v_cmp_gt_u64_e64 s0, 0x10000, v[11:12]
	s_and_b32 s11, vcc_lo, s0
	s_delay_alu instid0(SALU_CYCLE_1)
	s_and_saveexec_b32 s0, s11
	s_cbranch_execz .LBB226_13
; %bb.12:                               ;   in Loop: Header=BB226_9 Depth=1
	v_add_co_u32 v13, s11, s12, v24
	s_delay_alu instid0(VALU_DEP_1)
	v_add_co_ci_u32_e64 v14, null, s13, 0, s11
	global_load_b32 v27, v[13:14], off
.LBB226_13:                             ;   in Loop: Header=BB226_9 Depth=1
	s_or_b32 exec_lo, exec_lo, s0
	v_add_co_u32 v13, vcc_lo, v22, s6
	v_add_co_ci_u32_e32 v14, vcc_lo, s7, v23, vcc_lo
	s_delay_alu instid0(VALU_DEP_1) | instskip(SKIP_1) | instid1(VALU_DEP_1)
	v_cmp_gt_i64_e32 vcc_lo, s[4:5], v[13:14]
	v_cmp_gt_u64_e64 s0, 0x10000, v[13:14]
	s_and_b32 s11, vcc_lo, s0
	s_delay_alu instid0(SALU_CYCLE_1)
	s_and_saveexec_b32 s0, s11
	s_cbranch_execz .LBB226_15
; %bb.14:                               ;   in Loop: Header=BB226_9 Depth=1
	v_add_co_u32 v15, vcc_lo, s12, v19
	v_add_co_ci_u32_e32 v16, vcc_lo, s13, v20, vcc_lo
	global_load_b32 v26, v[15:16], off
.LBB226_15:                             ;   in Loop: Header=BB226_9 Depth=1
	s_or_b32 exec_lo, exec_lo, s0
	v_add_co_u32 v15, vcc_lo, v2, s6
	v_add_co_ci_u32_e32 v16, vcc_lo, s7, v17, vcc_lo
	s_delay_alu instid0(VALU_DEP_1) | instskip(SKIP_1) | instid1(VALU_DEP_1)
	v_cmp_gt_i64_e32 vcc_lo, s[4:5], v[15:16]
	v_cmp_gt_u64_e64 s0, 0x10000, v[15:16]
	s_and_b32 s11, vcc_lo, s0
	s_delay_alu instid0(SALU_CYCLE_1)
	s_and_saveexec_b32 s0, s11
	s_cbranch_execnz .LBB226_20
; %bb.16:                               ;   in Loop: Header=BB226_9 Depth=1
	s_or_b32 exec_lo, exec_lo, s0
	s_delay_alu instid0(SALU_CYCLE_1)
	s_mov_b32 s0, exec_lo
	v_cmpx_gt_u64_e64 s[2:3], v[9:10]
	s_cbranch_execnz .LBB226_21
.LBB226_17:                             ;   in Loop: Header=BB226_9 Depth=1
	s_or_b32 exec_lo, exec_lo, s0
	s_delay_alu instid0(SALU_CYCLE_1)
	s_mov_b32 s0, exec_lo
	v_cmpx_gt_u64_e64 s[2:3], v[11:12]
	s_cbranch_execnz .LBB226_22
.LBB226_18:                             ;   in Loop: Header=BB226_9 Depth=1
	s_or_b32 exec_lo, exec_lo, s0
	s_delay_alu instid0(SALU_CYCLE_1)
	s_mov_b32 s0, exec_lo
	v_cmpx_gt_u64_e64 s[2:3], v[13:14]
	s_cbranch_execnz .LBB226_23
.LBB226_19:                             ;   in Loop: Header=BB226_9 Depth=1
	s_or_b32 exec_lo, exec_lo, s0
	s_delay_alu instid0(SALU_CYCLE_1)
	s_mov_b32 s0, exec_lo
	v_cmpx_gt_u64_e64 s[2:3], v[15:16]
	s_cbranch_execz .LBB226_8
	s_branch .LBB226_24
.LBB226_20:                             ;   in Loop: Header=BB226_9 Depth=1
	v_add_co_u32 v29, vcc_lo, s12, v3
	v_add_co_ci_u32_e32 v30, vcc_lo, s13, v4, vcc_lo
	global_load_b32 v25, v[29:30], off
	s_or_b32 exec_lo, exec_lo, s0
	s_delay_alu instid0(SALU_CYCLE_1)
	s_mov_b32 s0, exec_lo
	v_cmpx_gt_u64_e64 s[2:3], v[9:10]
	s_cbranch_execz .LBB226_17
.LBB226_21:                             ;   in Loop: Header=BB226_9 Depth=1
	s_waitcnt vmcnt(0)
	v_cvt_i32_f32_e32 v9, v28
	global_store_b16 v[5:6], v9, off
	s_or_b32 exec_lo, exec_lo, s0
	s_delay_alu instid0(SALU_CYCLE_1)
	s_mov_b32 s0, exec_lo
	v_cmpx_gt_u64_e64 s[2:3], v[11:12]
	s_cbranch_execz .LBB226_18
.LBB226_22:                             ;   in Loop: Header=BB226_9 Depth=1
	s_waitcnt vmcnt(0)
	v_cvt_i32_f32_e32 v9, v27
	global_store_b16 v[7:8], v9, off
	s_or_b32 exec_lo, exec_lo, s0
	s_delay_alu instid0(SALU_CYCLE_1)
	s_mov_b32 s0, exec_lo
	v_cmpx_gt_u64_e64 s[2:3], v[13:14]
	s_cbranch_execz .LBB226_19
.LBB226_23:                             ;   in Loop: Header=BB226_9 Depth=1
	v_add_co_u32 v9, vcc_lo, v5, s1
	s_waitcnt vmcnt(0)
	v_cvt_i32_f32_e32 v11, v26
	v_add_co_ci_u32_e32 v10, vcc_lo, 0, v6, vcc_lo
	global_store_b16 v[9:10], v11, off
	s_or_b32 exec_lo, exec_lo, s0
	s_delay_alu instid0(SALU_CYCLE_1)
	s_mov_b32 s0, exec_lo
	v_cmpx_gt_u64_e64 s[2:3], v[15:16]
	s_cbranch_execz .LBB226_8
.LBB226_24:                             ;   in Loop: Header=BB226_9 Depth=1
	v_add_co_u32 v9, vcc_lo, v5, s9
	s_waitcnt vmcnt(0)
	v_cvt_i32_f32_e32 v11, v25
	v_add_co_ci_u32_e32 v10, vcc_lo, 0, v6, vcc_lo
	global_store_b16 v[9:10], v11, off
	s_branch .LBB226_8
.LBB226_25:
	s_nop 0
	s_sendmsg sendmsg(MSG_DEALLOC_VGPRS)
	s_endpgm
	.section	.rodata,"a",@progbits
	.p2align	6, 0x0
	.amdhsa_kernel _ZN2at6native12_GLOBAL__N_125multi_tensor_apply_kernelINS1_18TensorListMetadataILi2EEENS1_11CopyFunctorIsfLi2ELi1ELi1EEEJNS0_4CopyIsfEEEEEvT_T0_DpT1_
		.amdhsa_group_segment_fixed_size 0
		.amdhsa_private_segment_fixed_size 0
		.amdhsa_kernarg_size 3408
		.amdhsa_user_sgpr_count 15
		.amdhsa_user_sgpr_dispatch_ptr 0
		.amdhsa_user_sgpr_queue_ptr 0
		.amdhsa_user_sgpr_kernarg_segment_ptr 1
		.amdhsa_user_sgpr_dispatch_id 0
		.amdhsa_user_sgpr_private_segment_size 0
		.amdhsa_wavefront_size32 1
		.amdhsa_uses_dynamic_stack 0
		.amdhsa_enable_private_segment 0
		.amdhsa_system_sgpr_workgroup_id_x 1
		.amdhsa_system_sgpr_workgroup_id_y 0
		.amdhsa_system_sgpr_workgroup_id_z 0
		.amdhsa_system_sgpr_workgroup_info 0
		.amdhsa_system_vgpr_workitem_id 0
		.amdhsa_next_free_vgpr 31
		.amdhsa_next_free_sgpr 20
		.amdhsa_reserve_vcc 1
		.amdhsa_float_round_mode_32 0
		.amdhsa_float_round_mode_16_64 0
		.amdhsa_float_denorm_mode_32 3
		.amdhsa_float_denorm_mode_16_64 3
		.amdhsa_dx10_clamp 1
		.amdhsa_ieee_mode 1
		.amdhsa_fp16_overflow 0
		.amdhsa_workgroup_processor_mode 1
		.amdhsa_memory_ordered 1
		.amdhsa_forward_progress 0
		.amdhsa_shared_vgpr_count 0
		.amdhsa_exception_fp_ieee_invalid_op 0
		.amdhsa_exception_fp_denorm_src 0
		.amdhsa_exception_fp_ieee_div_zero 0
		.amdhsa_exception_fp_ieee_overflow 0
		.amdhsa_exception_fp_ieee_underflow 0
		.amdhsa_exception_fp_ieee_inexact 0
		.amdhsa_exception_int_div_zero 0
	.end_amdhsa_kernel
	.section	.text._ZN2at6native12_GLOBAL__N_125multi_tensor_apply_kernelINS1_18TensorListMetadataILi2EEENS1_11CopyFunctorIsfLi2ELi1ELi1EEEJNS0_4CopyIsfEEEEEvT_T0_DpT1_,"axG",@progbits,_ZN2at6native12_GLOBAL__N_125multi_tensor_apply_kernelINS1_18TensorListMetadataILi2EEENS1_11CopyFunctorIsfLi2ELi1ELi1EEEJNS0_4CopyIsfEEEEEvT_T0_DpT1_,comdat
.Lfunc_end226:
	.size	_ZN2at6native12_GLOBAL__N_125multi_tensor_apply_kernelINS1_18TensorListMetadataILi2EEENS1_11CopyFunctorIsfLi2ELi1ELi1EEEJNS0_4CopyIsfEEEEEvT_T0_DpT1_, .Lfunc_end226-_ZN2at6native12_GLOBAL__N_125multi_tensor_apply_kernelINS1_18TensorListMetadataILi2EEENS1_11CopyFunctorIsfLi2ELi1ELi1EEEJNS0_4CopyIsfEEEEEvT_T0_DpT1_
                                        ; -- End function
	.section	.AMDGPU.csdata,"",@progbits
; Kernel info:
; codeLenInByte = 1428
; NumSgprs: 22
; NumVgprs: 31
; ScratchSize: 0
; MemoryBound: 0
; FloatMode: 240
; IeeeMode: 1
; LDSByteSize: 0 bytes/workgroup (compile time only)
; SGPRBlocks: 2
; VGPRBlocks: 3
; NumSGPRsForWavesPerEU: 22
; NumVGPRsForWavesPerEU: 31
; Occupancy: 16
; WaveLimiterHint : 0
; COMPUTE_PGM_RSRC2:SCRATCH_EN: 0
; COMPUTE_PGM_RSRC2:USER_SGPR: 15
; COMPUTE_PGM_RSRC2:TRAP_HANDLER: 0
; COMPUTE_PGM_RSRC2:TGID_X_EN: 1
; COMPUTE_PGM_RSRC2:TGID_Y_EN: 0
; COMPUTE_PGM_RSRC2:TGID_Z_EN: 0
; COMPUTE_PGM_RSRC2:TIDIG_COMP_CNT: 0
	.section	.text._ZN2at6native12_GLOBAL__N_125multi_tensor_apply_kernelINS1_18TensorListMetadataILi2EEENS1_11CopyFunctorIsN3c107complexIdEELi2ELi1ELi1EEEJNS0_4CopyIsS8_EEEEEvT_T0_DpT1_,"axG",@progbits,_ZN2at6native12_GLOBAL__N_125multi_tensor_apply_kernelINS1_18TensorListMetadataILi2EEENS1_11CopyFunctorIsN3c107complexIdEELi2ELi1ELi1EEEJNS0_4CopyIsS8_EEEEEvT_T0_DpT1_,comdat
	.globl	_ZN2at6native12_GLOBAL__N_125multi_tensor_apply_kernelINS1_18TensorListMetadataILi2EEENS1_11CopyFunctorIsN3c107complexIdEELi2ELi1ELi1EEEJNS0_4CopyIsS8_EEEEEvT_T0_DpT1_ ; -- Begin function _ZN2at6native12_GLOBAL__N_125multi_tensor_apply_kernelINS1_18TensorListMetadataILi2EEENS1_11CopyFunctorIsN3c107complexIdEELi2ELi1ELi1EEEJNS0_4CopyIsS8_EEEEEvT_T0_DpT1_
	.p2align	8
	.type	_ZN2at6native12_GLOBAL__N_125multi_tensor_apply_kernelINS1_18TensorListMetadataILi2EEENS1_11CopyFunctorIsN3c107complexIdEELi2ELi1ELi1EEEJNS0_4CopyIsS8_EEEEEvT_T0_DpT1_,@function
_ZN2at6native12_GLOBAL__N_125multi_tensor_apply_kernelINS1_18TensorListMetadataILi2EEENS1_11CopyFunctorIsN3c107complexIdEELi2ELi1ELi1EEEJNS0_4CopyIsS8_EEEEEvT_T0_DpT1_: ; @_ZN2at6native12_GLOBAL__N_125multi_tensor_apply_kernelINS1_18TensorListMetadataILi2EEENS1_11CopyFunctorIsN3c107complexIdEELi2ELi1ELi1EEEJNS0_4CopyIsS8_EEEEEvT_T0_DpT1_
; %bb.0:
	v_mov_b32_e32 v1, s15
	s_add_u32 s2, s0, s15
	s_mul_hi_u32 s3, s15, 3
	s_mul_i32 s15, s15, 3
	s_addc_u32 s4, s1, 0
	global_load_u8 v1, v1, s[0:1] offset:1536
	s_add_u32 s2, s2, s15
	s_addc_u32 s3, s4, s3
	s_mov_b32 s15, 0
	s_load_b32 s8, s[2:3], 0x740
	s_waitcnt lgkmcnt(0)
	s_ashr_i32 s9, s8, 31
	s_delay_alu instid0(SALU_CYCLE_1) | instskip(SKIP_3) | instid1(VALU_DEP_1)
	s_lshl_b64 s[10:11], s[8:9], 20
	s_lshl_b64 s[16:17], s[8:9], 16
	s_waitcnt vmcnt(0)
	v_readfirstlane_b32 s5, v1
	s_lshl_b32 s4, s5, 3
	s_clause 0x2
	s_load_b64 s[2:3], s[0:1], s4 offset:0x0
	s_load_b64 s[6:7], s[0:1], s4 offset:0x200
	;; [unrolled: 1-line block ×3, first 2 shown]
	s_waitcnt lgkmcnt(0)
	s_add_u32 s12, s2, s10
	s_addc_u32 s13, s3, s11
	s_and_b32 s18, s6, 7
	s_and_b32 s19, s4, 3
	;; [unrolled: 1-line block ×3, first 2 shown]
	s_or_b32 s18, s19, s18
	s_mov_b32 s19, s15
	s_delay_alu instid0(SALU_CYCLE_1)
	s_or_b64 s[14:15], s[14:15], s[18:19]
	s_sub_u32 s4, s4, s16
	s_subb_u32 s5, s5, s17
	s_cmp_eq_u64 s[14:15], 0
	s_mov_b32 s14, -1
	s_cbranch_scc0 .LBB227_5
; %bb.1:
	v_dual_mov_b32 v2, 0 :: v_dual_lshlrev_b32 v1, 2, v0
	s_mov_b32 s14, exec_lo
	s_delay_alu instid0(VALU_DEP_1)
	v_cmpx_gt_i64_e64 s[4:5], v[1:2]
	s_cbranch_execz .LBB227_4
; %bb.2:
	s_load_b32 s15, s[0:1], 0xc5c
	v_lshlrev_b32_e32 v3, 6, v0
	v_lshlrev_b32_e32 v5, 3, v0
	s_waitcnt lgkmcnt(0)
	s_and_b32 s16, s15, 0xffff
	s_delay_alu instid0(SALU_CYCLE_1)
	s_lshl_b32 s15, s16, 2
	s_add_u32 s17, s2, s10
	s_addc_u32 s11, s3, s11
	v_add_co_u32 v3, s17, s17, v3
	s_lshl_b64 s[2:3], s[8:9], 17
	s_lshl_b32 s10, s16, 6
	v_add_co_ci_u32_e64 v4, null, s11, 0, s17
	s_add_u32 s2, s6, s2
	s_addc_u32 s3, s7, s3
	v_add_co_u32 v3, vcc_lo, v3, 32
	v_add_co_u32 v5, s2, s2, v5
	v_add_lshl_u32 v1, v0, s16, 2
	v_add_co_ci_u32_e32 v4, vcc_lo, 0, v4, vcc_lo
	v_add_co_ci_u32_e64 v6, null, s3, 0, s2
	s_mov_b32 s11, 0
	s_lshl_b32 s16, s16, 3
	s_set_inst_prefetch_distance 0x1
	.p2align	6
.LBB227_3:                              ; =>This Inner Loop Header: Depth=1
	s_clause 0x3
	global_load_b64 v[7:8], v[3:4], off offset:-32
	global_load_b64 v[9:10], v[3:4], off
	global_load_b64 v[11:12], v[3:4], off offset:16
	global_load_b64 v[13:14], v[3:4], off offset:-16
	v_cmp_le_i64_e32 vcc_lo, s[4:5], v[1:2]
	v_cmp_lt_u64_e64 s2, 0xffff, v[1:2]
	v_add_co_u32 v1, s3, v1, s15
	s_delay_alu instid0(VALU_DEP_1) | instskip(SKIP_1) | instid1(VALU_DEP_4)
	v_add_co_ci_u32_e64 v2, s3, 0, v2, s3
	v_add_co_u32 v3, s3, v3, s10
	s_or_b32 s2, vcc_lo, s2
	v_add_co_ci_u32_e64 v4, s3, 0, v4, s3
	s_and_b32 s2, exec_lo, s2
	s_delay_alu instid0(SALU_CYCLE_1)
	s_or_b32 s11, s2, s11
	s_waitcnt vmcnt(3)
	v_cvt_i32_f64_e32 v7, v[7:8]
	s_waitcnt vmcnt(2)
	v_cvt_i32_f64_e32 v8, v[9:10]
	;; [unrolled: 2-line block ×4, first 2 shown]
	s_delay_alu instid0(VALU_DEP_2) | instskip(NEXT) | instid1(VALU_DEP_2)
	v_perm_b32 v8, v9, v8, 0x5040100
	v_perm_b32 v7, v10, v7, 0x5040100
	global_store_b64 v[5:6], v[7:8], off
	v_add_co_u32 v5, vcc_lo, v5, s16
	v_add_co_ci_u32_e32 v6, vcc_lo, 0, v6, vcc_lo
	s_and_not1_b32 exec_lo, exec_lo, s11
	s_cbranch_execnz .LBB227_3
.LBB227_4:
	s_set_inst_prefetch_distance 0x2
	s_or_b32 exec_lo, exec_lo, s14
	s_mov_b32 s14, 0
.LBB227_5:
	s_delay_alu instid0(SALU_CYCLE_1)
	s_and_not1_b32 vcc_lo, exec_lo, s14
	s_cbranch_vccnz .LBB227_25
; %bb.6:
	v_cmp_lt_i64_e64 s2, s[4:5], 1
	s_delay_alu instid0(VALU_DEP_1)
	s_and_b32 vcc_lo, exec_lo, s2
	s_cbranch_vccnz .LBB227_25
; %bb.7:
	s_load_b32 s0, s[0:1], 0xc5c
	v_cmp_gt_u64_e64 s1, 0x10000, s[4:5]
	v_lshlrev_b32_e32 v5, 1, v0
	v_mov_b32_e32 v9, 0
	v_mov_b32_e32 v10, 0
	v_dual_mov_b32 v2, 0 :: v_dual_lshlrev_b32 v1, 4, v0
	s_delay_alu instid0(VALU_DEP_2)
	v_dual_mov_b32 v12, v10 :: v_dual_mov_b32 v11, v9
	v_dual_mov_b32 v14, v10 :: v_dual_mov_b32 v13, v9
	;; [unrolled: 1-line block ×3, first 2 shown]
	s_waitcnt lgkmcnt(0)
	s_and_b32 s0, s0, 0xffff
	s_and_b32 s1, s1, exec_lo
	s_cselect_b32 s3, s5, 0
	s_cselect_b32 s2, s4, 0x10000
	s_lshl_b64 s[8:9], s[8:9], 17
	s_lshl_b32 s11, s0, 1
	s_lshl_b32 s1, s0, 2
	;; [unrolled: 1-line block ×3, first 2 shown]
	s_add_u32 s6, s6, s8
	s_addc_u32 s7, s7, s9
	v_add_co_u32 v5, s9, s6, v5
	s_delay_alu instid0(VALU_DEP_1) | instskip(SKIP_4) | instid1(VALU_DEP_3)
	v_add_co_ci_u32_e64 v6, null, s7, 0, s9
	v_add_co_u32 v26, s9, v0, s0
	s_mul_i32 s14, s0, 3
	v_mad_u64_u32 v[3:4], null, s0, 48, v[1:2]
	v_add_co_u32 v2, s8, s14, v0
	v_lshlrev_b32_e32 v7, 1, v26
	v_add_co_ci_u32_e64 v25, null, 0, 0, s8
	s_lshl_b32 s8, s0, 5
	v_add_co_ci_u32_e64 v29, null, 0, 0, s9
	v_add_co_u32 v27, s8, s8, v1
	s_delay_alu instid0(VALU_DEP_1)
	v_add_co_ci_u32_e64 v28, null, 0, 0, s8
	v_add_co_u32 v30, s8, s11, v0
	v_add_co_u32 v7, s6, s6, v7
	v_add_co_ci_u32_e64 v31, null, 0, 0, s8
	v_lshlrev_b32_e32 v32, 4, v26
	v_add_co_ci_u32_e64 v8, null, s7, 0, s6
	s_lshl_b32 s8, s0, 3
	s_mul_i32 s9, s0, 6
	s_mov_b64 s[6:7], 0
	s_branch .LBB227_9
.LBB227_8:                              ;   in Loop: Header=BB227_9 Depth=1
	s_or_b32 exec_lo, exec_lo, s0
	s_add_u32 s6, s6, s1
	s_addc_u32 s7, s7, 0
	v_add_co_u32 v5, vcc_lo, v5, s8
	v_cmp_ge_i64_e64 s0, s[6:7], s[4:5]
	v_cmp_lt_u64_e64 s11, 0xffff, s[6:7]
	v_add_co_ci_u32_e32 v6, vcc_lo, 0, v6, vcc_lo
	v_add_co_u32 v7, vcc_lo, v7, s8
	v_add_co_ci_u32_e32 v8, vcc_lo, 0, v8, vcc_lo
	s_delay_alu instid0(VALU_DEP_4)
	s_or_b32 s0, s0, s11
	s_add_u32 s12, s12, s10
	s_addc_u32 s13, s13, 0
	s_and_b32 vcc_lo, exec_lo, s0
	s_cbranch_vccnz .LBB227_25
.LBB227_9:                              ; =>This Inner Loop Header: Depth=1
	v_add_co_u32 v17, s0, v0, s6
	s_delay_alu instid0(VALU_DEP_1) | instskip(NEXT) | instid1(VALU_DEP_1)
	v_add_co_ci_u32_e64 v18, null, 0, s7, s0
	v_cmp_gt_i64_e32 vcc_lo, s[4:5], v[17:18]
	v_cmp_gt_u64_e64 s0, 0x10000, v[17:18]
	s_delay_alu instid0(VALU_DEP_1) | instskip(NEXT) | instid1(SALU_CYCLE_1)
	s_and_b32 s11, vcc_lo, s0
	s_and_saveexec_b32 s0, s11
	s_cbranch_execz .LBB227_11
; %bb.10:                               ;   in Loop: Header=BB227_9 Depth=1
	s_waitcnt vmcnt(0)
	v_add_co_u32 v15, s11, s12, v1
	s_delay_alu instid0(VALU_DEP_1)
	v_add_co_ci_u32_e64 v16, null, s13, 0, s11
	global_load_b64 v[15:16], v[15:16], off
.LBB227_11:                             ;   in Loop: Header=BB227_9 Depth=1
	s_or_b32 exec_lo, exec_lo, s0
	v_add_co_u32 v19, vcc_lo, v26, s6
	v_add_co_ci_u32_e32 v20, vcc_lo, s7, v29, vcc_lo
	s_delay_alu instid0(VALU_DEP_1) | instskip(SKIP_1) | instid1(VALU_DEP_1)
	v_cmp_gt_i64_e32 vcc_lo, s[4:5], v[19:20]
	v_cmp_gt_u64_e64 s0, 0x10000, v[19:20]
	s_and_b32 s11, vcc_lo, s0
	s_delay_alu instid0(SALU_CYCLE_1)
	s_and_saveexec_b32 s0, s11
	s_cbranch_execz .LBB227_13
; %bb.12:                               ;   in Loop: Header=BB227_9 Depth=1
	s_waitcnt vmcnt(0)
	v_add_co_u32 v13, s11, s12, v32
	s_delay_alu instid0(VALU_DEP_1)
	v_add_co_ci_u32_e64 v14, null, s13, 0, s11
	global_load_b64 v[13:14], v[13:14], off
.LBB227_13:                             ;   in Loop: Header=BB227_9 Depth=1
	s_or_b32 exec_lo, exec_lo, s0
	v_add_co_u32 v21, vcc_lo, v30, s6
	v_add_co_ci_u32_e32 v22, vcc_lo, s7, v31, vcc_lo
	s_delay_alu instid0(VALU_DEP_1) | instskip(SKIP_1) | instid1(VALU_DEP_1)
	v_cmp_gt_i64_e32 vcc_lo, s[4:5], v[21:22]
	v_cmp_gt_u64_e64 s0, 0x10000, v[21:22]
	s_and_b32 s11, vcc_lo, s0
	s_delay_alu instid0(SALU_CYCLE_1)
	s_and_saveexec_b32 s0, s11
	s_cbranch_execz .LBB227_15
; %bb.14:                               ;   in Loop: Header=BB227_9 Depth=1
	s_waitcnt vmcnt(0)
	v_add_co_u32 v11, vcc_lo, s12, v27
	v_add_co_ci_u32_e32 v12, vcc_lo, s13, v28, vcc_lo
	global_load_b64 v[11:12], v[11:12], off
.LBB227_15:                             ;   in Loop: Header=BB227_9 Depth=1
	s_or_b32 exec_lo, exec_lo, s0
	v_add_co_u32 v23, vcc_lo, v2, s6
	v_add_co_ci_u32_e32 v24, vcc_lo, s7, v25, vcc_lo
	s_delay_alu instid0(VALU_DEP_1) | instskip(SKIP_1) | instid1(VALU_DEP_1)
	v_cmp_gt_i64_e32 vcc_lo, s[4:5], v[23:24]
	v_cmp_gt_u64_e64 s0, 0x10000, v[23:24]
	s_and_b32 s11, vcc_lo, s0
	s_delay_alu instid0(SALU_CYCLE_1)
	s_and_saveexec_b32 s0, s11
	s_cbranch_execnz .LBB227_20
; %bb.16:                               ;   in Loop: Header=BB227_9 Depth=1
	s_or_b32 exec_lo, exec_lo, s0
	s_delay_alu instid0(SALU_CYCLE_1)
	s_mov_b32 s0, exec_lo
	v_cmpx_gt_u64_e64 s[2:3], v[17:18]
	s_cbranch_execnz .LBB227_21
.LBB227_17:                             ;   in Loop: Header=BB227_9 Depth=1
	s_or_b32 exec_lo, exec_lo, s0
	s_delay_alu instid0(SALU_CYCLE_1)
	s_mov_b32 s0, exec_lo
	v_cmpx_gt_u64_e64 s[2:3], v[19:20]
	s_cbranch_execnz .LBB227_22
.LBB227_18:                             ;   in Loop: Header=BB227_9 Depth=1
	s_or_b32 exec_lo, exec_lo, s0
	s_delay_alu instid0(SALU_CYCLE_1)
	s_mov_b32 s0, exec_lo
	v_cmpx_gt_u64_e64 s[2:3], v[21:22]
	s_cbranch_execnz .LBB227_23
.LBB227_19:                             ;   in Loop: Header=BB227_9 Depth=1
	s_or_b32 exec_lo, exec_lo, s0
	s_delay_alu instid0(SALU_CYCLE_1)
	s_mov_b32 s0, exec_lo
	v_cmpx_gt_u64_e64 s[2:3], v[23:24]
	s_cbranch_execz .LBB227_8
	s_branch .LBB227_24
.LBB227_20:                             ;   in Loop: Header=BB227_9 Depth=1
	s_waitcnt vmcnt(0)
	v_add_co_u32 v9, vcc_lo, s12, v3
	v_add_co_ci_u32_e32 v10, vcc_lo, s13, v4, vcc_lo
	global_load_b64 v[9:10], v[9:10], off
	s_or_b32 exec_lo, exec_lo, s0
	s_delay_alu instid0(SALU_CYCLE_1)
	s_mov_b32 s0, exec_lo
	v_cmpx_gt_u64_e64 s[2:3], v[17:18]
	s_cbranch_execz .LBB227_17
.LBB227_21:                             ;   in Loop: Header=BB227_9 Depth=1
	s_waitcnt vmcnt(0)
	v_cvt_i32_f64_e32 v17, v[15:16]
	global_store_b16 v[5:6], v17, off
	s_or_b32 exec_lo, exec_lo, s0
	s_delay_alu instid0(SALU_CYCLE_1)
	s_mov_b32 s0, exec_lo
	v_cmpx_gt_u64_e64 s[2:3], v[19:20]
	s_cbranch_execz .LBB227_18
.LBB227_22:                             ;   in Loop: Header=BB227_9 Depth=1
	s_waitcnt vmcnt(0)
	v_cvt_i32_f64_e32 v17, v[13:14]
	global_store_b16 v[7:8], v17, off
	s_or_b32 exec_lo, exec_lo, s0
	s_delay_alu instid0(SALU_CYCLE_1)
	s_mov_b32 s0, exec_lo
	v_cmpx_gt_u64_e64 s[2:3], v[21:22]
	s_cbranch_execz .LBB227_19
.LBB227_23:                             ;   in Loop: Header=BB227_9 Depth=1
	s_waitcnt vmcnt(0)
	v_cvt_i32_f64_e32 v19, v[11:12]
	v_add_co_u32 v17, vcc_lo, v5, s1
	v_add_co_ci_u32_e32 v18, vcc_lo, 0, v6, vcc_lo
	global_store_b16 v[17:18], v19, off
	s_or_b32 exec_lo, exec_lo, s0
	s_delay_alu instid0(SALU_CYCLE_1)
	s_mov_b32 s0, exec_lo
	v_cmpx_gt_u64_e64 s[2:3], v[23:24]
	s_cbranch_execz .LBB227_8
.LBB227_24:                             ;   in Loop: Header=BB227_9 Depth=1
	s_waitcnt vmcnt(0)
	v_cvt_i32_f64_e32 v19, v[9:10]
	v_add_co_u32 v17, vcc_lo, v5, s9
	v_add_co_ci_u32_e32 v18, vcc_lo, 0, v6, vcc_lo
	global_store_b16 v[17:18], v19, off
	s_branch .LBB227_8
.LBB227_25:
	s_nop 0
	s_sendmsg sendmsg(MSG_DEALLOC_VGPRS)
	s_endpgm
	.section	.rodata,"a",@progbits
	.p2align	6, 0x0
	.amdhsa_kernel _ZN2at6native12_GLOBAL__N_125multi_tensor_apply_kernelINS1_18TensorListMetadataILi2EEENS1_11CopyFunctorIsN3c107complexIdEELi2ELi1ELi1EEEJNS0_4CopyIsS8_EEEEEvT_T0_DpT1_
		.amdhsa_group_segment_fixed_size 0
		.amdhsa_private_segment_fixed_size 0
		.amdhsa_kernarg_size 3408
		.amdhsa_user_sgpr_count 15
		.amdhsa_user_sgpr_dispatch_ptr 0
		.amdhsa_user_sgpr_queue_ptr 0
		.amdhsa_user_sgpr_kernarg_segment_ptr 1
		.amdhsa_user_sgpr_dispatch_id 0
		.amdhsa_user_sgpr_private_segment_size 0
		.amdhsa_wavefront_size32 1
		.amdhsa_uses_dynamic_stack 0
		.amdhsa_enable_private_segment 0
		.amdhsa_system_sgpr_workgroup_id_x 1
		.amdhsa_system_sgpr_workgroup_id_y 0
		.amdhsa_system_sgpr_workgroup_id_z 0
		.amdhsa_system_sgpr_workgroup_info 0
		.amdhsa_system_vgpr_workitem_id 0
		.amdhsa_next_free_vgpr 33
		.amdhsa_next_free_sgpr 20
		.amdhsa_reserve_vcc 1
		.amdhsa_float_round_mode_32 0
		.amdhsa_float_round_mode_16_64 0
		.amdhsa_float_denorm_mode_32 3
		.amdhsa_float_denorm_mode_16_64 3
		.amdhsa_dx10_clamp 1
		.amdhsa_ieee_mode 1
		.amdhsa_fp16_overflow 0
		.amdhsa_workgroup_processor_mode 1
		.amdhsa_memory_ordered 1
		.amdhsa_forward_progress 0
		.amdhsa_shared_vgpr_count 0
		.amdhsa_exception_fp_ieee_invalid_op 0
		.amdhsa_exception_fp_denorm_src 0
		.amdhsa_exception_fp_ieee_div_zero 0
		.amdhsa_exception_fp_ieee_overflow 0
		.amdhsa_exception_fp_ieee_underflow 0
		.amdhsa_exception_fp_ieee_inexact 0
		.amdhsa_exception_int_div_zero 0
	.end_amdhsa_kernel
	.section	.text._ZN2at6native12_GLOBAL__N_125multi_tensor_apply_kernelINS1_18TensorListMetadataILi2EEENS1_11CopyFunctorIsN3c107complexIdEELi2ELi1ELi1EEEJNS0_4CopyIsS8_EEEEEvT_T0_DpT1_,"axG",@progbits,_ZN2at6native12_GLOBAL__N_125multi_tensor_apply_kernelINS1_18TensorListMetadataILi2EEENS1_11CopyFunctorIsN3c107complexIdEELi2ELi1ELi1EEEJNS0_4CopyIsS8_EEEEEvT_T0_DpT1_,comdat
.Lfunc_end227:
	.size	_ZN2at6native12_GLOBAL__N_125multi_tensor_apply_kernelINS1_18TensorListMetadataILi2EEENS1_11CopyFunctorIsN3c107complexIdEELi2ELi1ELi1EEEJNS0_4CopyIsS8_EEEEEvT_T0_DpT1_, .Lfunc_end227-_ZN2at6native12_GLOBAL__N_125multi_tensor_apply_kernelINS1_18TensorListMetadataILi2EEENS1_11CopyFunctorIsN3c107complexIdEELi2ELi1ELi1EEEJNS0_4CopyIsS8_EEEEEvT_T0_DpT1_
                                        ; -- End function
	.section	.AMDGPU.csdata,"",@progbits
; Kernel info:
; codeLenInByte = 1520
; NumSgprs: 22
; NumVgprs: 33
; ScratchSize: 0
; MemoryBound: 0
; FloatMode: 240
; IeeeMode: 1
; LDSByteSize: 0 bytes/workgroup (compile time only)
; SGPRBlocks: 2
; VGPRBlocks: 4
; NumSGPRsForWavesPerEU: 22
; NumVGPRsForWavesPerEU: 33
; Occupancy: 16
; WaveLimiterHint : 0
; COMPUTE_PGM_RSRC2:SCRATCH_EN: 0
; COMPUTE_PGM_RSRC2:USER_SGPR: 15
; COMPUTE_PGM_RSRC2:TRAP_HANDLER: 0
; COMPUTE_PGM_RSRC2:TGID_X_EN: 1
; COMPUTE_PGM_RSRC2:TGID_Y_EN: 0
; COMPUTE_PGM_RSRC2:TGID_Z_EN: 0
; COMPUTE_PGM_RSRC2:TIDIG_COMP_CNT: 0
	.section	.text._ZN2at6native12_GLOBAL__N_125multi_tensor_apply_kernelINS1_18TensorListMetadataILi2EEENS1_11CopyFunctorIsN3c107complexIfEELi2ELi1ELi1EEEJNS0_4CopyIsS8_EEEEEvT_T0_DpT1_,"axG",@progbits,_ZN2at6native12_GLOBAL__N_125multi_tensor_apply_kernelINS1_18TensorListMetadataILi2EEENS1_11CopyFunctorIsN3c107complexIfEELi2ELi1ELi1EEEJNS0_4CopyIsS8_EEEEEvT_T0_DpT1_,comdat
	.globl	_ZN2at6native12_GLOBAL__N_125multi_tensor_apply_kernelINS1_18TensorListMetadataILi2EEENS1_11CopyFunctorIsN3c107complexIfEELi2ELi1ELi1EEEJNS0_4CopyIsS8_EEEEEvT_T0_DpT1_ ; -- Begin function _ZN2at6native12_GLOBAL__N_125multi_tensor_apply_kernelINS1_18TensorListMetadataILi2EEENS1_11CopyFunctorIsN3c107complexIfEELi2ELi1ELi1EEEJNS0_4CopyIsS8_EEEEEvT_T0_DpT1_
	.p2align	8
	.type	_ZN2at6native12_GLOBAL__N_125multi_tensor_apply_kernelINS1_18TensorListMetadataILi2EEENS1_11CopyFunctorIsN3c107complexIfEELi2ELi1ELi1EEEJNS0_4CopyIsS8_EEEEEvT_T0_DpT1_,@function
_ZN2at6native12_GLOBAL__N_125multi_tensor_apply_kernelINS1_18TensorListMetadataILi2EEENS1_11CopyFunctorIsN3c107complexIfEELi2ELi1ELi1EEEJNS0_4CopyIsS8_EEEEEvT_T0_DpT1_: ; @_ZN2at6native12_GLOBAL__N_125multi_tensor_apply_kernelINS1_18TensorListMetadataILi2EEENS1_11CopyFunctorIsN3c107complexIfEELi2ELi1ELi1EEEJNS0_4CopyIsS8_EEEEEvT_T0_DpT1_
; %bb.0:
	v_mov_b32_e32 v1, s15
	s_add_u32 s2, s0, s15
	s_mul_hi_u32 s3, s15, 3
	s_mul_i32 s15, s15, 3
	s_addc_u32 s4, s1, 0
	global_load_u8 v1, v1, s[0:1] offset:1536
	s_add_u32 s2, s2, s15
	s_addc_u32 s3, s4, s3
	s_mov_b32 s15, 0
	s_load_b32 s8, s[2:3], 0x740
	s_waitcnt lgkmcnt(0)
	s_ashr_i32 s9, s8, 31
	s_delay_alu instid0(SALU_CYCLE_1) | instskip(SKIP_3) | instid1(VALU_DEP_1)
	s_lshl_b64 s[10:11], s[8:9], 19
	s_lshl_b64 s[16:17], s[8:9], 16
	s_waitcnt vmcnt(0)
	v_readfirstlane_b32 s5, v1
	s_lshl_b32 s4, s5, 3
	s_clause 0x2
	s_load_b64 s[2:3], s[0:1], s4 offset:0x0
	s_load_b64 s[6:7], s[0:1], s4 offset:0x200
	;; [unrolled: 1-line block ×3, first 2 shown]
	s_waitcnt lgkmcnt(0)
	s_add_u32 s12, s2, s10
	s_addc_u32 s13, s3, s11
	s_and_b32 s18, s6, 7
	s_and_b32 s19, s4, 3
	;; [unrolled: 1-line block ×3, first 2 shown]
	s_or_b32 s18, s19, s18
	s_mov_b32 s19, s15
	s_delay_alu instid0(SALU_CYCLE_1)
	s_or_b64 s[14:15], s[14:15], s[18:19]
	s_sub_u32 s4, s4, s16
	s_subb_u32 s5, s5, s17
	s_cmp_eq_u64 s[14:15], 0
	s_mov_b32 s14, -1
	s_cbranch_scc0 .LBB228_5
; %bb.1:
	v_dual_mov_b32 v2, 0 :: v_dual_lshlrev_b32 v1, 2, v0
	s_mov_b32 s14, exec_lo
	s_delay_alu instid0(VALU_DEP_1)
	v_cmpx_gt_i64_e64 s[4:5], v[1:2]
	s_cbranch_execz .LBB228_4
; %bb.2:
	s_load_b32 s15, s[0:1], 0xc5c
	v_lshlrev_b32_e32 v3, 5, v0
	v_lshlrev_b32_e32 v5, 3, v0
	s_waitcnt lgkmcnt(0)
	s_and_b32 s16, s15, 0xffff
	s_delay_alu instid0(SALU_CYCLE_1)
	s_lshl_b32 s15, s16, 2
	s_add_u32 s17, s2, s10
	s_addc_u32 s11, s3, s11
	v_add_co_u32 v3, s17, s17, v3
	s_lshl_b64 s[2:3], s[8:9], 17
	s_lshl_b32 s10, s16, 5
	v_add_co_ci_u32_e64 v4, null, s11, 0, s17
	s_add_u32 s2, s6, s2
	s_addc_u32 s3, s7, s3
	v_add_co_u32 v3, vcc_lo, v3, 16
	v_add_co_u32 v5, s2, s2, v5
	v_add_lshl_u32 v1, v0, s16, 2
	v_add_co_ci_u32_e32 v4, vcc_lo, 0, v4, vcc_lo
	v_add_co_ci_u32_e64 v6, null, s3, 0, s2
	s_mov_b32 s11, 0
	s_lshl_b32 s16, s16, 3
	s_set_inst_prefetch_distance 0x1
	.p2align	6
.LBB228_3:                              ; =>This Inner Loop Header: Depth=1
	s_clause 0x3
	global_load_b32 v7, v[3:4], off offset:-16
	global_load_b32 v8, v[3:4], off
	global_load_b32 v9, v[3:4], off offset:8
	global_load_b32 v10, v[3:4], off offset:-8
	v_cmp_le_i64_e32 vcc_lo, s[4:5], v[1:2]
	v_cmp_lt_u64_e64 s2, 0xffff, v[1:2]
	v_add_co_u32 v1, s3, v1, s15
	s_delay_alu instid0(VALU_DEP_1) | instskip(SKIP_1) | instid1(VALU_DEP_4)
	v_add_co_ci_u32_e64 v2, s3, 0, v2, s3
	v_add_co_u32 v3, s3, v3, s10
	s_or_b32 s2, vcc_lo, s2
	v_add_co_ci_u32_e64 v4, s3, 0, v4, s3
	s_and_b32 s2, exec_lo, s2
	s_delay_alu instid0(SALU_CYCLE_1)
	s_or_b32 s11, s2, s11
	s_waitcnt vmcnt(3)
	v_cvt_i32_f32_e32 v7, v7
	s_waitcnt vmcnt(2)
	v_cvt_i32_f32_e32 v8, v8
	;; [unrolled: 2-line block ×4, first 2 shown]
	s_delay_alu instid0(VALU_DEP_2) | instskip(NEXT) | instid1(VALU_DEP_2)
	v_perm_b32 v8, v9, v8, 0x5040100
	v_perm_b32 v7, v10, v7, 0x5040100
	global_store_b64 v[5:6], v[7:8], off
	v_add_co_u32 v5, vcc_lo, v5, s16
	v_add_co_ci_u32_e32 v6, vcc_lo, 0, v6, vcc_lo
	s_and_not1_b32 exec_lo, exec_lo, s11
	s_cbranch_execnz .LBB228_3
.LBB228_4:
	s_set_inst_prefetch_distance 0x2
	s_or_b32 exec_lo, exec_lo, s14
	s_mov_b32 s14, 0
.LBB228_5:
	s_delay_alu instid0(SALU_CYCLE_1)
	s_and_not1_b32 vcc_lo, exec_lo, s14
	s_cbranch_vccnz .LBB228_25
; %bb.6:
	v_cmp_lt_i64_e64 s2, s[4:5], 1
	s_delay_alu instid0(VALU_DEP_1)
	s_and_b32 vcc_lo, exec_lo, s2
	s_cbranch_vccnz .LBB228_25
; %bb.7:
	s_load_b32 s0, s[0:1], 0xc5c
	v_cmp_gt_u64_e64 s1, 0x10000, s[4:5]
	v_dual_mov_b32 v2, 0 :: v_dual_lshlrev_b32 v1, 3, v0
	s_delay_alu instid0(VALU_DEP_1)
	v_dual_mov_b32 v26, v2 :: v_dual_lshlrev_b32 v5, 1, v0
	v_mov_b32_e32 v27, v2
	v_mov_b32_e32 v28, v2
	s_waitcnt lgkmcnt(0)
	s_and_b32 s0, s0, 0xffff
	s_and_b32 s1, s1, exec_lo
	s_cselect_b32 s3, s5, 0
	s_cselect_b32 s2, s4, 0x10000
	s_lshl_b64 s[8:9], s[8:9], 17
	s_lshl_b32 s11, s0, 1
	s_lshl_b32 s1, s0, 2
	;; [unrolled: 1-line block ×3, first 2 shown]
	s_add_u32 s6, s6, s8
	s_addc_u32 s7, s7, s9
	v_add_co_u32 v5, s9, s6, v5
	s_delay_alu instid0(VALU_DEP_1) | instskip(SKIP_4) | instid1(VALU_DEP_3)
	v_add_co_ci_u32_e64 v6, null, s7, 0, s9
	v_add_co_u32 v19, s9, v0, s0
	s_mul_i32 s14, s0, 3
	v_mad_u64_u32 v[3:4], null, s0, 24, v[1:2]
	v_add_co_u32 v17, s8, s14, v0
	v_lshlrev_b32_e32 v7, 1, v19
	v_add_co_ci_u32_e64 v18, null, 0, 0, s8
	s_lshl_b32 s8, s0, 4
	v_add_co_ci_u32_e64 v22, null, 0, 0, s9
	v_add_co_u32 v20, s8, s8, v1
	s_delay_alu instid0(VALU_DEP_1)
	v_add_co_ci_u32_e64 v21, null, 0, 0, s8
	v_add_co_u32 v23, s8, s11, v0
	v_add_co_u32 v7, s6, s6, v7
	v_add_co_ci_u32_e64 v24, null, 0, 0, s8
	v_lshlrev_b32_e32 v25, 3, v19
	v_add_co_ci_u32_e64 v8, null, s7, 0, s6
	s_lshl_b32 s8, s0, 3
	s_mul_i32 s9, s0, 6
	s_mov_b64 s[6:7], 0
	s_branch .LBB228_9
.LBB228_8:                              ;   in Loop: Header=BB228_9 Depth=1
	s_or_b32 exec_lo, exec_lo, s0
	s_add_u32 s6, s6, s1
	s_addc_u32 s7, s7, 0
	v_add_co_u32 v5, vcc_lo, v5, s8
	v_cmp_ge_i64_e64 s0, s[6:7], s[4:5]
	v_cmp_lt_u64_e64 s11, 0xffff, s[6:7]
	v_add_co_ci_u32_e32 v6, vcc_lo, 0, v6, vcc_lo
	v_add_co_u32 v7, vcc_lo, v7, s8
	v_add_co_ci_u32_e32 v8, vcc_lo, 0, v8, vcc_lo
	s_delay_alu instid0(VALU_DEP_4)
	s_or_b32 s0, s0, s11
	s_add_u32 s12, s12, s10
	s_addc_u32 s13, s13, 0
	s_and_b32 vcc_lo, exec_lo, s0
	s_cbranch_vccnz .LBB228_25
.LBB228_9:                              ; =>This Inner Loop Header: Depth=1
	v_add_co_u32 v9, s0, v0, s6
	s_delay_alu instid0(VALU_DEP_1) | instskip(NEXT) | instid1(VALU_DEP_1)
	v_add_co_ci_u32_e64 v10, null, 0, s7, s0
	v_cmp_gt_i64_e32 vcc_lo, s[4:5], v[9:10]
	v_cmp_gt_u64_e64 s0, 0x10000, v[9:10]
	s_delay_alu instid0(VALU_DEP_1) | instskip(NEXT) | instid1(SALU_CYCLE_1)
	s_and_b32 s11, vcc_lo, s0
	s_and_saveexec_b32 s0, s11
	s_cbranch_execz .LBB228_11
; %bb.10:                               ;   in Loop: Header=BB228_9 Depth=1
	v_add_co_u32 v11, s11, s12, v1
	s_delay_alu instid0(VALU_DEP_1)
	v_add_co_ci_u32_e64 v12, null, s13, 0, s11
	global_load_b32 v28, v[11:12], off
.LBB228_11:                             ;   in Loop: Header=BB228_9 Depth=1
	s_or_b32 exec_lo, exec_lo, s0
	v_add_co_u32 v11, vcc_lo, v19, s6
	v_add_co_ci_u32_e32 v12, vcc_lo, s7, v22, vcc_lo
	s_delay_alu instid0(VALU_DEP_1) | instskip(SKIP_1) | instid1(VALU_DEP_1)
	v_cmp_gt_i64_e32 vcc_lo, s[4:5], v[11:12]
	v_cmp_gt_u64_e64 s0, 0x10000, v[11:12]
	s_and_b32 s11, vcc_lo, s0
	s_delay_alu instid0(SALU_CYCLE_1)
	s_and_saveexec_b32 s0, s11
	s_cbranch_execz .LBB228_13
; %bb.12:                               ;   in Loop: Header=BB228_9 Depth=1
	v_add_co_u32 v13, s11, s12, v25
	s_delay_alu instid0(VALU_DEP_1)
	v_add_co_ci_u32_e64 v14, null, s13, 0, s11
	global_load_b32 v27, v[13:14], off
.LBB228_13:                             ;   in Loop: Header=BB228_9 Depth=1
	s_or_b32 exec_lo, exec_lo, s0
	v_add_co_u32 v13, vcc_lo, v23, s6
	v_add_co_ci_u32_e32 v14, vcc_lo, s7, v24, vcc_lo
	s_delay_alu instid0(VALU_DEP_1) | instskip(SKIP_1) | instid1(VALU_DEP_1)
	v_cmp_gt_i64_e32 vcc_lo, s[4:5], v[13:14]
	v_cmp_gt_u64_e64 s0, 0x10000, v[13:14]
	s_and_b32 s11, vcc_lo, s0
	s_delay_alu instid0(SALU_CYCLE_1)
	s_and_saveexec_b32 s0, s11
	s_cbranch_execz .LBB228_15
; %bb.14:                               ;   in Loop: Header=BB228_9 Depth=1
	v_add_co_u32 v15, vcc_lo, s12, v20
	v_add_co_ci_u32_e32 v16, vcc_lo, s13, v21, vcc_lo
	global_load_b32 v26, v[15:16], off
.LBB228_15:                             ;   in Loop: Header=BB228_9 Depth=1
	s_or_b32 exec_lo, exec_lo, s0
	v_add_co_u32 v15, vcc_lo, v17, s6
	v_add_co_ci_u32_e32 v16, vcc_lo, s7, v18, vcc_lo
	s_delay_alu instid0(VALU_DEP_1) | instskip(SKIP_1) | instid1(VALU_DEP_1)
	v_cmp_gt_i64_e32 vcc_lo, s[4:5], v[15:16]
	v_cmp_gt_u64_e64 s0, 0x10000, v[15:16]
	s_and_b32 s11, vcc_lo, s0
	s_delay_alu instid0(SALU_CYCLE_1)
	s_and_saveexec_b32 s0, s11
	s_cbranch_execnz .LBB228_20
; %bb.16:                               ;   in Loop: Header=BB228_9 Depth=1
	s_or_b32 exec_lo, exec_lo, s0
	s_delay_alu instid0(SALU_CYCLE_1)
	s_mov_b32 s0, exec_lo
	v_cmpx_gt_u64_e64 s[2:3], v[9:10]
	s_cbranch_execnz .LBB228_21
.LBB228_17:                             ;   in Loop: Header=BB228_9 Depth=1
	s_or_b32 exec_lo, exec_lo, s0
	s_delay_alu instid0(SALU_CYCLE_1)
	s_mov_b32 s0, exec_lo
	v_cmpx_gt_u64_e64 s[2:3], v[11:12]
	s_cbranch_execnz .LBB228_22
.LBB228_18:                             ;   in Loop: Header=BB228_9 Depth=1
	s_or_b32 exec_lo, exec_lo, s0
	s_delay_alu instid0(SALU_CYCLE_1)
	s_mov_b32 s0, exec_lo
	v_cmpx_gt_u64_e64 s[2:3], v[13:14]
	s_cbranch_execnz .LBB228_23
.LBB228_19:                             ;   in Loop: Header=BB228_9 Depth=1
	s_or_b32 exec_lo, exec_lo, s0
	s_delay_alu instid0(SALU_CYCLE_1)
	s_mov_b32 s0, exec_lo
	v_cmpx_gt_u64_e64 s[2:3], v[15:16]
	s_cbranch_execz .LBB228_8
	s_branch .LBB228_24
.LBB228_20:                             ;   in Loop: Header=BB228_9 Depth=1
	v_add_co_u32 v29, vcc_lo, s12, v3
	v_add_co_ci_u32_e32 v30, vcc_lo, s13, v4, vcc_lo
	global_load_b32 v2, v[29:30], off
	s_or_b32 exec_lo, exec_lo, s0
	s_delay_alu instid0(SALU_CYCLE_1)
	s_mov_b32 s0, exec_lo
	v_cmpx_gt_u64_e64 s[2:3], v[9:10]
	s_cbranch_execz .LBB228_17
.LBB228_21:                             ;   in Loop: Header=BB228_9 Depth=1
	s_waitcnt vmcnt(0)
	v_cvt_i32_f32_e32 v9, v28
	global_store_b16 v[5:6], v9, off
	s_or_b32 exec_lo, exec_lo, s0
	s_delay_alu instid0(SALU_CYCLE_1)
	s_mov_b32 s0, exec_lo
	v_cmpx_gt_u64_e64 s[2:3], v[11:12]
	s_cbranch_execz .LBB228_18
.LBB228_22:                             ;   in Loop: Header=BB228_9 Depth=1
	s_waitcnt vmcnt(0)
	v_cvt_i32_f32_e32 v9, v27
	global_store_b16 v[7:8], v9, off
	s_or_b32 exec_lo, exec_lo, s0
	s_delay_alu instid0(SALU_CYCLE_1)
	s_mov_b32 s0, exec_lo
	v_cmpx_gt_u64_e64 s[2:3], v[13:14]
	s_cbranch_execz .LBB228_19
.LBB228_23:                             ;   in Loop: Header=BB228_9 Depth=1
	v_add_co_u32 v9, vcc_lo, v5, s1
	s_waitcnt vmcnt(0)
	v_cvt_i32_f32_e32 v11, v26
	v_add_co_ci_u32_e32 v10, vcc_lo, 0, v6, vcc_lo
	global_store_b16 v[9:10], v11, off
	s_or_b32 exec_lo, exec_lo, s0
	s_delay_alu instid0(SALU_CYCLE_1)
	s_mov_b32 s0, exec_lo
	v_cmpx_gt_u64_e64 s[2:3], v[15:16]
	s_cbranch_execz .LBB228_8
.LBB228_24:                             ;   in Loop: Header=BB228_9 Depth=1
	v_add_co_u32 v9, vcc_lo, v5, s9
	s_waitcnt vmcnt(0)
	v_cvt_i32_f32_e32 v11, v2
	v_add_co_ci_u32_e32 v10, vcc_lo, 0, v6, vcc_lo
	global_store_b16 v[9:10], v11, off
	s_branch .LBB228_8
.LBB228_25:
	s_nop 0
	s_sendmsg sendmsg(MSG_DEALLOC_VGPRS)
	s_endpgm
	.section	.rodata,"a",@progbits
	.p2align	6, 0x0
	.amdhsa_kernel _ZN2at6native12_GLOBAL__N_125multi_tensor_apply_kernelINS1_18TensorListMetadataILi2EEENS1_11CopyFunctorIsN3c107complexIfEELi2ELi1ELi1EEEJNS0_4CopyIsS8_EEEEEvT_T0_DpT1_
		.amdhsa_group_segment_fixed_size 0
		.amdhsa_private_segment_fixed_size 0
		.amdhsa_kernarg_size 3408
		.amdhsa_user_sgpr_count 15
		.amdhsa_user_sgpr_dispatch_ptr 0
		.amdhsa_user_sgpr_queue_ptr 0
		.amdhsa_user_sgpr_kernarg_segment_ptr 1
		.amdhsa_user_sgpr_dispatch_id 0
		.amdhsa_user_sgpr_private_segment_size 0
		.amdhsa_wavefront_size32 1
		.amdhsa_uses_dynamic_stack 0
		.amdhsa_enable_private_segment 0
		.amdhsa_system_sgpr_workgroup_id_x 1
		.amdhsa_system_sgpr_workgroup_id_y 0
		.amdhsa_system_sgpr_workgroup_id_z 0
		.amdhsa_system_sgpr_workgroup_info 0
		.amdhsa_system_vgpr_workitem_id 0
		.amdhsa_next_free_vgpr 31
		.amdhsa_next_free_sgpr 20
		.amdhsa_reserve_vcc 1
		.amdhsa_float_round_mode_32 0
		.amdhsa_float_round_mode_16_64 0
		.amdhsa_float_denorm_mode_32 3
		.amdhsa_float_denorm_mode_16_64 3
		.amdhsa_dx10_clamp 1
		.amdhsa_ieee_mode 1
		.amdhsa_fp16_overflow 0
		.amdhsa_workgroup_processor_mode 1
		.amdhsa_memory_ordered 1
		.amdhsa_forward_progress 0
		.amdhsa_shared_vgpr_count 0
		.amdhsa_exception_fp_ieee_invalid_op 0
		.amdhsa_exception_fp_denorm_src 0
		.amdhsa_exception_fp_ieee_div_zero 0
		.amdhsa_exception_fp_ieee_overflow 0
		.amdhsa_exception_fp_ieee_underflow 0
		.amdhsa_exception_fp_ieee_inexact 0
		.amdhsa_exception_int_div_zero 0
	.end_amdhsa_kernel
	.section	.text._ZN2at6native12_GLOBAL__N_125multi_tensor_apply_kernelINS1_18TensorListMetadataILi2EEENS1_11CopyFunctorIsN3c107complexIfEELi2ELi1ELi1EEEJNS0_4CopyIsS8_EEEEEvT_T0_DpT1_,"axG",@progbits,_ZN2at6native12_GLOBAL__N_125multi_tensor_apply_kernelINS1_18TensorListMetadataILi2EEENS1_11CopyFunctorIsN3c107complexIfEELi2ELi1ELi1EEEJNS0_4CopyIsS8_EEEEEvT_T0_DpT1_,comdat
.Lfunc_end228:
	.size	_ZN2at6native12_GLOBAL__N_125multi_tensor_apply_kernelINS1_18TensorListMetadataILi2EEENS1_11CopyFunctorIsN3c107complexIfEELi2ELi1ELi1EEEJNS0_4CopyIsS8_EEEEEvT_T0_DpT1_, .Lfunc_end228-_ZN2at6native12_GLOBAL__N_125multi_tensor_apply_kernelINS1_18TensorListMetadataILi2EEENS1_11CopyFunctorIsN3c107complexIfEELi2ELi1ELi1EEEJNS0_4CopyIsS8_EEEEEvT_T0_DpT1_
                                        ; -- End function
	.section	.AMDGPU.csdata,"",@progbits
; Kernel info:
; codeLenInByte = 1484
; NumSgprs: 22
; NumVgprs: 31
; ScratchSize: 0
; MemoryBound: 0
; FloatMode: 240
; IeeeMode: 1
; LDSByteSize: 0 bytes/workgroup (compile time only)
; SGPRBlocks: 2
; VGPRBlocks: 3
; NumSGPRsForWavesPerEU: 22
; NumVGPRsForWavesPerEU: 31
; Occupancy: 16
; WaveLimiterHint : 0
; COMPUTE_PGM_RSRC2:SCRATCH_EN: 0
; COMPUTE_PGM_RSRC2:USER_SGPR: 15
; COMPUTE_PGM_RSRC2:TRAP_HANDLER: 0
; COMPUTE_PGM_RSRC2:TGID_X_EN: 1
; COMPUTE_PGM_RSRC2:TGID_Y_EN: 0
; COMPUTE_PGM_RSRC2:TGID_Z_EN: 0
; COMPUTE_PGM_RSRC2:TIDIG_COMP_CNT: 0
	.section	.text._ZN2at6native12_GLOBAL__N_125multi_tensor_apply_kernelINS1_18TensorListMetadataILi2EEENS1_11CopyFunctorIsN3c104HalfELi2ELi1ELi1EEEJNS0_4CopyIsS7_EEEEEvT_T0_DpT1_,"axG",@progbits,_ZN2at6native12_GLOBAL__N_125multi_tensor_apply_kernelINS1_18TensorListMetadataILi2EEENS1_11CopyFunctorIsN3c104HalfELi2ELi1ELi1EEEJNS0_4CopyIsS7_EEEEEvT_T0_DpT1_,comdat
	.globl	_ZN2at6native12_GLOBAL__N_125multi_tensor_apply_kernelINS1_18TensorListMetadataILi2EEENS1_11CopyFunctorIsN3c104HalfELi2ELi1ELi1EEEJNS0_4CopyIsS7_EEEEEvT_T0_DpT1_ ; -- Begin function _ZN2at6native12_GLOBAL__N_125multi_tensor_apply_kernelINS1_18TensorListMetadataILi2EEENS1_11CopyFunctorIsN3c104HalfELi2ELi1ELi1EEEJNS0_4CopyIsS7_EEEEEvT_T0_DpT1_
	.p2align	8
	.type	_ZN2at6native12_GLOBAL__N_125multi_tensor_apply_kernelINS1_18TensorListMetadataILi2EEENS1_11CopyFunctorIsN3c104HalfELi2ELi1ELi1EEEJNS0_4CopyIsS7_EEEEEvT_T0_DpT1_,@function
_ZN2at6native12_GLOBAL__N_125multi_tensor_apply_kernelINS1_18TensorListMetadataILi2EEENS1_11CopyFunctorIsN3c104HalfELi2ELi1ELi1EEEJNS0_4CopyIsS7_EEEEEvT_T0_DpT1_: ; @_ZN2at6native12_GLOBAL__N_125multi_tensor_apply_kernelINS1_18TensorListMetadataILi2EEENS1_11CopyFunctorIsN3c104HalfELi2ELi1ELi1EEEJNS0_4CopyIsS7_EEEEEvT_T0_DpT1_
; %bb.0:
	v_mov_b32_e32 v1, s15
	s_add_u32 s2, s0, s15
	s_mul_hi_u32 s3, s15, 3
	s_mul_i32 s15, s15, 3
	s_addc_u32 s4, s1, 0
	global_load_u8 v1, v1, s[0:1] offset:1536
	s_add_u32 s2, s2, s15
	s_addc_u32 s3, s4, s3
	s_load_b32 s8, s[2:3], 0x740
	s_waitcnt lgkmcnt(0)
	s_ashr_i32 s9, s8, 31
	s_waitcnt vmcnt(0)
	v_readfirstlane_b32 s4, v1
	s_delay_alu instid0(VALU_DEP_1)
	s_lshl_b32 s2, s4, 3
	s_lshl_b64 s[4:5], s[8:9], 16
	s_clause 0x2
	s_load_b64 s[10:11], s[0:1], s2 offset:0x200
	s_load_b64 s[12:13], s[0:1], s2 offset:0x0
	;; [unrolled: 1-line block ×3, first 2 shown]
	s_lshl_b32 s6, s4, 1
	s_waitcnt lgkmcnt(0)
	s_add_i32 s7, s10, s6
	s_add_i32 s6, s12, s6
	s_and_b32 s7, s7, 7
	s_and_b32 s14, s2, 3
	s_and_b32 s6, s6, 7
	s_or_b32 s14, s14, s7
	s_mov_b32 s7, 0
	s_or_b32 s6, s14, s6
	s_sub_u32 s4, s2, s4
	s_subb_u32 s5, s3, s5
	s_cmp_eq_u64 s[6:7], 0
	s_mov_b32 s2, -1
	s_cbranch_scc0 .LBB229_5
; %bb.1:
	v_dual_mov_b32 v2, 0 :: v_dual_lshlrev_b32 v1, 2, v0
	s_mov_b32 s6, exec_lo
	s_delay_alu instid0(VALU_DEP_1)
	v_cmpx_gt_i64_e64 s[4:5], v[1:2]
	s_cbranch_execz .LBB229_4
; %bb.2:
	s_load_b32 s7, s[0:1], 0xc5c
	s_lshl_b64 s[2:3], s[8:9], 17
	s_delay_alu instid0(SALU_CYCLE_1)
	v_lshl_or_b32 v3, v0, 3, s2
	v_mov_b32_e32 v4, s3
	s_waitcnt lgkmcnt(0)
	s_and_b32 s15, s7, 0xffff
	s_mov_b32 s7, 0
	v_add_lshl_u32 v1, v0, s15, 2
	s_lshl_b32 s14, s15, 2
	s_lshl_b32 s15, s15, 3
	s_set_inst_prefetch_distance 0x1
	.p2align	6
.LBB229_3:                              ; =>This Inner Loop Header: Depth=1
	v_add_co_u32 v5, vcc_lo, s12, v3
	v_add_co_ci_u32_e32 v6, vcc_lo, s13, v4, vcc_lo
	v_add_co_u32 v7, vcc_lo, s10, v3
	v_add_co_ci_u32_e32 v8, vcc_lo, s11, v4, vcc_lo
	global_load_b64 v[5:6], v[5:6], off
	v_cmp_le_i64_e32 vcc_lo, s[4:5], v[1:2]
	v_cmp_lt_u64_e64 s2, 0xffff, v[1:2]
	v_add_co_u32 v1, s3, v1, s14
	s_delay_alu instid0(VALU_DEP_1) | instskip(SKIP_1) | instid1(VALU_DEP_4)
	v_add_co_ci_u32_e64 v2, s3, 0, v2, s3
	v_add_co_u32 v3, s3, v3, s15
	s_or_b32 s2, vcc_lo, s2
	v_add_co_ci_u32_e64 v4, s3, 0, v4, s3
	s_and_b32 s2, exec_lo, s2
	s_delay_alu instid0(SALU_CYCLE_1)
	s_or_b32 s7, s2, s7
	s_waitcnt vmcnt(0)
	v_lshrrev_b32_e32 v9, 16, v5
	v_lshrrev_b32_e32 v10, 16, v6
	v_cvt_i16_f16_e32 v5, v5
	v_cvt_i16_f16_e32 v6, v6
	s_delay_alu instid0(VALU_DEP_4) | instskip(NEXT) | instid1(VALU_DEP_4)
	v_cvt_i16_f16_e32 v9, v9
	v_cvt_i16_f16_e32 v10, v10
	s_delay_alu instid0(VALU_DEP_2) | instskip(NEXT) | instid1(VALU_DEP_2)
	v_perm_b32 v5, v9, v5, 0x5040100
	v_perm_b32 v6, v10, v6, 0x5040100
	global_store_b64 v[7:8], v[5:6], off
	s_and_not1_b32 exec_lo, exec_lo, s7
	s_cbranch_execnz .LBB229_3
.LBB229_4:
	s_set_inst_prefetch_distance 0x2
	s_or_b32 exec_lo, exec_lo, s6
	s_mov_b32 s2, 0
.LBB229_5:
	s_delay_alu instid0(SALU_CYCLE_1)
	s_and_not1_b32 vcc_lo, exec_lo, s2
	s_cbranch_vccnz .LBB229_25
; %bb.6:
	v_cmp_lt_i64_e64 s2, s[4:5], 1
	s_delay_alu instid0(VALU_DEP_1)
	s_and_b32 vcc_lo, exec_lo, s2
	s_cbranch_vccnz .LBB229_25
; %bb.7:
	s_load_b32 s0, s[0:1], 0xc5c
	v_dual_mov_b32 v1, 0 :: v_dual_lshlrev_b32 v2, 1, v0
	v_cmp_gt_u64_e64 s2, 0x10000, s[4:5]
	s_mov_b32 s3, 0
                                        ; implicit-def: $vgpr24
                                        ; implicit-def: $vgpr25
                                        ; implicit-def: $vgpr26
                                        ; implicit-def: $vgpr27
	s_delay_alu instid0(VALU_DEP_2) | instskip(NEXT) | instid1(VALU_DEP_3)
	v_mov_b32_e32 v3, v1
	v_add_co_u32 v8, s1, s12, v2
	s_delay_alu instid0(VALU_DEP_1) | instskip(SKIP_1) | instid1(VALU_DEP_1)
	v_add_co_ci_u32_e64 v9, null, s13, 0, s1
	v_add_co_u32 v10, s1, s10, v2
	v_add_co_ci_u32_e64 v11, null, s11, 0, s1
	s_waitcnt lgkmcnt(0)
	s_and_b32 s1, s0, 0xffff
	s_and_b32 s0, s2, exec_lo
	v_mad_u64_u32 v[4:5], null, s1, 6, v[2:3]
	s_cselect_b32 s7, s5, 0
	s_cselect_b32 s6, s4, 0x10000
	s_lshl_b32 s2, s1, 2
	s_lshl_b32 s14, s1, 1
	v_add_co_u32 v2, s0, s2, v2
	s_delay_alu instid0(VALU_DEP_2) | instskip(NEXT) | instid1(VALU_DEP_3)
	v_add_co_u32 v12, vcc_lo, s12, v4
	v_add_co_ci_u32_e32 v13, vcc_lo, s13, v5, vcc_lo
	v_add_co_u32 v14, vcc_lo, s10, v4
	v_add_lshl_u32 v4, v0, s1, 1
	v_add_co_ci_u32_e64 v3, null, 0, 0, s0
	v_add_co_ci_u32_e32 v15, vcc_lo, s11, v5, vcc_lo
	v_add_co_u32 v16, vcc_lo, s12, v2
	s_delay_alu instid0(VALU_DEP_4) | instskip(NEXT) | instid1(VALU_DEP_4)
	v_add_co_u32 v20, s0, s12, v4
	v_add_co_ci_u32_e32 v17, vcc_lo, s13, v3, vcc_lo
	v_add_co_u32 v18, vcc_lo, s10, v2
	v_add_co_ci_u32_e64 v21, null, s13, 0, s0
	v_add_co_u32 v22, s0, s10, v4
	v_add_co_ci_u32_e32 v19, vcc_lo, s11, v3, vcc_lo
	v_add_co_ci_u32_e64 v23, null, s11, 0, s0
	s_mul_i32 s15, s1, 3
	s_lshl_b64 s[8:9], s[8:9], 17
	s_lshl_b32 s12, s1, 3
	s_mov_b64 s[10:11], s[2:3]
	s_branch .LBB229_9
.LBB229_8:                              ;   in Loop: Header=BB229_9 Depth=1
	s_or_b32 exec_lo, exec_lo, s0
	v_add_co_u32 v8, vcc_lo, v8, s12
	v_add_co_ci_u32_e32 v9, vcc_lo, 0, v9, vcc_lo
	v_add_co_u32 v10, vcc_lo, v10, s12
	v_add_co_ci_u32_e32 v11, vcc_lo, 0, v11, vcc_lo
	;; [unrolled: 2-line block ×7, first 2 shown]
	v_cmp_ge_i64_e64 s0, s[10:11], s[4:5]
	v_cmp_lt_u64_e64 s3, 0xffff, s[10:11]
	v_add_co_u32 v20, vcc_lo, v20, s12
	v_add_co_ci_u32_e32 v21, vcc_lo, 0, v21, vcc_lo
	v_add_co_u32 v22, vcc_lo, v22, s12
	v_add_co_ci_u32_e32 v23, vcc_lo, 0, v23, vcc_lo
	s_or_b32 s0, s0, s3
	s_add_u32 s10, s10, s2
	s_addc_u32 s11, s11, 0
	s_and_b32 vcc_lo, exec_lo, s0
	s_cbranch_vccnz .LBB229_25
.LBB229_9:                              ; =>This Inner Loop Header: Depth=1
	v_cmp_gt_i64_e32 vcc_lo, s[4:5], v[0:1]
	v_cmp_gt_u64_e64 s0, 0x10000, v[0:1]
	s_delay_alu instid0(VALU_DEP_1) | instskip(NEXT) | instid1(SALU_CYCLE_1)
	s_and_b32 s3, vcc_lo, s0
	s_and_saveexec_b32 s0, s3
	s_cbranch_execz .LBB229_11
; %bb.10:                               ;   in Loop: Header=BB229_9 Depth=1
	v_add_co_u32 v2, vcc_lo, v8, s8
	v_add_co_ci_u32_e32 v3, vcc_lo, s9, v9, vcc_lo
	global_load_u16 v27, v[2:3], off
.LBB229_11:                             ;   in Loop: Header=BB229_9 Depth=1
	s_or_b32 exec_lo, exec_lo, s0
	v_add_co_u32 v2, vcc_lo, s1, v0
	v_add_co_ci_u32_e32 v3, vcc_lo, 0, v1, vcc_lo
	s_delay_alu instid0(VALU_DEP_1) | instskip(SKIP_1) | instid1(VALU_DEP_1)
	v_cmp_gt_i64_e32 vcc_lo, s[4:5], v[2:3]
	v_cmp_gt_u64_e64 s0, 0x10000, v[2:3]
	s_and_b32 s3, vcc_lo, s0
	s_delay_alu instid0(SALU_CYCLE_1)
	s_and_saveexec_b32 s0, s3
	s_cbranch_execz .LBB229_13
; %bb.12:                               ;   in Loop: Header=BB229_9 Depth=1
	v_add_co_u32 v4, vcc_lo, v20, s8
	v_add_co_ci_u32_e32 v5, vcc_lo, s9, v21, vcc_lo
	global_load_u16 v26, v[4:5], off
.LBB229_13:                             ;   in Loop: Header=BB229_9 Depth=1
	s_or_b32 exec_lo, exec_lo, s0
	v_add_co_u32 v4, vcc_lo, s14, v0
	v_add_co_ci_u32_e32 v5, vcc_lo, 0, v1, vcc_lo
	s_delay_alu instid0(VALU_DEP_1) | instskip(SKIP_1) | instid1(VALU_DEP_1)
	v_cmp_gt_i64_e32 vcc_lo, s[4:5], v[4:5]
	v_cmp_gt_u64_e64 s0, 0x10000, v[4:5]
	s_and_b32 s3, vcc_lo, s0
	s_delay_alu instid0(SALU_CYCLE_1)
	s_and_saveexec_b32 s0, s3
	s_cbranch_execz .LBB229_15
; %bb.14:                               ;   in Loop: Header=BB229_9 Depth=1
	v_add_co_u32 v6, vcc_lo, v16, s8
	v_add_co_ci_u32_e32 v7, vcc_lo, s9, v17, vcc_lo
	global_load_u16 v25, v[6:7], off
.LBB229_15:                             ;   in Loop: Header=BB229_9 Depth=1
	s_or_b32 exec_lo, exec_lo, s0
	v_add_co_u32 v6, vcc_lo, s15, v0
	v_add_co_ci_u32_e32 v7, vcc_lo, 0, v1, vcc_lo
	s_delay_alu instid0(VALU_DEP_1) | instskip(SKIP_1) | instid1(VALU_DEP_1)
	v_cmp_gt_i64_e32 vcc_lo, s[4:5], v[6:7]
	v_cmp_gt_u64_e64 s0, 0x10000, v[6:7]
	s_and_b32 s3, vcc_lo, s0
	s_delay_alu instid0(SALU_CYCLE_1)
	s_and_saveexec_b32 s0, s3
	s_cbranch_execnz .LBB229_20
; %bb.16:                               ;   in Loop: Header=BB229_9 Depth=1
	s_or_b32 exec_lo, exec_lo, s0
	s_delay_alu instid0(SALU_CYCLE_1)
	s_mov_b32 s0, exec_lo
	v_cmpx_gt_u64_e64 s[6:7], v[0:1]
	s_cbranch_execnz .LBB229_21
.LBB229_17:                             ;   in Loop: Header=BB229_9 Depth=1
	s_or_b32 exec_lo, exec_lo, s0
	s_delay_alu instid0(SALU_CYCLE_1)
	s_mov_b32 s0, exec_lo
	v_cmpx_gt_u64_e64 s[6:7], v[2:3]
	s_cbranch_execnz .LBB229_22
.LBB229_18:                             ;   in Loop: Header=BB229_9 Depth=1
	s_or_b32 exec_lo, exec_lo, s0
	s_delay_alu instid0(SALU_CYCLE_1)
	s_mov_b32 s0, exec_lo
	v_cmpx_gt_u64_e64 s[6:7], v[4:5]
	s_cbranch_execnz .LBB229_23
.LBB229_19:                             ;   in Loop: Header=BB229_9 Depth=1
	s_or_b32 exec_lo, exec_lo, s0
	s_delay_alu instid0(SALU_CYCLE_1)
	s_mov_b32 s0, exec_lo
	v_cmpx_gt_u64_e64 s[6:7], v[6:7]
	s_cbranch_execz .LBB229_8
	s_branch .LBB229_24
.LBB229_20:                             ;   in Loop: Header=BB229_9 Depth=1
	v_add_co_u32 v28, vcc_lo, v12, s8
	v_add_co_ci_u32_e32 v29, vcc_lo, s9, v13, vcc_lo
	global_load_u16 v24, v[28:29], off
	s_or_b32 exec_lo, exec_lo, s0
	s_delay_alu instid0(SALU_CYCLE_1)
	s_mov_b32 s0, exec_lo
	v_cmpx_gt_u64_e64 s[6:7], v[0:1]
	s_cbranch_execz .LBB229_17
.LBB229_21:                             ;   in Loop: Header=BB229_9 Depth=1
	v_add_co_u32 v28, vcc_lo, v10, s8
	v_add_co_ci_u32_e32 v29, vcc_lo, s9, v11, vcc_lo
	s_waitcnt vmcnt(0)
	v_cvt_i16_f16_e32 v30, v27
	global_store_b16 v[28:29], v30, off
	s_or_b32 exec_lo, exec_lo, s0
	s_delay_alu instid0(SALU_CYCLE_1)
	s_mov_b32 s0, exec_lo
	v_cmpx_gt_u64_e64 s[6:7], v[2:3]
	s_cbranch_execz .LBB229_18
.LBB229_22:                             ;   in Loop: Header=BB229_9 Depth=1
	v_add_co_u32 v2, vcc_lo, v22, s8
	s_waitcnt vmcnt(0)
	v_cvt_i16_f16_e32 v28, v26
	v_add_co_ci_u32_e32 v3, vcc_lo, s9, v23, vcc_lo
	global_store_b16 v[2:3], v28, off
	s_or_b32 exec_lo, exec_lo, s0
	s_delay_alu instid0(SALU_CYCLE_1)
	s_mov_b32 s0, exec_lo
	v_cmpx_gt_u64_e64 s[6:7], v[4:5]
	s_cbranch_execz .LBB229_19
.LBB229_23:                             ;   in Loop: Header=BB229_9 Depth=1
	v_add_co_u32 v2, vcc_lo, v18, s8
	s_waitcnt vmcnt(0)
	v_cvt_i16_f16_e32 v4, v25
	v_add_co_ci_u32_e32 v3, vcc_lo, s9, v19, vcc_lo
	global_store_b16 v[2:3], v4, off
	s_or_b32 exec_lo, exec_lo, s0
	s_delay_alu instid0(SALU_CYCLE_1)
	s_mov_b32 s0, exec_lo
	v_cmpx_gt_u64_e64 s[6:7], v[6:7]
	s_cbranch_execz .LBB229_8
.LBB229_24:                             ;   in Loop: Header=BB229_9 Depth=1
	v_add_co_u32 v2, vcc_lo, v14, s8
	s_waitcnt vmcnt(0)
	v_cvt_i16_f16_e32 v4, v24
	v_add_co_ci_u32_e32 v3, vcc_lo, s9, v15, vcc_lo
	global_store_b16 v[2:3], v4, off
	s_branch .LBB229_8
.LBB229_25:
	s_nop 0
	s_sendmsg sendmsg(MSG_DEALLOC_VGPRS)
	s_endpgm
	.section	.rodata,"a",@progbits
	.p2align	6, 0x0
	.amdhsa_kernel _ZN2at6native12_GLOBAL__N_125multi_tensor_apply_kernelINS1_18TensorListMetadataILi2EEENS1_11CopyFunctorIsN3c104HalfELi2ELi1ELi1EEEJNS0_4CopyIsS7_EEEEEvT_T0_DpT1_
		.amdhsa_group_segment_fixed_size 0
		.amdhsa_private_segment_fixed_size 0
		.amdhsa_kernarg_size 3408
		.amdhsa_user_sgpr_count 15
		.amdhsa_user_sgpr_dispatch_ptr 0
		.amdhsa_user_sgpr_queue_ptr 0
		.amdhsa_user_sgpr_kernarg_segment_ptr 1
		.amdhsa_user_sgpr_dispatch_id 0
		.amdhsa_user_sgpr_private_segment_size 0
		.amdhsa_wavefront_size32 1
		.amdhsa_uses_dynamic_stack 0
		.amdhsa_enable_private_segment 0
		.amdhsa_system_sgpr_workgroup_id_x 1
		.amdhsa_system_sgpr_workgroup_id_y 0
		.amdhsa_system_sgpr_workgroup_id_z 0
		.amdhsa_system_sgpr_workgroup_info 0
		.amdhsa_system_vgpr_workitem_id 0
		.amdhsa_next_free_vgpr 31
		.amdhsa_next_free_sgpr 16
		.amdhsa_reserve_vcc 1
		.amdhsa_float_round_mode_32 0
		.amdhsa_float_round_mode_16_64 0
		.amdhsa_float_denorm_mode_32 3
		.amdhsa_float_denorm_mode_16_64 3
		.amdhsa_dx10_clamp 1
		.amdhsa_ieee_mode 1
		.amdhsa_fp16_overflow 0
		.amdhsa_workgroup_processor_mode 1
		.amdhsa_memory_ordered 1
		.amdhsa_forward_progress 0
		.amdhsa_shared_vgpr_count 0
		.amdhsa_exception_fp_ieee_invalid_op 0
		.amdhsa_exception_fp_denorm_src 0
		.amdhsa_exception_fp_ieee_div_zero 0
		.amdhsa_exception_fp_ieee_overflow 0
		.amdhsa_exception_fp_ieee_underflow 0
		.amdhsa_exception_fp_ieee_inexact 0
		.amdhsa_exception_int_div_zero 0
	.end_amdhsa_kernel
	.section	.text._ZN2at6native12_GLOBAL__N_125multi_tensor_apply_kernelINS1_18TensorListMetadataILi2EEENS1_11CopyFunctorIsN3c104HalfELi2ELi1ELi1EEEJNS0_4CopyIsS7_EEEEEvT_T0_DpT1_,"axG",@progbits,_ZN2at6native12_GLOBAL__N_125multi_tensor_apply_kernelINS1_18TensorListMetadataILi2EEENS1_11CopyFunctorIsN3c104HalfELi2ELi1ELi1EEEJNS0_4CopyIsS7_EEEEEvT_T0_DpT1_,comdat
.Lfunc_end229:
	.size	_ZN2at6native12_GLOBAL__N_125multi_tensor_apply_kernelINS1_18TensorListMetadataILi2EEENS1_11CopyFunctorIsN3c104HalfELi2ELi1ELi1EEEJNS0_4CopyIsS7_EEEEEvT_T0_DpT1_, .Lfunc_end229-_ZN2at6native12_GLOBAL__N_125multi_tensor_apply_kernelINS1_18TensorListMetadataILi2EEENS1_11CopyFunctorIsN3c104HalfELi2ELi1ELi1EEEJNS0_4CopyIsS7_EEEEEvT_T0_DpT1_
                                        ; -- End function
	.section	.AMDGPU.csdata,"",@progbits
; Kernel info:
; codeLenInByte = 1468
; NumSgprs: 18
; NumVgprs: 31
; ScratchSize: 0
; MemoryBound: 0
; FloatMode: 240
; IeeeMode: 1
; LDSByteSize: 0 bytes/workgroup (compile time only)
; SGPRBlocks: 2
; VGPRBlocks: 3
; NumSGPRsForWavesPerEU: 18
; NumVGPRsForWavesPerEU: 31
; Occupancy: 16
; WaveLimiterHint : 0
; COMPUTE_PGM_RSRC2:SCRATCH_EN: 0
; COMPUTE_PGM_RSRC2:USER_SGPR: 15
; COMPUTE_PGM_RSRC2:TRAP_HANDLER: 0
; COMPUTE_PGM_RSRC2:TGID_X_EN: 1
; COMPUTE_PGM_RSRC2:TGID_Y_EN: 0
; COMPUTE_PGM_RSRC2:TGID_Z_EN: 0
; COMPUTE_PGM_RSRC2:TIDIG_COMP_CNT: 0
	.section	.text._ZN2at6native12_GLOBAL__N_125multi_tensor_apply_kernelINS1_18TensorListMetadataILi2EEENS1_11CopyFunctorIsN3c108BFloat16ELi2ELi1ELi1EEEJNS0_4CopyIsS7_EEEEEvT_T0_DpT1_,"axG",@progbits,_ZN2at6native12_GLOBAL__N_125multi_tensor_apply_kernelINS1_18TensorListMetadataILi2EEENS1_11CopyFunctorIsN3c108BFloat16ELi2ELi1ELi1EEEJNS0_4CopyIsS7_EEEEEvT_T0_DpT1_,comdat
	.globl	_ZN2at6native12_GLOBAL__N_125multi_tensor_apply_kernelINS1_18TensorListMetadataILi2EEENS1_11CopyFunctorIsN3c108BFloat16ELi2ELi1ELi1EEEJNS0_4CopyIsS7_EEEEEvT_T0_DpT1_ ; -- Begin function _ZN2at6native12_GLOBAL__N_125multi_tensor_apply_kernelINS1_18TensorListMetadataILi2EEENS1_11CopyFunctorIsN3c108BFloat16ELi2ELi1ELi1EEEJNS0_4CopyIsS7_EEEEEvT_T0_DpT1_
	.p2align	8
	.type	_ZN2at6native12_GLOBAL__N_125multi_tensor_apply_kernelINS1_18TensorListMetadataILi2EEENS1_11CopyFunctorIsN3c108BFloat16ELi2ELi1ELi1EEEJNS0_4CopyIsS7_EEEEEvT_T0_DpT1_,@function
_ZN2at6native12_GLOBAL__N_125multi_tensor_apply_kernelINS1_18TensorListMetadataILi2EEENS1_11CopyFunctorIsN3c108BFloat16ELi2ELi1ELi1EEEJNS0_4CopyIsS7_EEEEEvT_T0_DpT1_: ; @_ZN2at6native12_GLOBAL__N_125multi_tensor_apply_kernelINS1_18TensorListMetadataILi2EEENS1_11CopyFunctorIsN3c108BFloat16ELi2ELi1ELi1EEEJNS0_4CopyIsS7_EEEEEvT_T0_DpT1_
; %bb.0:
	v_mov_b32_e32 v1, s15
	s_add_u32 s2, s0, s15
	s_mul_hi_u32 s3, s15, 3
	s_mul_i32 s15, s15, 3
	s_addc_u32 s4, s1, 0
	global_load_u8 v1, v1, s[0:1] offset:1536
	s_add_u32 s2, s2, s15
	s_addc_u32 s3, s4, s3
	s_load_b32 s8, s[2:3], 0x740
	s_waitcnt lgkmcnt(0)
	s_ashr_i32 s9, s8, 31
	s_waitcnt vmcnt(0)
	v_readfirstlane_b32 s4, v1
	s_delay_alu instid0(VALU_DEP_1)
	s_lshl_b32 s2, s4, 3
	s_lshl_b64 s[4:5], s[8:9], 16
	s_clause 0x2
	s_load_b64 s[10:11], s[0:1], s2 offset:0x200
	s_load_b64 s[12:13], s[0:1], s2 offset:0x0
	s_load_b64 s[2:3], s[0:1], s2 offset:0x400
	s_lshl_b32 s6, s4, 1
	s_waitcnt lgkmcnt(0)
	s_add_i32 s7, s10, s6
	s_add_i32 s6, s12, s6
	s_and_b32 s7, s7, 7
	s_and_b32 s14, s2, 3
	;; [unrolled: 1-line block ×3, first 2 shown]
	s_or_b32 s14, s14, s7
	s_mov_b32 s7, 0
	s_or_b32 s6, s14, s6
	s_sub_u32 s4, s2, s4
	s_subb_u32 s5, s3, s5
	s_cmp_eq_u64 s[6:7], 0
	s_mov_b32 s2, -1
	s_cbranch_scc0 .LBB230_5
; %bb.1:
	v_dual_mov_b32 v2, 0 :: v_dual_lshlrev_b32 v1, 2, v0
	s_mov_b32 s6, exec_lo
	s_delay_alu instid0(VALU_DEP_1)
	v_cmpx_gt_i64_e64 s[4:5], v[1:2]
	s_cbranch_execz .LBB230_4
; %bb.2:
	s_load_b32 s7, s[0:1], 0xc5c
	s_lshl_b64 s[2:3], s[8:9], 17
	s_mov_b32 s14, 0
	v_lshl_or_b32 v3, v0, 3, s2
	v_mov_b32_e32 v4, s3
	s_waitcnt lgkmcnt(0)
	s_and_b32 s15, s7, 0xffff
	s_delay_alu instid0(SALU_CYCLE_1)
	v_add_lshl_u32 v1, v0, s15, 2
	s_lshl_b32 s7, s15, 3
	s_lshl_b32 s15, s15, 2
	s_set_inst_prefetch_distance 0x1
	.p2align	6
.LBB230_3:                              ; =>This Inner Loop Header: Depth=1
	v_add_co_u32 v5, vcc_lo, s12, v3
	v_add_co_ci_u32_e32 v6, vcc_lo, s13, v4, vcc_lo
	v_add_co_u32 v7, vcc_lo, s10, v3
	v_add_co_ci_u32_e32 v8, vcc_lo, s11, v4, vcc_lo
	global_load_b64 v[5:6], v[5:6], off
	v_cmp_le_i64_e32 vcc_lo, s[4:5], v[1:2]
	v_cmp_lt_u64_e64 s2, 0xffff, v[1:2]
	v_add_co_u32 v3, s3, v3, s7
	s_delay_alu instid0(VALU_DEP_1) | instskip(SKIP_1) | instid1(VALU_DEP_4)
	v_add_co_ci_u32_e64 v4, s3, 0, v4, s3
	v_add_co_u32 v1, s3, v1, s15
	s_or_b32 s2, vcc_lo, s2
	v_add_co_ci_u32_e64 v2, s3, 0, v2, s3
	s_and_b32 s2, exec_lo, s2
	s_delay_alu instid0(SALU_CYCLE_1)
	s_or_b32 s14, s2, s14
	s_waitcnt vmcnt(0)
	v_alignbit_b32 v9, v6, v5, 16
	v_and_b32_e32 v10, 0xffff0000, v5
	v_lshlrev_b32_e32 v5, 16, v5
	v_and_b32_e32 v6, 0xffff0000, v6
	s_delay_alu instid0(VALU_DEP_4) | instskip(NEXT) | instid1(VALU_DEP_4)
	v_and_b32_e32 v9, 0xffff0000, v9
	v_cvt_i32_f32_e32 v10, v10
	s_delay_alu instid0(VALU_DEP_4) | instskip(NEXT) | instid1(VALU_DEP_4)
	v_cvt_i32_f32_e32 v5, v5
	v_cvt_i32_f32_e32 v6, v6
	s_delay_alu instid0(VALU_DEP_4) | instskip(NEXT) | instid1(VALU_DEP_3)
	v_cvt_i32_f32_e32 v9, v9
	v_perm_b32 v5, v10, v5, 0x5040100
	s_delay_alu instid0(VALU_DEP_2)
	v_perm_b32 v6, v6, v9, 0x5040100
	global_store_b64 v[7:8], v[5:6], off
	s_and_not1_b32 exec_lo, exec_lo, s14
	s_cbranch_execnz .LBB230_3
.LBB230_4:
	s_set_inst_prefetch_distance 0x2
	s_or_b32 exec_lo, exec_lo, s6
	s_mov_b32 s2, 0
.LBB230_5:
	s_delay_alu instid0(SALU_CYCLE_1)
	s_and_not1_b32 vcc_lo, exec_lo, s2
	s_cbranch_vccnz .LBB230_25
; %bb.6:
	v_cmp_lt_i64_e64 s2, s[4:5], 1
	s_delay_alu instid0(VALU_DEP_1)
	s_and_b32 vcc_lo, exec_lo, s2
	s_cbranch_vccnz .LBB230_25
; %bb.7:
	s_load_b32 s0, s[0:1], 0xc5c
	v_dual_mov_b32 v1, 0 :: v_dual_lshlrev_b32 v2, 1, v0
	v_cmp_gt_u64_e64 s2, 0x10000, s[4:5]
	s_mov_b32 s3, 0
                                        ; implicit-def: $vgpr24
                                        ; implicit-def: $vgpr25
                                        ; implicit-def: $vgpr26
                                        ; implicit-def: $vgpr27
	s_delay_alu instid0(VALU_DEP_2) | instskip(NEXT) | instid1(VALU_DEP_3)
	v_mov_b32_e32 v3, v1
	v_add_co_u32 v8, s1, s12, v2
	s_delay_alu instid0(VALU_DEP_1) | instskip(SKIP_1) | instid1(VALU_DEP_1)
	v_add_co_ci_u32_e64 v9, null, s13, 0, s1
	v_add_co_u32 v10, s1, s10, v2
	v_add_co_ci_u32_e64 v11, null, s11, 0, s1
	s_waitcnt lgkmcnt(0)
	s_and_b32 s1, s0, 0xffff
	s_and_b32 s0, s2, exec_lo
	v_mad_u64_u32 v[4:5], null, s1, 6, v[2:3]
	s_cselect_b32 s7, s5, 0
	s_cselect_b32 s6, s4, 0x10000
	s_lshl_b32 s2, s1, 2
	s_lshl_b32 s14, s1, 1
	v_add_co_u32 v2, s0, s2, v2
	s_delay_alu instid0(VALU_DEP_2) | instskip(NEXT) | instid1(VALU_DEP_3)
	v_add_co_u32 v12, vcc_lo, s12, v4
	v_add_co_ci_u32_e32 v13, vcc_lo, s13, v5, vcc_lo
	v_add_co_u32 v14, vcc_lo, s10, v4
	v_add_lshl_u32 v4, v0, s1, 1
	v_add_co_ci_u32_e64 v3, null, 0, 0, s0
	v_add_co_ci_u32_e32 v15, vcc_lo, s11, v5, vcc_lo
	v_add_co_u32 v16, vcc_lo, s12, v2
	s_delay_alu instid0(VALU_DEP_4) | instskip(NEXT) | instid1(VALU_DEP_4)
	v_add_co_u32 v20, s0, s12, v4
	v_add_co_ci_u32_e32 v17, vcc_lo, s13, v3, vcc_lo
	v_add_co_u32 v18, vcc_lo, s10, v2
	v_add_co_ci_u32_e64 v21, null, s13, 0, s0
	v_add_co_u32 v22, s0, s10, v4
	v_add_co_ci_u32_e32 v19, vcc_lo, s11, v3, vcc_lo
	v_add_co_ci_u32_e64 v23, null, s11, 0, s0
	s_mul_i32 s15, s1, 3
	s_lshl_b64 s[8:9], s[8:9], 17
	s_lshl_b32 s12, s1, 3
	s_mov_b64 s[10:11], s[2:3]
	s_branch .LBB230_9
.LBB230_8:                              ;   in Loop: Header=BB230_9 Depth=1
	s_or_b32 exec_lo, exec_lo, s0
	v_add_co_u32 v8, vcc_lo, v8, s12
	v_add_co_ci_u32_e32 v9, vcc_lo, 0, v9, vcc_lo
	v_add_co_u32 v10, vcc_lo, v10, s12
	v_add_co_ci_u32_e32 v11, vcc_lo, 0, v11, vcc_lo
	;; [unrolled: 2-line block ×7, first 2 shown]
	v_cmp_ge_i64_e64 s0, s[10:11], s[4:5]
	v_cmp_lt_u64_e64 s3, 0xffff, s[10:11]
	v_add_co_u32 v20, vcc_lo, v20, s12
	v_add_co_ci_u32_e32 v21, vcc_lo, 0, v21, vcc_lo
	v_add_co_u32 v22, vcc_lo, v22, s12
	v_add_co_ci_u32_e32 v23, vcc_lo, 0, v23, vcc_lo
	s_or_b32 s0, s0, s3
	s_add_u32 s10, s10, s2
	s_addc_u32 s11, s11, 0
	s_and_b32 vcc_lo, exec_lo, s0
	s_cbranch_vccnz .LBB230_25
.LBB230_9:                              ; =>This Inner Loop Header: Depth=1
	v_cmp_gt_i64_e32 vcc_lo, s[4:5], v[0:1]
	v_cmp_gt_u64_e64 s0, 0x10000, v[0:1]
	s_delay_alu instid0(VALU_DEP_1) | instskip(NEXT) | instid1(SALU_CYCLE_1)
	s_and_b32 s3, vcc_lo, s0
	s_and_saveexec_b32 s0, s3
	s_cbranch_execz .LBB230_11
; %bb.10:                               ;   in Loop: Header=BB230_9 Depth=1
	v_add_co_u32 v2, vcc_lo, v8, s8
	v_add_co_ci_u32_e32 v3, vcc_lo, s9, v9, vcc_lo
	global_load_u16 v27, v[2:3], off
.LBB230_11:                             ;   in Loop: Header=BB230_9 Depth=1
	s_or_b32 exec_lo, exec_lo, s0
	v_add_co_u32 v2, vcc_lo, s1, v0
	v_add_co_ci_u32_e32 v3, vcc_lo, 0, v1, vcc_lo
	s_delay_alu instid0(VALU_DEP_1) | instskip(SKIP_1) | instid1(VALU_DEP_1)
	v_cmp_gt_i64_e32 vcc_lo, s[4:5], v[2:3]
	v_cmp_gt_u64_e64 s0, 0x10000, v[2:3]
	s_and_b32 s3, vcc_lo, s0
	s_delay_alu instid0(SALU_CYCLE_1)
	s_and_saveexec_b32 s0, s3
	s_cbranch_execz .LBB230_13
; %bb.12:                               ;   in Loop: Header=BB230_9 Depth=1
	v_add_co_u32 v4, vcc_lo, v20, s8
	v_add_co_ci_u32_e32 v5, vcc_lo, s9, v21, vcc_lo
	global_load_u16 v26, v[4:5], off
.LBB230_13:                             ;   in Loop: Header=BB230_9 Depth=1
	s_or_b32 exec_lo, exec_lo, s0
	v_add_co_u32 v4, vcc_lo, s14, v0
	v_add_co_ci_u32_e32 v5, vcc_lo, 0, v1, vcc_lo
	s_delay_alu instid0(VALU_DEP_1) | instskip(SKIP_1) | instid1(VALU_DEP_1)
	v_cmp_gt_i64_e32 vcc_lo, s[4:5], v[4:5]
	v_cmp_gt_u64_e64 s0, 0x10000, v[4:5]
	s_and_b32 s3, vcc_lo, s0
	s_delay_alu instid0(SALU_CYCLE_1)
	;; [unrolled: 15-line block ×3, first 2 shown]
	s_and_saveexec_b32 s0, s3
	s_cbranch_execnz .LBB230_20
; %bb.16:                               ;   in Loop: Header=BB230_9 Depth=1
	s_or_b32 exec_lo, exec_lo, s0
	s_delay_alu instid0(SALU_CYCLE_1)
	s_mov_b32 s0, exec_lo
	v_cmpx_gt_u64_e64 s[6:7], v[0:1]
	s_cbranch_execnz .LBB230_21
.LBB230_17:                             ;   in Loop: Header=BB230_9 Depth=1
	s_or_b32 exec_lo, exec_lo, s0
	s_delay_alu instid0(SALU_CYCLE_1)
	s_mov_b32 s0, exec_lo
	v_cmpx_gt_u64_e64 s[6:7], v[2:3]
	s_cbranch_execnz .LBB230_22
.LBB230_18:                             ;   in Loop: Header=BB230_9 Depth=1
	s_or_b32 exec_lo, exec_lo, s0
	s_delay_alu instid0(SALU_CYCLE_1)
	s_mov_b32 s0, exec_lo
	v_cmpx_gt_u64_e64 s[6:7], v[4:5]
	s_cbranch_execnz .LBB230_23
.LBB230_19:                             ;   in Loop: Header=BB230_9 Depth=1
	s_or_b32 exec_lo, exec_lo, s0
	s_delay_alu instid0(SALU_CYCLE_1)
	s_mov_b32 s0, exec_lo
	v_cmpx_gt_u64_e64 s[6:7], v[6:7]
	s_cbranch_execz .LBB230_8
	s_branch .LBB230_24
.LBB230_20:                             ;   in Loop: Header=BB230_9 Depth=1
	v_add_co_u32 v28, vcc_lo, v12, s8
	v_add_co_ci_u32_e32 v29, vcc_lo, s9, v13, vcc_lo
	global_load_u16 v24, v[28:29], off
	s_or_b32 exec_lo, exec_lo, s0
	s_delay_alu instid0(SALU_CYCLE_1)
	s_mov_b32 s0, exec_lo
	v_cmpx_gt_u64_e64 s[6:7], v[0:1]
	s_cbranch_execz .LBB230_17
.LBB230_21:                             ;   in Loop: Header=BB230_9 Depth=1
	s_waitcnt vmcnt(0)
	v_lshlrev_b32_e32 v30, 16, v27
	v_add_co_u32 v28, vcc_lo, v10, s8
	v_add_co_ci_u32_e32 v29, vcc_lo, s9, v11, vcc_lo
	s_delay_alu instid0(VALU_DEP_3) | instskip(SKIP_2) | instid1(SALU_CYCLE_1)
	v_cvt_i32_f32_e32 v30, v30
	global_store_b16 v[28:29], v30, off
	s_or_b32 exec_lo, exec_lo, s0
	s_mov_b32 s0, exec_lo
	v_cmpx_gt_u64_e64 s[6:7], v[2:3]
	s_cbranch_execz .LBB230_18
.LBB230_22:                             ;   in Loop: Header=BB230_9 Depth=1
	s_waitcnt vmcnt(0)
	v_lshlrev_b32_e32 v2, 16, v26
	s_delay_alu instid0(VALU_DEP_1) | instskip(SKIP_4) | instid1(SALU_CYCLE_1)
	v_cvt_i32_f32_e32 v28, v2
	v_add_co_u32 v2, vcc_lo, v22, s8
	v_add_co_ci_u32_e32 v3, vcc_lo, s9, v23, vcc_lo
	global_store_b16 v[2:3], v28, off
	s_or_b32 exec_lo, exec_lo, s0
	s_mov_b32 s0, exec_lo
	v_cmpx_gt_u64_e64 s[6:7], v[4:5]
	s_cbranch_execz .LBB230_19
.LBB230_23:                             ;   in Loop: Header=BB230_9 Depth=1
	s_waitcnt vmcnt(0)
	v_lshlrev_b32_e32 v2, 16, v25
	s_delay_alu instid0(VALU_DEP_1) | instskip(SKIP_4) | instid1(SALU_CYCLE_1)
	v_cvt_i32_f32_e32 v4, v2
	v_add_co_u32 v2, vcc_lo, v18, s8
	v_add_co_ci_u32_e32 v3, vcc_lo, s9, v19, vcc_lo
	global_store_b16 v[2:3], v4, off
	s_or_b32 exec_lo, exec_lo, s0
	s_mov_b32 s0, exec_lo
	v_cmpx_gt_u64_e64 s[6:7], v[6:7]
	s_cbranch_execz .LBB230_8
.LBB230_24:                             ;   in Loop: Header=BB230_9 Depth=1
	s_waitcnt vmcnt(0)
	v_lshlrev_b32_e32 v2, 16, v24
	s_delay_alu instid0(VALU_DEP_1)
	v_cvt_i32_f32_e32 v4, v2
	v_add_co_u32 v2, vcc_lo, v14, s8
	v_add_co_ci_u32_e32 v3, vcc_lo, s9, v15, vcc_lo
	global_store_b16 v[2:3], v4, off
	s_branch .LBB230_8
.LBB230_25:
	s_nop 0
	s_sendmsg sendmsg(MSG_DEALLOC_VGPRS)
	s_endpgm
	.section	.rodata,"a",@progbits
	.p2align	6, 0x0
	.amdhsa_kernel _ZN2at6native12_GLOBAL__N_125multi_tensor_apply_kernelINS1_18TensorListMetadataILi2EEENS1_11CopyFunctorIsN3c108BFloat16ELi2ELi1ELi1EEEJNS0_4CopyIsS7_EEEEEvT_T0_DpT1_
		.amdhsa_group_segment_fixed_size 0
		.amdhsa_private_segment_fixed_size 0
		.amdhsa_kernarg_size 3408
		.amdhsa_user_sgpr_count 15
		.amdhsa_user_sgpr_dispatch_ptr 0
		.amdhsa_user_sgpr_queue_ptr 0
		.amdhsa_user_sgpr_kernarg_segment_ptr 1
		.amdhsa_user_sgpr_dispatch_id 0
		.amdhsa_user_sgpr_private_segment_size 0
		.amdhsa_wavefront_size32 1
		.amdhsa_uses_dynamic_stack 0
		.amdhsa_enable_private_segment 0
		.amdhsa_system_sgpr_workgroup_id_x 1
		.amdhsa_system_sgpr_workgroup_id_y 0
		.amdhsa_system_sgpr_workgroup_id_z 0
		.amdhsa_system_sgpr_workgroup_info 0
		.amdhsa_system_vgpr_workitem_id 0
		.amdhsa_next_free_vgpr 31
		.amdhsa_next_free_sgpr 16
		.amdhsa_reserve_vcc 1
		.amdhsa_float_round_mode_32 0
		.amdhsa_float_round_mode_16_64 0
		.amdhsa_float_denorm_mode_32 3
		.amdhsa_float_denorm_mode_16_64 3
		.amdhsa_dx10_clamp 1
		.amdhsa_ieee_mode 1
		.amdhsa_fp16_overflow 0
		.amdhsa_workgroup_processor_mode 1
		.amdhsa_memory_ordered 1
		.amdhsa_forward_progress 0
		.amdhsa_shared_vgpr_count 0
		.amdhsa_exception_fp_ieee_invalid_op 0
		.amdhsa_exception_fp_denorm_src 0
		.amdhsa_exception_fp_ieee_div_zero 0
		.amdhsa_exception_fp_ieee_overflow 0
		.amdhsa_exception_fp_ieee_underflow 0
		.amdhsa_exception_fp_ieee_inexact 0
		.amdhsa_exception_int_div_zero 0
	.end_amdhsa_kernel
	.section	.text._ZN2at6native12_GLOBAL__N_125multi_tensor_apply_kernelINS1_18TensorListMetadataILi2EEENS1_11CopyFunctorIsN3c108BFloat16ELi2ELi1ELi1EEEJNS0_4CopyIsS7_EEEEEvT_T0_DpT1_,"axG",@progbits,_ZN2at6native12_GLOBAL__N_125multi_tensor_apply_kernelINS1_18TensorListMetadataILi2EEENS1_11CopyFunctorIsN3c108BFloat16ELi2ELi1ELi1EEEJNS0_4CopyIsS7_EEEEEvT_T0_DpT1_,comdat
.Lfunc_end230:
	.size	_ZN2at6native12_GLOBAL__N_125multi_tensor_apply_kernelINS1_18TensorListMetadataILi2EEENS1_11CopyFunctorIsN3c108BFloat16ELi2ELi1ELi1EEEJNS0_4CopyIsS7_EEEEEvT_T0_DpT1_, .Lfunc_end230-_ZN2at6native12_GLOBAL__N_125multi_tensor_apply_kernelINS1_18TensorListMetadataILi2EEENS1_11CopyFunctorIsN3c108BFloat16ELi2ELi1ELi1EEEJNS0_4CopyIsS7_EEEEEvT_T0_DpT1_
                                        ; -- End function
	.section	.AMDGPU.csdata,"",@progbits
; Kernel info:
; codeLenInByte = 1524
; NumSgprs: 18
; NumVgprs: 31
; ScratchSize: 0
; MemoryBound: 0
; FloatMode: 240
; IeeeMode: 1
; LDSByteSize: 0 bytes/workgroup (compile time only)
; SGPRBlocks: 2
; VGPRBlocks: 3
; NumSGPRsForWavesPerEU: 18
; NumVGPRsForWavesPerEU: 31
; Occupancy: 16
; WaveLimiterHint : 0
; COMPUTE_PGM_RSRC2:SCRATCH_EN: 0
; COMPUTE_PGM_RSRC2:USER_SGPR: 15
; COMPUTE_PGM_RSRC2:TRAP_HANDLER: 0
; COMPUTE_PGM_RSRC2:TGID_X_EN: 1
; COMPUTE_PGM_RSRC2:TGID_Y_EN: 0
; COMPUTE_PGM_RSRC2:TGID_Z_EN: 0
; COMPUTE_PGM_RSRC2:TIDIG_COMP_CNT: 0
	.section	.text._ZN2at6native12_GLOBAL__N_125multi_tensor_apply_kernelINS1_18TensorListMetadataILi2EEENS1_11CopyFunctorIsbLi2ELi1ELi1EEEJNS0_4CopyIsbEEEEEvT_T0_DpT1_,"axG",@progbits,_ZN2at6native12_GLOBAL__N_125multi_tensor_apply_kernelINS1_18TensorListMetadataILi2EEENS1_11CopyFunctorIsbLi2ELi1ELi1EEEJNS0_4CopyIsbEEEEEvT_T0_DpT1_,comdat
	.globl	_ZN2at6native12_GLOBAL__N_125multi_tensor_apply_kernelINS1_18TensorListMetadataILi2EEENS1_11CopyFunctorIsbLi2ELi1ELi1EEEJNS0_4CopyIsbEEEEEvT_T0_DpT1_ ; -- Begin function _ZN2at6native12_GLOBAL__N_125multi_tensor_apply_kernelINS1_18TensorListMetadataILi2EEENS1_11CopyFunctorIsbLi2ELi1ELi1EEEJNS0_4CopyIsbEEEEEvT_T0_DpT1_
	.p2align	8
	.type	_ZN2at6native12_GLOBAL__N_125multi_tensor_apply_kernelINS1_18TensorListMetadataILi2EEENS1_11CopyFunctorIsbLi2ELi1ELi1EEEJNS0_4CopyIsbEEEEEvT_T0_DpT1_,@function
_ZN2at6native12_GLOBAL__N_125multi_tensor_apply_kernelINS1_18TensorListMetadataILi2EEENS1_11CopyFunctorIsbLi2ELi1ELi1EEEJNS0_4CopyIsbEEEEEvT_T0_DpT1_: ; @_ZN2at6native12_GLOBAL__N_125multi_tensor_apply_kernelINS1_18TensorListMetadataILi2EEENS1_11CopyFunctorIsbLi2ELi1ELi1EEEJNS0_4CopyIsbEEEEEvT_T0_DpT1_
; %bb.0:
	v_mov_b32_e32 v1, s15
	s_add_u32 s2, s0, s15
	s_mul_hi_u32 s3, s15, 3
	s_mul_i32 s15, s15, 3
	s_addc_u32 s4, s1, 0
	global_load_u8 v1, v1, s[0:1] offset:1536
	s_add_u32 s2, s2, s15
	s_addc_u32 s3, s4, s3
	s_mov_b32 s17, 0
	s_load_b32 s10, s[2:3], 0x740
	s_mov_b32 s19, s17
	s_waitcnt lgkmcnt(0)
	s_ashr_i32 s11, s10, 31
	s_delay_alu instid0(SALU_CYCLE_1) | instskip(SKIP_2) | instid1(VALU_DEP_1)
	s_lshl_b64 s[8:9], s[10:11], 16
	s_waitcnt vmcnt(0)
	v_readfirstlane_b32 s5, v1
	s_lshl_b32 s2, s5, 3
	s_clause 0x2
	s_load_b64 s[6:7], s[0:1], s2 offset:0x0
	s_load_b64 s[12:13], s[0:1], s2 offset:0x200
	;; [unrolled: 1-line block ×3, first 2 shown]
	s_waitcnt lgkmcnt(0)
	s_add_u32 s3, s6, s8
	s_addc_u32 s14, s7, s9
	s_and_b32 s2, s12, 7
	s_and_b32 s15, s4, 3
	;; [unrolled: 1-line block ×3, first 2 shown]
	s_or_b32 s18, s15, s2
	s_mov_b32 s2, -1
	s_or_b64 s[16:17], s[16:17], s[18:19]
	s_sub_u32 s4, s4, s8
	s_subb_u32 s5, s5, s9
	s_cmp_eq_u64 s[16:17], 0
	s_cbranch_scc0 .LBB231_5
; %bb.1:
	v_dual_mov_b32 v2, 0 :: v_dual_lshlrev_b32 v1, 2, v0
	s_mov_b32 s15, exec_lo
	s_delay_alu instid0(VALU_DEP_1)
	v_cmpx_gt_i64_e64 s[4:5], v[1:2]
	s_cbranch_execz .LBB231_4
; %bb.2:
	s_load_b32 s2, s[0:1], 0xc5c
	v_lshlrev_b32_e32 v3, 3, v0
	s_lshl_b64 s[18:19], s[10:11], 17
	s_waitcnt lgkmcnt(0)
	s_and_b32 s2, s2, 0xffff
	s_delay_alu instid0(SALU_CYCLE_1) | instskip(SKIP_3) | instid1(VALU_DEP_1)
	s_lshl_b32 s16, s2, 2
	s_add_u32 s17, s12, s18
	s_addc_u32 s18, s13, s19
	v_add_co_u32 v3, s17, s17, v3
	v_add_co_ci_u32_e64 v4, null, s18, 0, s17
	s_mov_b32 s17, 0
	s_lshl_b32 s18, s2, 3
	s_set_inst_prefetch_distance 0x1
	.p2align	6
.LBB231_3:                              ; =>This Inner Loop Header: Depth=1
	v_add_co_u32 v5, vcc_lo, s3, v1
	v_add_co_ci_u32_e32 v6, vcc_lo, s14, v2, vcc_lo
	v_add_co_u32 v1, vcc_lo, s16, v1
	v_add_co_ci_u32_e32 v2, vcc_lo, 0, v2, vcc_lo
	global_load_b32 v5, v[5:6], off
	v_cmp_le_i64_e32 vcc_lo, s[4:5], v[1:2]
	v_cmp_lt_u64_e64 s2, 0xffff, v[1:2]
	s_delay_alu instid0(VALU_DEP_1) | instskip(NEXT) | instid1(SALU_CYCLE_1)
	s_or_b32 s2, vcc_lo, s2
	s_and_b32 s2, exec_lo, s2
	s_delay_alu instid0(SALU_CYCLE_1)
	s_or_b32 s17, s2, s17
	s_waitcnt vmcnt(0)
	v_lshrrev_b32_e32 v6, 16, v5
	v_lshrrev_b32_e32 v7, 24, v5
	v_lshrrev_b16 v8, 8, v5
	v_and_b32_e32 v5, 0xff, v5
	s_delay_alu instid0(VALU_DEP_4) | instskip(NEXT) | instid1(VALU_DEP_2)
	v_and_b32_e32 v6, 0xff, v6
	v_perm_b32 v5, v8, v5, 0x5040100
	s_delay_alu instid0(VALU_DEP_2)
	v_perm_b32 v6, v7, v6, 0x5040100
	global_store_b64 v[3:4], v[5:6], off
	v_add_co_u32 v3, vcc_lo, v3, s18
	v_add_co_ci_u32_e32 v4, vcc_lo, 0, v4, vcc_lo
	s_and_not1_b32 exec_lo, exec_lo, s17
	s_cbranch_execnz .LBB231_3
.LBB231_4:
	s_set_inst_prefetch_distance 0x2
	s_or_b32 exec_lo, exec_lo, s15
	s_mov_b32 s2, 0
.LBB231_5:
	s_delay_alu instid0(SALU_CYCLE_1)
	s_and_not1_b32 vcc_lo, exec_lo, s2
	s_cbranch_vccnz .LBB231_25
; %bb.6:
	v_cmp_lt_i64_e64 s2, s[4:5], 1
	s_delay_alu instid0(VALU_DEP_1)
	s_and_b32 vcc_lo, exec_lo, s2
	s_cbranch_vccnz .LBB231_25
; %bb.7:
	s_load_b32 s0, s[0:1], 0xc5c
	v_cmp_gt_u64_e64 s1, 0x10000, s[4:5]
	v_add_co_u32 v3, s2, s8, v0
	v_lshlrev_b32_e32 v1, 1, v0
	v_add_co_ci_u32_e64 v4, null, s9, 0, s2
	s_delay_alu instid0(VALU_DEP_3) | instskip(NEXT) | instid1(VALU_DEP_2)
	v_add_co_u32 v13, vcc_lo, s6, v3
                                        ; implicit-def: $vgpr27
                                        ; implicit-def: $vgpr28
                                        ; implicit-def: $vgpr29
                                        ; implicit-def: $vgpr30
	v_add_co_ci_u32_e32 v14, vcc_lo, s7, v4, vcc_lo
	s_waitcnt lgkmcnt(0)
	s_and_b32 s0, s0, 0xffff
	s_and_b32 s1, s1, exec_lo
	s_cselect_b32 s3, s5, 0
	s_cselect_b32 s2, s4, 0x10000
	s_lshl_b64 s[10:11], s[10:11], 17
	s_lshl_b32 s14, s0, 1
	s_lshl_b32 s1, s0, 2
	s_add_u32 s12, s12, s10
	s_mul_i32 s15, s0, 3
	s_addc_u32 s11, s13, s11
	s_lshl_b32 s10, s0, 3
	v_add_co_u32 v1, s16, s12, v1
	s_add_u32 s13, s8, s15
	v_add_co_ci_u32_e64 v2, null, s11, 0, s16
	s_addc_u32 s16, s9, 0
	s_add_u32 s13, s6, s13
	s_addc_u32 s16, s7, s16
	s_add_u32 s8, s8, s14
	s_addc_u32 s9, s9, 0
	s_add_u32 s8, s6, s8
	s_addc_u32 s9, s7, s9
	v_add_co_u32 v19, s8, s8, v0
	s_delay_alu instid0(VALU_DEP_1) | instskip(SKIP_1) | instid1(VALU_DEP_1)
	v_add_co_ci_u32_e64 v20, null, s9, 0, s8
	v_add_co_u32 v21, s8, s14, v0
	v_add_co_ci_u32_e64 v22, null, 0, 0, s8
	v_add_co_u32 v23, s8, v0, s0
	v_add_co_u32 v15, s13, s13, v0
	s_add_u32 s6, s6, s0
	s_delay_alu instid0(VALU_DEP_2)
	v_lshlrev_b32_e32 v5, 1, v23
	v_add_co_ci_u32_e64 v16, null, s16, 0, s13
	v_add_co_u32 v17, s13, s15, v0
	s_addc_u32 s7, s7, 0
	v_add_co_u32 v25, vcc_lo, s6, v3
	v_add_co_u32 v3, s6, s12, v5
	v_add_co_ci_u32_e64 v18, null, 0, 0, s13
	v_add_co_ci_u32_e64 v24, null, 0, 0, s8
	v_add_co_ci_u32_e32 v26, vcc_lo, s7, v4, vcc_lo
	v_add_co_ci_u32_e64 v4, null, s11, 0, s6
	s_mul_i32 s8, s0, 6
	s_mov_b64 s[6:7], 0
	s_branch .LBB231_9
.LBB231_8:                              ;   in Loop: Header=BB231_9 Depth=1
	s_or_b32 exec_lo, exec_lo, s0
	s_add_u32 s6, s6, s1
	s_addc_u32 s7, s7, 0
	v_add_co_u32 v1, vcc_lo, v1, s10
	v_cmp_ge_i64_e64 s0, s[6:7], s[4:5]
	v_cmp_lt_u64_e64 s9, 0xffff, s[6:7]
	v_add_co_ci_u32_e32 v2, vcc_lo, 0, v2, vcc_lo
	v_add_co_u32 v3, vcc_lo, v3, s10
	v_add_co_ci_u32_e32 v4, vcc_lo, 0, v4, vcc_lo
	s_delay_alu instid0(VALU_DEP_4) | instskip(NEXT) | instid1(SALU_CYCLE_1)
	s_or_b32 s0, s0, s9
	s_and_b32 vcc_lo, exec_lo, s0
	s_cbranch_vccnz .LBB231_25
.LBB231_9:                              ; =>This Inner Loop Header: Depth=1
	v_add_co_u32 v5, s0, v0, s6
	s_delay_alu instid0(VALU_DEP_1) | instskip(NEXT) | instid1(VALU_DEP_1)
	v_add_co_ci_u32_e64 v6, null, 0, s7, s0
	v_cmp_gt_i64_e32 vcc_lo, s[4:5], v[5:6]
	v_cmp_gt_u64_e64 s0, 0x10000, v[5:6]
	s_delay_alu instid0(VALU_DEP_1) | instskip(NEXT) | instid1(SALU_CYCLE_1)
	s_and_b32 s9, vcc_lo, s0
	s_and_saveexec_b32 s0, s9
	s_cbranch_execz .LBB231_11
; %bb.10:                               ;   in Loop: Header=BB231_9 Depth=1
	v_add_co_u32 v7, vcc_lo, v13, s6
	v_add_co_ci_u32_e32 v8, vcc_lo, s7, v14, vcc_lo
	global_load_u8 v27, v[7:8], off
.LBB231_11:                             ;   in Loop: Header=BB231_9 Depth=1
	s_or_b32 exec_lo, exec_lo, s0
	v_add_co_u32 v7, vcc_lo, v23, s6
	v_add_co_ci_u32_e32 v8, vcc_lo, s7, v24, vcc_lo
	s_delay_alu instid0(VALU_DEP_1) | instskip(SKIP_1) | instid1(VALU_DEP_1)
	v_cmp_gt_i64_e32 vcc_lo, s[4:5], v[7:8]
	v_cmp_gt_u64_e64 s0, 0x10000, v[7:8]
	s_and_b32 s9, vcc_lo, s0
	s_delay_alu instid0(SALU_CYCLE_1)
	s_and_saveexec_b32 s0, s9
	s_cbranch_execz .LBB231_13
; %bb.12:                               ;   in Loop: Header=BB231_9 Depth=1
	v_add_co_u32 v9, vcc_lo, v25, s6
	v_add_co_ci_u32_e32 v10, vcc_lo, s7, v26, vcc_lo
	global_load_u8 v28, v[9:10], off
.LBB231_13:                             ;   in Loop: Header=BB231_9 Depth=1
	s_or_b32 exec_lo, exec_lo, s0
	v_add_co_u32 v9, vcc_lo, v21, s6
	v_add_co_ci_u32_e32 v10, vcc_lo, s7, v22, vcc_lo
	s_delay_alu instid0(VALU_DEP_1) | instskip(SKIP_1) | instid1(VALU_DEP_1)
	v_cmp_gt_i64_e32 vcc_lo, s[4:5], v[9:10]
	v_cmp_gt_u64_e64 s0, 0x10000, v[9:10]
	s_and_b32 s9, vcc_lo, s0
	s_delay_alu instid0(SALU_CYCLE_1)
	;; [unrolled: 15-line block ×3, first 2 shown]
	s_and_saveexec_b32 s0, s9
	s_cbranch_execnz .LBB231_20
; %bb.16:                               ;   in Loop: Header=BB231_9 Depth=1
	s_or_b32 exec_lo, exec_lo, s0
	s_delay_alu instid0(SALU_CYCLE_1)
	s_mov_b32 s0, exec_lo
	v_cmpx_gt_u64_e64 s[2:3], v[5:6]
	s_cbranch_execnz .LBB231_21
.LBB231_17:                             ;   in Loop: Header=BB231_9 Depth=1
	s_or_b32 exec_lo, exec_lo, s0
	s_delay_alu instid0(SALU_CYCLE_1)
	s_mov_b32 s0, exec_lo
	v_cmpx_gt_u64_e64 s[2:3], v[7:8]
	s_cbranch_execnz .LBB231_22
.LBB231_18:                             ;   in Loop: Header=BB231_9 Depth=1
	s_or_b32 exec_lo, exec_lo, s0
	s_delay_alu instid0(SALU_CYCLE_1)
	s_mov_b32 s0, exec_lo
	v_cmpx_gt_u64_e64 s[2:3], v[9:10]
	s_cbranch_execnz .LBB231_23
.LBB231_19:                             ;   in Loop: Header=BB231_9 Depth=1
	s_or_b32 exec_lo, exec_lo, s0
	s_delay_alu instid0(SALU_CYCLE_1)
	s_mov_b32 s0, exec_lo
	v_cmpx_gt_u64_e64 s[2:3], v[11:12]
	s_cbranch_execz .LBB231_8
	s_branch .LBB231_24
.LBB231_20:                             ;   in Loop: Header=BB231_9 Depth=1
	s_waitcnt vmcnt(0)
	v_add_co_u32 v30, vcc_lo, v15, s6
	v_add_co_ci_u32_e32 v31, vcc_lo, s7, v16, vcc_lo
	global_load_u8 v30, v[30:31], off
	s_or_b32 exec_lo, exec_lo, s0
	s_delay_alu instid0(SALU_CYCLE_1)
	s_mov_b32 s0, exec_lo
	v_cmpx_gt_u64_e64 s[2:3], v[5:6]
	s_cbranch_execz .LBB231_17
.LBB231_21:                             ;   in Loop: Header=BB231_9 Depth=1
	s_waitcnt vmcnt(0)
	v_and_b32_e32 v5, 0xff, v27
	global_store_b16 v[1:2], v5, off
	s_or_b32 exec_lo, exec_lo, s0
	s_delay_alu instid0(SALU_CYCLE_1)
	s_mov_b32 s0, exec_lo
	v_cmpx_gt_u64_e64 s[2:3], v[7:8]
	s_cbranch_execz .LBB231_18
.LBB231_22:                             ;   in Loop: Header=BB231_9 Depth=1
	s_waitcnt vmcnt(0)
	v_and_b32_e32 v5, 0xff, v28
	global_store_b16 v[3:4], v5, off
	s_or_b32 exec_lo, exec_lo, s0
	s_delay_alu instid0(SALU_CYCLE_1)
	s_mov_b32 s0, exec_lo
	v_cmpx_gt_u64_e64 s[2:3], v[9:10]
	s_cbranch_execz .LBB231_19
.LBB231_23:                             ;   in Loop: Header=BB231_9 Depth=1
	v_add_co_u32 v5, vcc_lo, v1, s1
	s_waitcnt vmcnt(0)
	v_and_b32_e32 v7, 0xff, v29
	v_add_co_ci_u32_e32 v6, vcc_lo, 0, v2, vcc_lo
	global_store_b16 v[5:6], v7, off
	s_or_b32 exec_lo, exec_lo, s0
	s_delay_alu instid0(SALU_CYCLE_1)
	s_mov_b32 s0, exec_lo
	v_cmpx_gt_u64_e64 s[2:3], v[11:12]
	s_cbranch_execz .LBB231_8
.LBB231_24:                             ;   in Loop: Header=BB231_9 Depth=1
	v_add_co_u32 v5, vcc_lo, v1, s8
	s_waitcnt vmcnt(0)
	v_and_b32_e32 v7, 0xff, v30
	v_add_co_ci_u32_e32 v6, vcc_lo, 0, v2, vcc_lo
	global_store_b16 v[5:6], v7, off
	s_branch .LBB231_8
.LBB231_25:
	s_nop 0
	s_sendmsg sendmsg(MSG_DEALLOC_VGPRS)
	s_endpgm
	.section	.rodata,"a",@progbits
	.p2align	6, 0x0
	.amdhsa_kernel _ZN2at6native12_GLOBAL__N_125multi_tensor_apply_kernelINS1_18TensorListMetadataILi2EEENS1_11CopyFunctorIsbLi2ELi1ELi1EEEJNS0_4CopyIsbEEEEEvT_T0_DpT1_
		.amdhsa_group_segment_fixed_size 0
		.amdhsa_private_segment_fixed_size 0
		.amdhsa_kernarg_size 3408
		.amdhsa_user_sgpr_count 15
		.amdhsa_user_sgpr_dispatch_ptr 0
		.amdhsa_user_sgpr_queue_ptr 0
		.amdhsa_user_sgpr_kernarg_segment_ptr 1
		.amdhsa_user_sgpr_dispatch_id 0
		.amdhsa_user_sgpr_private_segment_size 0
		.amdhsa_wavefront_size32 1
		.amdhsa_uses_dynamic_stack 0
		.amdhsa_enable_private_segment 0
		.amdhsa_system_sgpr_workgroup_id_x 1
		.amdhsa_system_sgpr_workgroup_id_y 0
		.amdhsa_system_sgpr_workgroup_id_z 0
		.amdhsa_system_sgpr_workgroup_info 0
		.amdhsa_system_vgpr_workitem_id 0
		.amdhsa_next_free_vgpr 32
		.amdhsa_next_free_sgpr 20
		.amdhsa_reserve_vcc 1
		.amdhsa_float_round_mode_32 0
		.amdhsa_float_round_mode_16_64 0
		.amdhsa_float_denorm_mode_32 3
		.amdhsa_float_denorm_mode_16_64 3
		.amdhsa_dx10_clamp 1
		.amdhsa_ieee_mode 1
		.amdhsa_fp16_overflow 0
		.amdhsa_workgroup_processor_mode 1
		.amdhsa_memory_ordered 1
		.amdhsa_forward_progress 0
		.amdhsa_shared_vgpr_count 0
		.amdhsa_exception_fp_ieee_invalid_op 0
		.amdhsa_exception_fp_denorm_src 0
		.amdhsa_exception_fp_ieee_div_zero 0
		.amdhsa_exception_fp_ieee_overflow 0
		.amdhsa_exception_fp_ieee_underflow 0
		.amdhsa_exception_fp_ieee_inexact 0
		.amdhsa_exception_int_div_zero 0
	.end_amdhsa_kernel
	.section	.text._ZN2at6native12_GLOBAL__N_125multi_tensor_apply_kernelINS1_18TensorListMetadataILi2EEENS1_11CopyFunctorIsbLi2ELi1ELi1EEEJNS0_4CopyIsbEEEEEvT_T0_DpT1_,"axG",@progbits,_ZN2at6native12_GLOBAL__N_125multi_tensor_apply_kernelINS1_18TensorListMetadataILi2EEENS1_11CopyFunctorIsbLi2ELi1ELi1EEEJNS0_4CopyIsbEEEEEvT_T0_DpT1_,comdat
.Lfunc_end231:
	.size	_ZN2at6native12_GLOBAL__N_125multi_tensor_apply_kernelINS1_18TensorListMetadataILi2EEENS1_11CopyFunctorIsbLi2ELi1ELi1EEEJNS0_4CopyIsbEEEEEvT_T0_DpT1_, .Lfunc_end231-_ZN2at6native12_GLOBAL__N_125multi_tensor_apply_kernelINS1_18TensorListMetadataILi2EEENS1_11CopyFunctorIsbLi2ELi1ELi1EEEJNS0_4CopyIsbEEEEEvT_T0_DpT1_
                                        ; -- End function
	.section	.AMDGPU.csdata,"",@progbits
; Kernel info:
; codeLenInByte = 1448
; NumSgprs: 22
; NumVgprs: 32
; ScratchSize: 0
; MemoryBound: 0
; FloatMode: 240
; IeeeMode: 1
; LDSByteSize: 0 bytes/workgroup (compile time only)
; SGPRBlocks: 2
; VGPRBlocks: 3
; NumSGPRsForWavesPerEU: 22
; NumVGPRsForWavesPerEU: 32
; Occupancy: 16
; WaveLimiterHint : 0
; COMPUTE_PGM_RSRC2:SCRATCH_EN: 0
; COMPUTE_PGM_RSRC2:USER_SGPR: 15
; COMPUTE_PGM_RSRC2:TRAP_HANDLER: 0
; COMPUTE_PGM_RSRC2:TGID_X_EN: 1
; COMPUTE_PGM_RSRC2:TGID_Y_EN: 0
; COMPUTE_PGM_RSRC2:TGID_Z_EN: 0
; COMPUTE_PGM_RSRC2:TIDIG_COMP_CNT: 0
	.section	.text._ZN2at6native12_GLOBAL__N_125multi_tensor_apply_kernelINS1_18TensorListMetadataILi2EEENS1_11CopyFunctorIsN3c1013Float8_e4m3fnELi2ELi1ELi1EEEJNS0_4CopyIsS7_EEEEEvT_T0_DpT1_,"axG",@progbits,_ZN2at6native12_GLOBAL__N_125multi_tensor_apply_kernelINS1_18TensorListMetadataILi2EEENS1_11CopyFunctorIsN3c1013Float8_e4m3fnELi2ELi1ELi1EEEJNS0_4CopyIsS7_EEEEEvT_T0_DpT1_,comdat
	.globl	_ZN2at6native12_GLOBAL__N_125multi_tensor_apply_kernelINS1_18TensorListMetadataILi2EEENS1_11CopyFunctorIsN3c1013Float8_e4m3fnELi2ELi1ELi1EEEJNS0_4CopyIsS7_EEEEEvT_T0_DpT1_ ; -- Begin function _ZN2at6native12_GLOBAL__N_125multi_tensor_apply_kernelINS1_18TensorListMetadataILi2EEENS1_11CopyFunctorIsN3c1013Float8_e4m3fnELi2ELi1ELi1EEEJNS0_4CopyIsS7_EEEEEvT_T0_DpT1_
	.p2align	8
	.type	_ZN2at6native12_GLOBAL__N_125multi_tensor_apply_kernelINS1_18TensorListMetadataILi2EEENS1_11CopyFunctorIsN3c1013Float8_e4m3fnELi2ELi1ELi1EEEJNS0_4CopyIsS7_EEEEEvT_T0_DpT1_,@function
_ZN2at6native12_GLOBAL__N_125multi_tensor_apply_kernelINS1_18TensorListMetadataILi2EEENS1_11CopyFunctorIsN3c1013Float8_e4m3fnELi2ELi1ELi1EEEJNS0_4CopyIsS7_EEEEEvT_T0_DpT1_: ; @_ZN2at6native12_GLOBAL__N_125multi_tensor_apply_kernelINS1_18TensorListMetadataILi2EEENS1_11CopyFunctorIsN3c1013Float8_e4m3fnELi2ELi1ELi1EEEJNS0_4CopyIsS7_EEEEEvT_T0_DpT1_
; %bb.0:
	v_mov_b32_e32 v1, s15
	s_add_u32 s2, s0, s15
	s_mul_hi_u32 s3, s15, 3
	s_mul_i32 s15, s15, 3
	s_addc_u32 s4, s1, 0
	global_load_u8 v1, v1, s[0:1] offset:1536
	s_add_u32 s2, s2, s15
	s_addc_u32 s3, s4, s3
	s_load_b32 s10, s[2:3], 0x740
	s_waitcnt lgkmcnt(0)
	s_ashr_i32 s11, s10, 31
	s_delay_alu instid0(SALU_CYCLE_1) | instskip(SKIP_2) | instid1(VALU_DEP_1)
	s_lshl_b64 s[8:9], s[10:11], 16
	s_waitcnt vmcnt(0)
	v_readfirstlane_b32 s5, v1
	s_lshl_b32 s2, s5, 3
	s_mov_b32 s5, 0
	s_clause 0x2
	s_load_b64 s[6:7], s[0:1], s2 offset:0x0
	s_load_b64 s[12:13], s[0:1], s2 offset:0x200
	;; [unrolled: 1-line block ×3, first 2 shown]
	s_waitcnt lgkmcnt(0)
	s_add_u32 s14, s6, s8
	s_addc_u32 s15, s7, s9
	s_and_b32 s16, s12, 7
	s_and_b32 s17, s2, 3
	s_and_b32 s4, s14, 3
	s_or_b32 s16, s17, s16
	s_mov_b32 s17, s5
	s_delay_alu instid0(SALU_CYCLE_1)
	s_or_b64 s[16:17], s[4:5], s[16:17]
	s_sub_u32 s4, s2, s8
	s_subb_u32 s5, s3, s9
	s_cmp_eq_u64 s[16:17], 0
	s_mov_b32 s2, -1
	s_cbranch_scc0 .LBB232_5
; %bb.1:
	v_dual_mov_b32 v2, 0 :: v_dual_lshlrev_b32 v1, 2, v0
	s_mov_b32 s16, exec_lo
	s_delay_alu instid0(VALU_DEP_1)
	v_cmpx_gt_i64_e64 s[4:5], v[1:2]
	s_cbranch_execz .LBB232_4
; %bb.2:
	s_load_b32 s17, s[0:1], 0xc5c
	v_lshlrev_b32_e32 v3, 3, v0
	s_lshl_b64 s[2:3], s[10:11], 17
	s_mov_b32 s18, 0
	s_waitcnt lgkmcnt(0)
	s_and_b32 s19, s17, 0xffff
	s_delay_alu instid0(SALU_CYCLE_1) | instskip(SKIP_3) | instid1(VALU_DEP_1)
	s_lshl_b32 s17, s19, 2
	s_add_u32 s2, s12, s2
	s_addc_u32 s3, s13, s3
	v_add_co_u32 v3, s2, s2, v3
	v_add_co_ci_u32_e64 v4, null, s3, 0, s2
	s_lshl_b32 s19, s19, 3
.LBB232_3:                              ; =>This Inner Loop Header: Depth=1
	v_add_co_u32 v5, vcc_lo, s14, v1
	v_add_co_ci_u32_e32 v6, vcc_lo, s15, v2, vcc_lo
	v_add_co_u32 v1, vcc_lo, s17, v1
	v_add_co_ci_u32_e32 v2, vcc_lo, 0, v2, vcc_lo
	global_load_b32 v5, v[5:6], off
	v_cmp_le_i64_e32 vcc_lo, s[4:5], v[1:2]
	v_cmp_lt_u64_e64 s2, 0xffff, v[1:2]
	s_delay_alu instid0(VALU_DEP_1) | instskip(NEXT) | instid1(SALU_CYCLE_1)
	s_or_b32 s2, vcc_lo, s2
	s_and_b32 s20, exec_lo, s2
	s_delay_alu instid0(SALU_CYCLE_1)
	s_or_b32 s18, s20, s18
	s_waitcnt vmcnt(0)
	v_and_b32_e32 v9, 0x7f000000, v5
	v_lshlrev_b32_e32 v8, 8, v5
	v_lshlrev_b32_e32 v6, 24, v5
	;; [unrolled: 1-line block ×3, first 2 shown]
	s_delay_alu instid0(VALU_DEP_4) | instskip(NEXT) | instid1(VALU_DEP_4)
	v_clz_i32_u32_e32 v13, v9
	v_and_b32_e32 v12, 0x7f000000, v8
	v_add_nc_u32_e32 v14, 0x1000000, v9
	v_and_b32_e32 v10, 0x7f000000, v6
	v_cmp_ne_u32_e32 vcc_lo, 0, v9
	v_min_u32_e32 v13, 32, v13
	v_clz_i32_u32_e32 v19, v12
	v_ashrrev_i32_e32 v14, 8, v14
	v_clz_i32_u32_e32 v15, v10
	v_add_nc_u32_e32 v20, 0x1000000, v12
	v_sub_nc_u32_e64 v13, v13, 4 clamp
	v_min_u32_e32 v19, 32, v19
	v_cmp_ne_u32_e64 s3, 0, v12
	v_min_u32_e32 v15, 32, v15
	v_add_nc_u32_e32 v16, 0x1000000, v10
	v_lshlrev_b32_e32 v21, v13, v9
	v_lshlrev_b32_e32 v13, 23, v13
	v_sub_nc_u32_e64 v19, v19, 4 clamp
	v_sub_nc_u32_e64 v15, v15, 4 clamp
	v_ashrrev_i32_e32 v16, 8, v16
	v_lshrrev_b32_e32 v21, 4, v21
	v_ashrrev_i32_e32 v20, 8, v20
	v_lshlrev_b32_e32 v24, v19, v12
	v_lshlrev_b32_e32 v22, v15, v10
	;; [unrolled: 1-line block ×3, first 2 shown]
	v_sub_nc_u32_e32 v13, v21, v13
	v_lshlrev_b32_e32 v19, 23, v19
	v_lshrrev_b32_e32 v24, 4, v24
	v_lshrrev_b32_e32 v22, 4, v22
	s_delay_alu instid0(VALU_DEP_4) | instskip(NEXT) | instid1(VALU_DEP_3)
	v_add_nc_u32_e32 v13, 0x3c000000, v13
	v_sub_nc_u32_e32 v19, v24, v19
	s_delay_alu instid0(VALU_DEP_3) | instskip(NEXT) | instid1(VALU_DEP_3)
	v_sub_nc_u32_e32 v15, v22, v15
	v_and_or_b32 v13, 0x7f800000, v14, v13
	v_and_b32_e32 v11, 0x7f000000, v7
	s_delay_alu instid0(VALU_DEP_4) | instskip(NEXT) | instid1(VALU_DEP_3)
	v_add_nc_u32_e32 v19, 0x3c000000, v19
	v_dual_cndmask_b32 v12, 0, v13 :: v_dual_add_nc_u32 v15, 0x3c000000, v15
	s_delay_alu instid0(VALU_DEP_3) | instskip(SKIP_1) | instid1(VALU_DEP_3)
	v_clz_i32_u32_e32 v17, v11
	v_add_nc_u32_e32 v18, 0x1000000, v11
	v_and_or_b32 v9, 0x7f800000, v16, v15
	v_cmp_ne_u32_e64 s2, 0, v11
	v_cmp_ne_u32_e32 vcc_lo, 0, v10
	v_min_u32_e32 v17, 32, v17
	v_ashrrev_i32_e32 v18, 8, v18
	v_and_or_b32 v5, 0x80000000, v5, v12
	v_cndmask_b32_e32 v9, 0, v9, vcc_lo
	s_delay_alu instid0(VALU_DEP_4) | instskip(NEXT) | instid1(VALU_DEP_3)
	v_sub_nc_u32_e64 v17, v17, 4 clamp
	v_cvt_i32_f32_e32 v5, v5
	s_delay_alu instid0(VALU_DEP_3) | instskip(NEXT) | instid1(VALU_DEP_3)
	v_and_or_b32 v6, 0x80000000, v6, v9
	v_lshlrev_b32_e32 v23, v17, v11
	v_lshlrev_b32_e32 v17, 23, v17
	v_and_or_b32 v11, 0x7f800000, v20, v19
	s_delay_alu instid0(VALU_DEP_4) | instskip(NEXT) | instid1(VALU_DEP_4)
	v_cvt_i32_f32_e32 v9, v6
	v_lshrrev_b32_e32 v23, 4, v23
	s_delay_alu instid0(VALU_DEP_3) | instskip(NEXT) | instid1(VALU_DEP_2)
	v_cndmask_b32_e64 v10, 0, v11, s3
	v_sub_nc_u32_e32 v17, v23, v17
	s_delay_alu instid0(VALU_DEP_2) | instskip(NEXT) | instid1(VALU_DEP_2)
	v_and_or_b32 v8, 0x80000000, v8, v10
	v_add_nc_u32_e32 v17, 0x3c000000, v17
	s_delay_alu instid0(VALU_DEP_2) | instskip(NEXT) | instid1(VALU_DEP_2)
	v_cvt_i32_f32_e32 v6, v8
	v_and_or_b32 v14, 0x7f800000, v18, v17
	s_delay_alu instid0(VALU_DEP_2) | instskip(NEXT) | instid1(VALU_DEP_2)
	v_perm_b32 v6, v5, v6, 0x5040100
	v_cndmask_b32_e64 v11, 0, v14, s2
	s_delay_alu instid0(VALU_DEP_1) | instskip(NEXT) | instid1(VALU_DEP_1)
	v_and_or_b32 v7, 0x80000000, v7, v11
	v_cvt_i32_f32_e32 v7, v7
	s_delay_alu instid0(VALU_DEP_1)
	v_perm_b32 v5, v7, v9, 0x5040100
	global_store_b64 v[3:4], v[5:6], off
	v_add_co_u32 v3, vcc_lo, v3, s19
	v_add_co_ci_u32_e32 v4, vcc_lo, 0, v4, vcc_lo
	s_and_not1_b32 exec_lo, exec_lo, s18
	s_cbranch_execnz .LBB232_3
.LBB232_4:
	s_or_b32 exec_lo, exec_lo, s16
	s_mov_b32 s2, 0
.LBB232_5:
	s_delay_alu instid0(SALU_CYCLE_1)
	s_and_not1_b32 vcc_lo, exec_lo, s2
	s_cbranch_vccnz .LBB232_25
; %bb.6:
	v_cmp_lt_i64_e64 s2, s[4:5], 1
	s_delay_alu instid0(VALU_DEP_1)
	s_and_b32 vcc_lo, exec_lo, s2
	s_cbranch_vccnz .LBB232_25
; %bb.7:
	s_load_b32 s0, s[0:1], 0xc5c
	v_cmp_gt_u64_e64 s1, 0x10000, s[4:5]
	v_add_co_u32 v3, s2, s8, v0
	v_lshlrev_b32_e32 v1, 1, v0
	v_add_co_ci_u32_e64 v4, null, s9, 0, s2
	s_delay_alu instid0(VALU_DEP_3) | instskip(NEXT) | instid1(VALU_DEP_2)
	v_add_co_u32 v13, vcc_lo, s6, v3
                                        ; implicit-def: $vgpr27
                                        ; implicit-def: $vgpr28
                                        ; implicit-def: $vgpr29
                                        ; implicit-def: $vgpr30
	v_add_co_ci_u32_e32 v14, vcc_lo, s7, v4, vcc_lo
	s_waitcnt lgkmcnt(0)
	s_and_b32 s0, s0, 0xffff
	s_and_b32 s1, s1, exec_lo
	s_cselect_b32 s3, s5, 0
	s_cselect_b32 s2, s4, 0x10000
	s_lshl_b64 s[10:11], s[10:11], 17
	s_lshl_b32 s14, s0, 1
	s_lshl_b32 s1, s0, 2
	s_add_u32 s12, s12, s10
	s_mul_i32 s15, s0, 3
	s_addc_u32 s11, s13, s11
	s_lshl_b32 s10, s0, 3
	v_add_co_u32 v1, s16, s12, v1
	s_add_u32 s13, s8, s15
	v_add_co_ci_u32_e64 v2, null, s11, 0, s16
	s_addc_u32 s16, s9, 0
	s_add_u32 s13, s6, s13
	s_addc_u32 s16, s7, s16
	s_add_u32 s8, s8, s14
	;; [unrolled: 2-line block ×3, first 2 shown]
	s_addc_u32 s9, s7, s9
	v_add_co_u32 v19, s8, s8, v0
	s_delay_alu instid0(VALU_DEP_1) | instskip(SKIP_1) | instid1(VALU_DEP_1)
	v_add_co_ci_u32_e64 v20, null, s9, 0, s8
	v_add_co_u32 v21, s8, s14, v0
	v_add_co_ci_u32_e64 v22, null, 0, 0, s8
	v_add_co_u32 v23, s8, v0, s0
	v_add_co_u32 v15, s13, s13, v0
	s_add_u32 s6, s6, s0
	s_delay_alu instid0(VALU_DEP_2)
	v_lshlrev_b32_e32 v5, 1, v23
	v_add_co_ci_u32_e64 v16, null, s16, 0, s13
	v_add_co_u32 v17, s13, s15, v0
	s_addc_u32 s7, s7, 0
	v_add_co_u32 v25, vcc_lo, s6, v3
	v_add_co_u32 v3, s6, s12, v5
	v_add_co_ci_u32_e64 v18, null, 0, 0, s13
	v_add_co_ci_u32_e64 v24, null, 0, 0, s8
	v_add_co_ci_u32_e32 v26, vcc_lo, s7, v4, vcc_lo
	v_add_co_ci_u32_e64 v4, null, s11, 0, s6
	s_mul_i32 s8, s0, 6
	s_mov_b64 s[6:7], 0
	s_branch .LBB232_9
.LBB232_8:                              ;   in Loop: Header=BB232_9 Depth=1
	s_or_b32 exec_lo, exec_lo, s0
	s_add_u32 s6, s6, s1
	s_addc_u32 s7, s7, 0
	v_add_co_u32 v1, vcc_lo, v1, s10
	v_cmp_ge_i64_e64 s0, s[6:7], s[4:5]
	v_cmp_lt_u64_e64 s9, 0xffff, s[6:7]
	v_add_co_ci_u32_e32 v2, vcc_lo, 0, v2, vcc_lo
	v_add_co_u32 v3, vcc_lo, v3, s10
	v_add_co_ci_u32_e32 v4, vcc_lo, 0, v4, vcc_lo
	s_delay_alu instid0(VALU_DEP_4) | instskip(NEXT) | instid1(SALU_CYCLE_1)
	s_or_b32 s0, s0, s9
	s_and_b32 vcc_lo, exec_lo, s0
	s_cbranch_vccnz .LBB232_25
.LBB232_9:                              ; =>This Inner Loop Header: Depth=1
	v_add_co_u32 v11, s0, v0, s6
	s_delay_alu instid0(VALU_DEP_1) | instskip(NEXT) | instid1(VALU_DEP_1)
	v_add_co_ci_u32_e64 v12, null, 0, s7, s0
	v_cmp_gt_i64_e32 vcc_lo, s[4:5], v[11:12]
	v_cmp_gt_u64_e64 s0, 0x10000, v[11:12]
	s_delay_alu instid0(VALU_DEP_1) | instskip(NEXT) | instid1(SALU_CYCLE_1)
	s_and_b32 s9, vcc_lo, s0
	s_and_saveexec_b32 s0, s9
	s_cbranch_execz .LBB232_11
; %bb.10:                               ;   in Loop: Header=BB232_9 Depth=1
	v_add_co_u32 v5, vcc_lo, v13, s6
	v_add_co_ci_u32_e32 v6, vcc_lo, s7, v14, vcc_lo
	global_load_u8 v30, v[5:6], off
.LBB232_11:                             ;   in Loop: Header=BB232_9 Depth=1
	s_or_b32 exec_lo, exec_lo, s0
	v_add_co_u32 v9, vcc_lo, v23, s6
	v_add_co_ci_u32_e32 v10, vcc_lo, s7, v24, vcc_lo
	s_delay_alu instid0(VALU_DEP_1) | instskip(SKIP_1) | instid1(VALU_DEP_1)
	v_cmp_gt_i64_e32 vcc_lo, s[4:5], v[9:10]
	v_cmp_gt_u64_e64 s0, 0x10000, v[9:10]
	s_and_b32 s9, vcc_lo, s0
	s_delay_alu instid0(SALU_CYCLE_1)
	s_and_saveexec_b32 s0, s9
	s_cbranch_execz .LBB232_13
; %bb.12:                               ;   in Loop: Header=BB232_9 Depth=1
	v_add_co_u32 v5, vcc_lo, v25, s6
	v_add_co_ci_u32_e32 v6, vcc_lo, s7, v26, vcc_lo
	global_load_u8 v29, v[5:6], off
.LBB232_13:                             ;   in Loop: Header=BB232_9 Depth=1
	s_or_b32 exec_lo, exec_lo, s0
	v_add_co_u32 v7, vcc_lo, v21, s6
	v_add_co_ci_u32_e32 v8, vcc_lo, s7, v22, vcc_lo
	s_delay_alu instid0(VALU_DEP_1) | instskip(SKIP_1) | instid1(VALU_DEP_1)
	v_cmp_gt_i64_e32 vcc_lo, s[4:5], v[7:8]
	v_cmp_gt_u64_e64 s0, 0x10000, v[7:8]
	s_and_b32 s9, vcc_lo, s0
	s_delay_alu instid0(SALU_CYCLE_1)
	s_and_saveexec_b32 s0, s9
	s_cbranch_execz .LBB232_15
; %bb.14:                               ;   in Loop: Header=BB232_9 Depth=1
	v_add_co_u32 v5, vcc_lo, v19, s6
	v_add_co_ci_u32_e32 v6, vcc_lo, s7, v20, vcc_lo
	global_load_u8 v28, v[5:6], off
.LBB232_15:                             ;   in Loop: Header=BB232_9 Depth=1
	s_or_b32 exec_lo, exec_lo, s0
	v_add_co_u32 v5, vcc_lo, v17, s6
	v_add_co_ci_u32_e32 v6, vcc_lo, s7, v18, vcc_lo
	s_delay_alu instid0(VALU_DEP_1) | instskip(SKIP_1) | instid1(VALU_DEP_1)
	v_cmp_gt_i64_e32 vcc_lo, s[4:5], v[5:6]
	v_cmp_gt_u64_e64 s0, 0x10000, v[5:6]
	s_and_b32 s9, vcc_lo, s0
	s_delay_alu instid0(SALU_CYCLE_1)
	s_and_saveexec_b32 s0, s9
	s_cbranch_execnz .LBB232_20
; %bb.16:                               ;   in Loop: Header=BB232_9 Depth=1
	s_or_b32 exec_lo, exec_lo, s0
	s_delay_alu instid0(SALU_CYCLE_1)
	s_mov_b32 s0, exec_lo
	v_cmpx_gt_u64_e64 s[2:3], v[11:12]
	s_cbranch_execnz .LBB232_21
.LBB232_17:                             ;   in Loop: Header=BB232_9 Depth=1
	s_or_b32 exec_lo, exec_lo, s0
	s_delay_alu instid0(SALU_CYCLE_1)
	s_mov_b32 s0, exec_lo
	v_cmpx_gt_u64_e64 s[2:3], v[9:10]
	s_cbranch_execnz .LBB232_22
.LBB232_18:                             ;   in Loop: Header=BB232_9 Depth=1
	s_or_b32 exec_lo, exec_lo, s0
	s_delay_alu instid0(SALU_CYCLE_1)
	s_mov_b32 s0, exec_lo
	v_cmpx_gt_u64_e64 s[2:3], v[7:8]
	s_cbranch_execnz .LBB232_23
.LBB232_19:                             ;   in Loop: Header=BB232_9 Depth=1
	s_or_b32 exec_lo, exec_lo, s0
	s_delay_alu instid0(SALU_CYCLE_1)
	s_mov_b32 s0, exec_lo
	v_cmpx_gt_u64_e64 s[2:3], v[5:6]
	s_cbranch_execz .LBB232_8
	s_branch .LBB232_24
.LBB232_20:                             ;   in Loop: Header=BB232_9 Depth=1
	v_add_co_u32 v31, vcc_lo, v15, s6
	v_add_co_ci_u32_e32 v32, vcc_lo, s7, v16, vcc_lo
	global_load_u8 v27, v[31:32], off
	s_or_b32 exec_lo, exec_lo, s0
	s_delay_alu instid0(SALU_CYCLE_1)
	s_mov_b32 s0, exec_lo
	v_cmpx_gt_u64_e64 s[2:3], v[11:12]
	s_cbranch_execz .LBB232_17
.LBB232_21:                             ;   in Loop: Header=BB232_9 Depth=1
	s_waitcnt vmcnt(0)
	v_lshlrev_b32_e32 v11, 24, v30
	s_delay_alu instid0(VALU_DEP_1) | instskip(NEXT) | instid1(VALU_DEP_1)
	v_and_b32_e32 v12, 0x7f000000, v11
	v_clz_i32_u32_e32 v31, v12
	v_cmp_ne_u32_e32 vcc_lo, 0, v12
	s_delay_alu instid0(VALU_DEP_2) | instskip(NEXT) | instid1(VALU_DEP_1)
	v_min_u32_e32 v31, 32, v31
	v_sub_nc_u32_e64 v31, v31, 4 clamp
	s_delay_alu instid0(VALU_DEP_1) | instskip(SKIP_1) | instid1(VALU_DEP_2)
	v_lshlrev_b32_e32 v32, v31, v12
	v_lshlrev_b32_e32 v31, 23, v31
	v_lshrrev_b32_e32 v32, 4, v32
	s_delay_alu instid0(VALU_DEP_1) | instskip(SKIP_1) | instid1(VALU_DEP_2)
	v_sub_nc_u32_e32 v31, v32, v31
	v_add_nc_u32_e32 v32, 0x1000000, v12
	v_add_nc_u32_e32 v31, 0x3c000000, v31
	s_delay_alu instid0(VALU_DEP_2) | instskip(NEXT) | instid1(VALU_DEP_1)
	v_ashrrev_i32_e32 v32, 8, v32
	v_and_or_b32 v31, 0x7f800000, v32, v31
	s_delay_alu instid0(VALU_DEP_1) | instskip(NEXT) | instid1(VALU_DEP_1)
	v_cndmask_b32_e32 v12, 0, v31, vcc_lo
	v_and_or_b32 v11, 0x80000000, v11, v12
	s_delay_alu instid0(VALU_DEP_1) | instskip(SKIP_2) | instid1(SALU_CYCLE_1)
	v_cvt_i32_f32_e32 v11, v11
	global_store_b16 v[1:2], v11, off
	s_or_b32 exec_lo, exec_lo, s0
	s_mov_b32 s0, exec_lo
	v_cmpx_gt_u64_e64 s[2:3], v[9:10]
	s_cbranch_execz .LBB232_18
.LBB232_22:                             ;   in Loop: Header=BB232_9 Depth=1
	s_waitcnt vmcnt(0)
	v_lshlrev_b32_e32 v9, 24, v29
	s_delay_alu instid0(VALU_DEP_1) | instskip(NEXT) | instid1(VALU_DEP_1)
	v_and_b32_e32 v10, 0x7f000000, v9
	v_clz_i32_u32_e32 v11, v10
	v_add_nc_u32_e32 v31, 0x1000000, v10
	v_cmp_ne_u32_e32 vcc_lo, 0, v10
	s_delay_alu instid0(VALU_DEP_3) | instskip(NEXT) | instid1(VALU_DEP_1)
	v_min_u32_e32 v11, 32, v11
	v_sub_nc_u32_e64 v11, v11, 4 clamp
	s_delay_alu instid0(VALU_DEP_1) | instskip(SKIP_1) | instid1(VALU_DEP_2)
	v_lshlrev_b32_e32 v12, v11, v10
	v_lshlrev_b32_e32 v11, 23, v11
	v_lshrrev_b32_e32 v12, 4, v12
	s_delay_alu instid0(VALU_DEP_1) | instskip(SKIP_1) | instid1(VALU_DEP_2)
	v_sub_nc_u32_e32 v11, v12, v11
	v_ashrrev_i32_e32 v12, 8, v31
	v_add_nc_u32_e32 v11, 0x3c000000, v11
	s_delay_alu instid0(VALU_DEP_1) | instskip(NEXT) | instid1(VALU_DEP_1)
	v_and_or_b32 v11, 0x7f800000, v12, v11
	v_cndmask_b32_e32 v10, 0, v11, vcc_lo
	s_delay_alu instid0(VALU_DEP_1) | instskip(NEXT) | instid1(VALU_DEP_1)
	v_and_or_b32 v9, 0x80000000, v9, v10
	v_cvt_i32_f32_e32 v9, v9
	global_store_b16 v[3:4], v9, off
	s_or_b32 exec_lo, exec_lo, s0
	s_delay_alu instid0(SALU_CYCLE_1)
	s_mov_b32 s0, exec_lo
	v_cmpx_gt_u64_e64 s[2:3], v[7:8]
	s_cbranch_execz .LBB232_19
.LBB232_23:                             ;   in Loop: Header=BB232_9 Depth=1
	s_waitcnt vmcnt(0)
	v_lshlrev_b32_e32 v7, 24, v28
	s_delay_alu instid0(VALU_DEP_1) | instskip(NEXT) | instid1(VALU_DEP_1)
	v_and_b32_e32 v8, 0x7f000000, v7
	v_clz_i32_u32_e32 v9, v8
	v_add_nc_u32_e32 v11, 0x1000000, v8
	v_cmp_ne_u32_e32 vcc_lo, 0, v8
	s_delay_alu instid0(VALU_DEP_3) | instskip(NEXT) | instid1(VALU_DEP_1)
	v_min_u32_e32 v9, 32, v9
	v_sub_nc_u32_e64 v9, v9, 4 clamp
	s_delay_alu instid0(VALU_DEP_1) | instskip(SKIP_1) | instid1(VALU_DEP_2)
	v_lshlrev_b32_e32 v10, v9, v8
	v_lshlrev_b32_e32 v9, 23, v9
	v_lshrrev_b32_e32 v10, 4, v10
	s_delay_alu instid0(VALU_DEP_1) | instskip(SKIP_1) | instid1(VALU_DEP_2)
	v_sub_nc_u32_e32 v9, v10, v9
	v_ashrrev_i32_e32 v10, 8, v11
	v_add_nc_u32_e32 v9, 0x3c000000, v9
	s_delay_alu instid0(VALU_DEP_1) | instskip(NEXT) | instid1(VALU_DEP_1)
	v_and_or_b32 v9, 0x7f800000, v10, v9
	v_cndmask_b32_e32 v8, 0, v9, vcc_lo
	s_delay_alu instid0(VALU_DEP_1) | instskip(NEXT) | instid1(VALU_DEP_1)
	v_and_or_b32 v7, 0x80000000, v7, v8
	v_cvt_i32_f32_e32 v9, v7
	v_add_co_u32 v7, vcc_lo, v1, s1
	v_add_co_ci_u32_e32 v8, vcc_lo, 0, v2, vcc_lo
	global_store_b16 v[7:8], v9, off
	s_or_b32 exec_lo, exec_lo, s0
	s_delay_alu instid0(SALU_CYCLE_1)
	s_mov_b32 s0, exec_lo
	v_cmpx_gt_u64_e64 s[2:3], v[5:6]
	s_cbranch_execz .LBB232_8
.LBB232_24:                             ;   in Loop: Header=BB232_9 Depth=1
	s_waitcnt vmcnt(0)
	v_lshlrev_b32_e32 v5, 24, v27
	s_delay_alu instid0(VALU_DEP_1) | instskip(NEXT) | instid1(VALU_DEP_1)
	v_and_b32_e32 v6, 0x7f000000, v5
	v_clz_i32_u32_e32 v7, v6
	v_cmp_ne_u32_e32 vcc_lo, 0, v6
	v_add_nc_u32_e32 v9, 0x1000000, v6
	s_delay_alu instid0(VALU_DEP_3) | instskip(NEXT) | instid1(VALU_DEP_1)
	v_min_u32_e32 v7, 32, v7
	v_sub_nc_u32_e64 v7, v7, 4 clamp
	s_delay_alu instid0(VALU_DEP_1) | instskip(SKIP_1) | instid1(VALU_DEP_2)
	v_lshlrev_b32_e32 v8, v7, v6
	v_lshlrev_b32_e32 v7, 23, v7
	v_lshrrev_b32_e32 v8, 4, v8
	s_delay_alu instid0(VALU_DEP_1) | instskip(SKIP_1) | instid1(VALU_DEP_2)
	v_sub_nc_u32_e32 v7, v8, v7
	v_ashrrev_i32_e32 v8, 8, v9
	v_add_nc_u32_e32 v7, 0x3c000000, v7
	s_delay_alu instid0(VALU_DEP_1) | instskip(NEXT) | instid1(VALU_DEP_1)
	v_and_or_b32 v7, 0x7f800000, v8, v7
	v_cndmask_b32_e32 v6, 0, v7, vcc_lo
	s_delay_alu instid0(VALU_DEP_1) | instskip(NEXT) | instid1(VALU_DEP_1)
	v_and_or_b32 v5, 0x80000000, v5, v6
	v_cvt_i32_f32_e32 v7, v5
	v_add_co_u32 v5, vcc_lo, v1, s8
	v_add_co_ci_u32_e32 v6, vcc_lo, 0, v2, vcc_lo
	global_store_b16 v[5:6], v7, off
	s_branch .LBB232_8
.LBB232_25:
	s_nop 0
	s_sendmsg sendmsg(MSG_DEALLOC_VGPRS)
	s_endpgm
	.section	.rodata,"a",@progbits
	.p2align	6, 0x0
	.amdhsa_kernel _ZN2at6native12_GLOBAL__N_125multi_tensor_apply_kernelINS1_18TensorListMetadataILi2EEENS1_11CopyFunctorIsN3c1013Float8_e4m3fnELi2ELi1ELi1EEEJNS0_4CopyIsS7_EEEEEvT_T0_DpT1_
		.amdhsa_group_segment_fixed_size 0
		.amdhsa_private_segment_fixed_size 0
		.amdhsa_kernarg_size 3408
		.amdhsa_user_sgpr_count 15
		.amdhsa_user_sgpr_dispatch_ptr 0
		.amdhsa_user_sgpr_queue_ptr 0
		.amdhsa_user_sgpr_kernarg_segment_ptr 1
		.amdhsa_user_sgpr_dispatch_id 0
		.amdhsa_user_sgpr_private_segment_size 0
		.amdhsa_wavefront_size32 1
		.amdhsa_uses_dynamic_stack 0
		.amdhsa_enable_private_segment 0
		.amdhsa_system_sgpr_workgroup_id_x 1
		.amdhsa_system_sgpr_workgroup_id_y 0
		.amdhsa_system_sgpr_workgroup_id_z 0
		.amdhsa_system_sgpr_workgroup_info 0
		.amdhsa_system_vgpr_workitem_id 0
		.amdhsa_next_free_vgpr 33
		.amdhsa_next_free_sgpr 21
		.amdhsa_reserve_vcc 1
		.amdhsa_float_round_mode_32 0
		.amdhsa_float_round_mode_16_64 0
		.amdhsa_float_denorm_mode_32 3
		.amdhsa_float_denorm_mode_16_64 3
		.amdhsa_dx10_clamp 1
		.amdhsa_ieee_mode 1
		.amdhsa_fp16_overflow 0
		.amdhsa_workgroup_processor_mode 1
		.amdhsa_memory_ordered 1
		.amdhsa_forward_progress 0
		.amdhsa_shared_vgpr_count 0
		.amdhsa_exception_fp_ieee_invalid_op 0
		.amdhsa_exception_fp_denorm_src 0
		.amdhsa_exception_fp_ieee_div_zero 0
		.amdhsa_exception_fp_ieee_overflow 0
		.amdhsa_exception_fp_ieee_underflow 0
		.amdhsa_exception_fp_ieee_inexact 0
		.amdhsa_exception_int_div_zero 0
	.end_amdhsa_kernel
	.section	.text._ZN2at6native12_GLOBAL__N_125multi_tensor_apply_kernelINS1_18TensorListMetadataILi2EEENS1_11CopyFunctorIsN3c1013Float8_e4m3fnELi2ELi1ELi1EEEJNS0_4CopyIsS7_EEEEEvT_T0_DpT1_,"axG",@progbits,_ZN2at6native12_GLOBAL__N_125multi_tensor_apply_kernelINS1_18TensorListMetadataILi2EEENS1_11CopyFunctorIsN3c1013Float8_e4m3fnELi2ELi1ELi1EEEJNS0_4CopyIsS7_EEEEEvT_T0_DpT1_,comdat
.Lfunc_end232:
	.size	_ZN2at6native12_GLOBAL__N_125multi_tensor_apply_kernelINS1_18TensorListMetadataILi2EEENS1_11CopyFunctorIsN3c1013Float8_e4m3fnELi2ELi1ELi1EEEJNS0_4CopyIsS7_EEEEEvT_T0_DpT1_, .Lfunc_end232-_ZN2at6native12_GLOBAL__N_125multi_tensor_apply_kernelINS1_18TensorListMetadataILi2EEENS1_11CopyFunctorIsN3c1013Float8_e4m3fnELi2ELi1ELi1EEEJNS0_4CopyIsS7_EEEEEvT_T0_DpT1_
                                        ; -- End function
	.section	.AMDGPU.csdata,"",@progbits
; Kernel info:
; codeLenInByte = 2332
; NumSgprs: 23
; NumVgprs: 33
; ScratchSize: 0
; MemoryBound: 0
; FloatMode: 240
; IeeeMode: 1
; LDSByteSize: 0 bytes/workgroup (compile time only)
; SGPRBlocks: 2
; VGPRBlocks: 4
; NumSGPRsForWavesPerEU: 23
; NumVGPRsForWavesPerEU: 33
; Occupancy: 16
; WaveLimiterHint : 0
; COMPUTE_PGM_RSRC2:SCRATCH_EN: 0
; COMPUTE_PGM_RSRC2:USER_SGPR: 15
; COMPUTE_PGM_RSRC2:TRAP_HANDLER: 0
; COMPUTE_PGM_RSRC2:TGID_X_EN: 1
; COMPUTE_PGM_RSRC2:TGID_Y_EN: 0
; COMPUTE_PGM_RSRC2:TGID_Z_EN: 0
; COMPUTE_PGM_RSRC2:TIDIG_COMP_CNT: 0
	.section	.text._ZN2at6native12_GLOBAL__N_125multi_tensor_apply_kernelINS1_18TensorListMetadataILi2EEENS1_11CopyFunctorIsN3c1015Float8_e4m3fnuzELi2ELi1ELi1EEEJNS0_4CopyIsS7_EEEEEvT_T0_DpT1_,"axG",@progbits,_ZN2at6native12_GLOBAL__N_125multi_tensor_apply_kernelINS1_18TensorListMetadataILi2EEENS1_11CopyFunctorIsN3c1015Float8_e4m3fnuzELi2ELi1ELi1EEEJNS0_4CopyIsS7_EEEEEvT_T0_DpT1_,comdat
	.globl	_ZN2at6native12_GLOBAL__N_125multi_tensor_apply_kernelINS1_18TensorListMetadataILi2EEENS1_11CopyFunctorIsN3c1015Float8_e4m3fnuzELi2ELi1ELi1EEEJNS0_4CopyIsS7_EEEEEvT_T0_DpT1_ ; -- Begin function _ZN2at6native12_GLOBAL__N_125multi_tensor_apply_kernelINS1_18TensorListMetadataILi2EEENS1_11CopyFunctorIsN3c1015Float8_e4m3fnuzELi2ELi1ELi1EEEJNS0_4CopyIsS7_EEEEEvT_T0_DpT1_
	.p2align	8
	.type	_ZN2at6native12_GLOBAL__N_125multi_tensor_apply_kernelINS1_18TensorListMetadataILi2EEENS1_11CopyFunctorIsN3c1015Float8_e4m3fnuzELi2ELi1ELi1EEEJNS0_4CopyIsS7_EEEEEvT_T0_DpT1_,@function
_ZN2at6native12_GLOBAL__N_125multi_tensor_apply_kernelINS1_18TensorListMetadataILi2EEENS1_11CopyFunctorIsN3c1015Float8_e4m3fnuzELi2ELi1ELi1EEEJNS0_4CopyIsS7_EEEEEvT_T0_DpT1_: ; @_ZN2at6native12_GLOBAL__N_125multi_tensor_apply_kernelINS1_18TensorListMetadataILi2EEENS1_11CopyFunctorIsN3c1015Float8_e4m3fnuzELi2ELi1ELi1EEEJNS0_4CopyIsS7_EEEEEvT_T0_DpT1_
; %bb.0:
	v_mov_b32_e32 v1, s15
	s_add_u32 s2, s0, s15
	s_mul_hi_u32 s3, s15, 3
	s_mul_i32 s15, s15, 3
	s_addc_u32 s4, s1, 0
	global_load_u8 v1, v1, s[0:1] offset:1536
	s_add_u32 s2, s2, s15
	s_addc_u32 s3, s4, s3
	s_mov_b32 s17, 0
	s_load_b32 s10, s[2:3], 0x740
	s_mov_b32 s19, s17
	s_waitcnt lgkmcnt(0)
	s_ashr_i32 s11, s10, 31
	s_delay_alu instid0(SALU_CYCLE_1) | instskip(SKIP_2) | instid1(VALU_DEP_1)
	s_lshl_b64 s[8:9], s[10:11], 16
	s_waitcnt vmcnt(0)
	v_readfirstlane_b32 s5, v1
	s_lshl_b32 s2, s5, 3
	s_clause 0x2
	s_load_b64 s[6:7], s[0:1], s2 offset:0x0
	s_load_b64 s[12:13], s[0:1], s2 offset:0x200
	;; [unrolled: 1-line block ×3, first 2 shown]
	s_waitcnt lgkmcnt(0)
	s_add_u32 s3, s6, s8
	s_addc_u32 s14, s7, s9
	s_and_b32 s2, s12, 7
	s_and_b32 s15, s4, 3
	;; [unrolled: 1-line block ×3, first 2 shown]
	s_or_b32 s18, s15, s2
	s_mov_b32 s2, -1
	s_or_b64 s[16:17], s[16:17], s[18:19]
	s_sub_u32 s4, s4, s8
	s_subb_u32 s5, s5, s9
	s_cmp_eq_u64 s[16:17], 0
	s_cbranch_scc0 .LBB233_29
; %bb.1:
	v_dual_mov_b32 v2, 0 :: v_dual_lshlrev_b32 v1, 2, v0
	s_mov_b32 s15, exec_lo
	s_delay_alu instid0(VALU_DEP_1)
	v_cmpx_gt_i64_e64 s[4:5], v[1:2]
	s_cbranch_execz .LBB233_28
; %bb.2:
	s_load_b32 s2, s[0:1], 0xc5c
	v_lshlrev_b32_e32 v3, 3, v0
	s_lshl_b64 s[18:19], s[10:11], 17
	s_waitcnt lgkmcnt(0)
	s_and_b32 s2, s2, 0xffff
	s_delay_alu instid0(SALU_CYCLE_1) | instskip(SKIP_3) | instid1(VALU_DEP_1)
	s_lshl_b32 s16, s2, 2
	s_add_u32 s17, s12, s18
	s_addc_u32 s18, s13, s19
	v_add_co_u32 v3, s17, s17, v3
	v_add_co_ci_u32_e64 v4, null, s18, 0, s17
	s_mov_b32 s17, 0
	s_lshl_b32 s18, s2, 3
	s_branch .LBB233_4
.LBB233_3:                              ;   in Loop: Header=BB233_4 Depth=1
	s_or_b32 exec_lo, exec_lo, s19
	v_add_co_u32 v1, vcc_lo, s16, v1
	v_add_co_ci_u32_e32 v2, vcc_lo, 0, v2, vcc_lo
	v_perm_b32 v8, v10, v8, 0x5040100
	v_perm_b32 v7, v7, v6, 0x5040100
	s_delay_alu instid0(VALU_DEP_3)
	v_cmp_le_i64_e32 vcc_lo, s[4:5], v[1:2]
	v_cmp_lt_u64_e64 s2, 0xffff, v[1:2]
	global_store_b64 v[3:4], v[7:8], off
	s_or_b32 s2, vcc_lo, s2
	v_add_co_u32 v3, vcc_lo, v3, s18
	v_add_co_ci_u32_e32 v4, vcc_lo, 0, v4, vcc_lo
	s_and_b32 s2, exec_lo, s2
	s_delay_alu instid0(SALU_CYCLE_1) | instskip(NEXT) | instid1(SALU_CYCLE_1)
	s_or_b32 s17, s2, s17
	s_and_not1_b32 exec_lo, exec_lo, s17
	s_cbranch_execz .LBB233_28
.LBB233_4:                              ; =>This Inner Loop Header: Depth=1
	v_add_co_u32 v5, vcc_lo, s3, v1
	v_add_co_ci_u32_e32 v6, vcc_lo, s14, v2, vcc_lo
	s_mov_b32 s2, 0
	s_mov_b32 s19, exec_lo
                                        ; implicit-def: $sgpr20
	global_load_b32 v5, v[5:6], off
	s_waitcnt vmcnt(0)
	v_and_b32_e32 v7, 0xff, v5
	s_delay_alu instid0(VALU_DEP_1)
	v_cmpx_lt_i16_e32 0x7f, v7
	s_xor_b32 s19, exec_lo, s19
	s_cbranch_execnz .LBB233_19
; %bb.5:                                ;   in Loop: Header=BB233_4 Depth=1
	s_or_saveexec_b32 s19, s19
	v_mov_b32_e32 v6, s20
	s_xor_b32 exec_lo, exec_lo, s19
	s_cbranch_execnz .LBB233_20
.LBB233_6:                              ;   in Loop: Header=BB233_4 Depth=1
	s_or_b32 exec_lo, exec_lo, s19
	s_and_saveexec_b32 s19, s2
	s_cbranch_execz .LBB233_8
.LBB233_7:                              ;   in Loop: Header=BB233_4 Depth=1
	v_bfe_u32 v9, v5, 3, 4
	v_lshlrev_b32_e32 v10, 24, v5
	s_delay_alu instid0(VALU_DEP_2) | instskip(SKIP_1) | instid1(VALU_DEP_1)
	v_cmp_eq_u32_e32 vcc_lo, 0, v9
	v_and_b32_e32 v6, 7, v5
	v_clz_i32_u32_e32 v7, v6
	s_delay_alu instid0(VALU_DEP_1) | instskip(NEXT) | instid1(VALU_DEP_1)
	v_min_u32_e32 v7, 32, v7
	v_subrev_nc_u32_e32 v8, 28, v7
	v_sub_nc_u32_e32 v7, 29, v7
	s_delay_alu instid0(VALU_DEP_1) | instskip(NEXT) | instid1(VALU_DEP_1)
	v_dual_cndmask_b32 v7, v9, v7 :: v_dual_lshlrev_b32 v8, v8, v5
	v_and_b32_e32 v8, 7, v8
	s_delay_alu instid0(VALU_DEP_2) | instskip(NEXT) | instid1(VALU_DEP_2)
	v_lshl_add_u32 v7, v7, 23, 0x3b800000
	v_cndmask_b32_e32 v6, v6, v8, vcc_lo
	v_and_b32_e32 v8, 0x80000000, v10
	s_delay_alu instid0(VALU_DEP_2) | instskip(NEXT) | instid1(VALU_DEP_1)
	v_lshlrev_b32_e32 v6, 20, v6
	v_or3_b32 v6, v8, v7, v6
	s_delay_alu instid0(VALU_DEP_1)
	v_cvt_i32_f32_e32 v6, v6
.LBB233_8:                              ;   in Loop: Header=BB233_4 Depth=1
	s_or_b32 exec_lo, exec_lo, s19
	v_lshrrev_b32_e32 v8, 8, v5
	s_mov_b32 s2, 0
	s_mov_b32 s19, exec_lo
                                        ; implicit-def: $sgpr20
	s_delay_alu instid0(VALU_DEP_1) | instskip(NEXT) | instid1(VALU_DEP_1)
	v_and_b32_e32 v9, 0xff, v8
	v_cmpx_lt_i16_e32 0x7f, v9
	s_xor_b32 s19, exec_lo, s19
	s_cbranch_execnz .LBB233_21
; %bb.9:                                ;   in Loop: Header=BB233_4 Depth=1
	s_or_saveexec_b32 s19, s19
	v_mov_b32_e32 v7, s20
	s_xor_b32 exec_lo, exec_lo, s19
	s_cbranch_execnz .LBB233_22
.LBB233_10:                             ;   in Loop: Header=BB233_4 Depth=1
	s_or_b32 exec_lo, exec_lo, s19
	s_and_saveexec_b32 s19, s2
	s_cbranch_execz .LBB233_12
.LBB233_11:                             ;   in Loop: Header=BB233_4 Depth=1
	v_bfe_u32 v7, v5, 8, 3
	v_bfe_u32 v11, v5, 11, 4
	s_delay_alu instid0(VALU_DEP_2) | instskip(NEXT) | instid1(VALU_DEP_2)
	v_clz_i32_u32_e32 v9, v7
	v_cmp_eq_u32_e32 vcc_lo, 0, v11
	s_delay_alu instid0(VALU_DEP_2) | instskip(NEXT) | instid1(VALU_DEP_1)
	v_min_u32_e32 v9, 32, v9
	v_subrev_nc_u32_e32 v10, 28, v9
	v_sub_nc_u32_e32 v9, 29, v9
	s_delay_alu instid0(VALU_DEP_1) | instskip(NEXT) | instid1(VALU_DEP_1)
	v_dual_cndmask_b32 v9, v11, v9 :: v_dual_lshlrev_b32 v10, v10, v8
	v_and_b32_e32 v10, 7, v10
	v_lshlrev_b32_e32 v8, 24, v8
	s_delay_alu instid0(VALU_DEP_3) | instskip(NEXT) | instid1(VALU_DEP_2)
	v_lshl_add_u32 v9, v9, 23, 0x3b800000
	v_dual_cndmask_b32 v7, v7, v10 :: v_dual_and_b32 v8, 0x80000000, v8
	s_delay_alu instid0(VALU_DEP_1) | instskip(NEXT) | instid1(VALU_DEP_1)
	v_lshlrev_b32_e32 v7, 20, v7
	v_or3_b32 v7, v8, v9, v7
	s_delay_alu instid0(VALU_DEP_1)
	v_cvt_i32_f32_e32 v7, v7
.LBB233_12:                             ;   in Loop: Header=BB233_4 Depth=1
	s_or_b32 exec_lo, exec_lo, s19
	v_lshrrev_b32_e32 v9, 16, v5
	s_mov_b32 s2, 0
	s_mov_b32 s19, exec_lo
                                        ; implicit-def: $sgpr20
	s_delay_alu instid0(VALU_DEP_1) | instskip(NEXT) | instid1(VALU_DEP_1)
	v_and_b32_e32 v10, 0xff, v9
	v_cmpx_lt_i16_e32 0x7f, v10
	s_xor_b32 s19, exec_lo, s19
	s_cbranch_execnz .LBB233_23
; %bb.13:                               ;   in Loop: Header=BB233_4 Depth=1
	s_or_saveexec_b32 s19, s19
	v_mov_b32_e32 v8, s20
	s_xor_b32 exec_lo, exec_lo, s19
	s_cbranch_execnz .LBB233_24
.LBB233_14:                             ;   in Loop: Header=BB233_4 Depth=1
	s_or_b32 exec_lo, exec_lo, s19
	s_and_saveexec_b32 s19, s2
	s_cbranch_execz .LBB233_16
.LBB233_15:                             ;   in Loop: Header=BB233_4 Depth=1
	v_bfe_u32 v8, v5, 16, 3
	v_bfe_u32 v12, v5, 19, 4
	s_delay_alu instid0(VALU_DEP_2) | instskip(NEXT) | instid1(VALU_DEP_2)
	v_clz_i32_u32_e32 v10, v8
	v_cmp_eq_u32_e32 vcc_lo, 0, v12
	s_delay_alu instid0(VALU_DEP_2) | instskip(NEXT) | instid1(VALU_DEP_1)
	v_min_u32_e32 v10, 32, v10
	v_subrev_nc_u32_e32 v11, 28, v10
	v_sub_nc_u32_e32 v10, 29, v10
	s_delay_alu instid0(VALU_DEP_1) | instskip(NEXT) | instid1(VALU_DEP_1)
	v_dual_cndmask_b32 v10, v12, v10 :: v_dual_lshlrev_b32 v11, v11, v9
	v_and_b32_e32 v11, 7, v11
	v_lshlrev_b32_e32 v9, 24, v9
	s_delay_alu instid0(VALU_DEP_3) | instskip(NEXT) | instid1(VALU_DEP_2)
	v_lshl_add_u32 v10, v10, 23, 0x3b800000
	v_dual_cndmask_b32 v8, v8, v11 :: v_dual_and_b32 v9, 0x80000000, v9
	s_delay_alu instid0(VALU_DEP_1) | instskip(NEXT) | instid1(VALU_DEP_1)
	v_lshlrev_b32_e32 v8, 20, v8
	v_or3_b32 v8, v9, v10, v8
	s_delay_alu instid0(VALU_DEP_1)
	v_cvt_i32_f32_e32 v8, v8
.LBB233_16:                             ;   in Loop: Header=BB233_4 Depth=1
	s_or_b32 exec_lo, exec_lo, s19
	v_lshrrev_b32_e32 v9, 24, v5
	s_mov_b32 s2, 0
	s_mov_b32 s19, exec_lo
                                        ; implicit-def: $sgpr20
	s_delay_alu instid0(VALU_DEP_1)
	v_cmpx_lt_i16_e32 0x7f, v9
	s_xor_b32 s19, exec_lo, s19
	s_cbranch_execnz .LBB233_25
; %bb.17:                               ;   in Loop: Header=BB233_4 Depth=1
	s_or_saveexec_b32 s19, s19
	v_mov_b32_e32 v10, s20
	s_xor_b32 exec_lo, exec_lo, s19
	s_cbranch_execnz .LBB233_26
.LBB233_18:                             ;   in Loop: Header=BB233_4 Depth=1
	s_or_b32 exec_lo, exec_lo, s19
	s_and_saveexec_b32 s19, s2
	s_cbranch_execz .LBB233_3
	s_branch .LBB233_27
.LBB233_19:                             ;   in Loop: Header=BB233_4 Depth=1
	v_cmp_ne_u16_e32 vcc_lo, 0x80, v7
	s_mov_b32 s20, 0
                                        ; implicit-def: $vgpr7
	s_and_b32 s2, vcc_lo, exec_lo
	s_or_saveexec_b32 s19, s19
	v_mov_b32_e32 v6, s20
	s_xor_b32 exec_lo, exec_lo, s19
	s_cbranch_execz .LBB233_6
.LBB233_20:                             ;   in Loop: Header=BB233_4 Depth=1
	v_cmp_ne_u16_e32 vcc_lo, 0, v7
	v_mov_b32_e32 v6, 0
	s_and_not1_b32 s2, s2, exec_lo
	s_and_b32 s20, vcc_lo, exec_lo
	s_delay_alu instid0(SALU_CYCLE_1)
	s_or_b32 s2, s2, s20
	s_or_b32 exec_lo, exec_lo, s19
	s_and_saveexec_b32 s19, s2
	s_cbranch_execnz .LBB233_7
	s_branch .LBB233_8
.LBB233_21:                             ;   in Loop: Header=BB233_4 Depth=1
	v_cmp_ne_u16_e32 vcc_lo, 0x80, v9
	s_mov_b32 s20, 0
                                        ; implicit-def: $vgpr9
	s_and_b32 s2, vcc_lo, exec_lo
	s_or_saveexec_b32 s19, s19
	v_mov_b32_e32 v7, s20
	s_xor_b32 exec_lo, exec_lo, s19
	s_cbranch_execz .LBB233_10
.LBB233_22:                             ;   in Loop: Header=BB233_4 Depth=1
	v_cmp_ne_u16_e32 vcc_lo, 0, v9
	v_mov_b32_e32 v7, 0
	s_and_not1_b32 s2, s2, exec_lo
	s_and_b32 s20, vcc_lo, exec_lo
	s_delay_alu instid0(SALU_CYCLE_1)
	s_or_b32 s2, s2, s20
	s_or_b32 exec_lo, exec_lo, s19
	s_and_saveexec_b32 s19, s2
	s_cbranch_execnz .LBB233_11
	s_branch .LBB233_12
.LBB233_23:                             ;   in Loop: Header=BB233_4 Depth=1
	v_cmp_ne_u16_e32 vcc_lo, 0x80, v10
	s_mov_b32 s20, 0
                                        ; implicit-def: $vgpr10
	s_and_b32 s2, vcc_lo, exec_lo
	s_or_saveexec_b32 s19, s19
	v_mov_b32_e32 v8, s20
	s_xor_b32 exec_lo, exec_lo, s19
	s_cbranch_execz .LBB233_14
.LBB233_24:                             ;   in Loop: Header=BB233_4 Depth=1
	v_cmp_ne_u16_e32 vcc_lo, 0, v10
	v_mov_b32_e32 v8, 0
	s_and_not1_b32 s2, s2, exec_lo
	s_and_b32 s20, vcc_lo, exec_lo
	s_delay_alu instid0(SALU_CYCLE_1)
	s_or_b32 s2, s2, s20
	s_or_b32 exec_lo, exec_lo, s19
	s_and_saveexec_b32 s19, s2
	s_cbranch_execnz .LBB233_15
	s_branch .LBB233_16
.LBB233_25:                             ;   in Loop: Header=BB233_4 Depth=1
	v_cmp_ne_u16_e32 vcc_lo, 0x80, v9
	s_mov_b32 s20, 0
	s_and_b32 s2, vcc_lo, exec_lo
	s_or_saveexec_b32 s19, s19
	v_mov_b32_e32 v10, s20
	s_xor_b32 exec_lo, exec_lo, s19
	s_cbranch_execz .LBB233_18
.LBB233_26:                             ;   in Loop: Header=BB233_4 Depth=1
	v_cmp_ne_u16_e32 vcc_lo, 0, v9
	v_mov_b32_e32 v10, 0
	s_and_not1_b32 s2, s2, exec_lo
	s_and_b32 s20, vcc_lo, exec_lo
	s_delay_alu instid0(SALU_CYCLE_1)
	s_or_b32 s2, s2, s20
	s_or_b32 exec_lo, exec_lo, s19
	s_and_saveexec_b32 s19, s2
	s_cbranch_execz .LBB233_3
.LBB233_27:                             ;   in Loop: Header=BB233_4 Depth=1
	v_bfe_u32 v10, v5, 24, 3
	s_delay_alu instid0(VALU_DEP_1) | instskip(NEXT) | instid1(VALU_DEP_1)
	v_clz_i32_u32_e32 v11, v10
	v_min_u32_e32 v11, 32, v11
	s_delay_alu instid0(VALU_DEP_1) | instskip(SKIP_1) | instid1(VALU_DEP_2)
	v_subrev_nc_u32_e32 v12, 28, v11
	v_sub_nc_u32_e32 v11, 29, v11
	v_lshlrev_b32_e32 v9, v12, v9
	v_bfe_u32 v12, v5, 27, 4
	v_and_b32_e32 v5, 0x80000000, v5
	s_delay_alu instid0(VALU_DEP_3) | instskip(NEXT) | instid1(VALU_DEP_3)
	v_and_b32_e32 v9, 7, v9
	v_cmp_eq_u32_e32 vcc_lo, 0, v12
	v_cndmask_b32_e32 v11, v12, v11, vcc_lo
	s_delay_alu instid0(VALU_DEP_3) | instskip(NEXT) | instid1(VALU_DEP_2)
	v_cndmask_b32_e32 v9, v10, v9, vcc_lo
	v_lshl_add_u32 v10, v11, 23, 0x3b800000
	s_delay_alu instid0(VALU_DEP_2) | instskip(NEXT) | instid1(VALU_DEP_1)
	v_lshlrev_b32_e32 v9, 20, v9
	v_or3_b32 v5, v5, v10, v9
	s_delay_alu instid0(VALU_DEP_1)
	v_cvt_i32_f32_e32 v10, v5
	s_branch .LBB233_3
.LBB233_28:
	s_or_b32 exec_lo, exec_lo, s15
	s_mov_b32 s2, 0
.LBB233_29:
	s_delay_alu instid0(SALU_CYCLE_1)
	s_and_not1_b32 vcc_lo, exec_lo, s2
	s_cbranch_vccnz .LBB233_73
; %bb.30:
	v_cmp_lt_i64_e64 s2, s[4:5], 1
	s_delay_alu instid0(VALU_DEP_1)
	s_and_b32 vcc_lo, exec_lo, s2
	s_cbranch_vccnz .LBB233_73
; %bb.31:
	s_load_b32 s0, s[0:1], 0xc5c
	v_cmp_gt_u64_e64 s1, 0x10000, s[4:5]
	v_add_co_u32 v3, s2, s8, v0
	v_lshlrev_b32_e32 v1, 1, v0
	v_add_co_ci_u32_e64 v4, null, s9, 0, s2
	s_delay_alu instid0(VALU_DEP_3) | instskip(NEXT) | instid1(VALU_DEP_2)
	v_add_co_u32 v13, vcc_lo, s6, v3
                                        ; implicit-def: $vgpr27
                                        ; implicit-def: $vgpr28
                                        ; implicit-def: $vgpr29
                                        ; implicit-def: $vgpr30
	v_add_co_ci_u32_e32 v14, vcc_lo, s7, v4, vcc_lo
	s_waitcnt lgkmcnt(0)
	s_and_b32 s0, s0, 0xffff
	s_and_b32 s1, s1, exec_lo
	s_cselect_b32 s3, s5, 0
	s_cselect_b32 s2, s4, 0x10000
	s_lshl_b64 s[10:11], s[10:11], 17
	s_lshl_b32 s14, s0, 1
	s_lshl_b32 s1, s0, 2
	s_add_u32 s12, s12, s10
	s_mul_i32 s15, s0, 3
	s_addc_u32 s11, s13, s11
	s_lshl_b32 s10, s0, 3
	v_add_co_u32 v1, s16, s12, v1
	s_add_u32 s13, s8, s15
	v_add_co_ci_u32_e64 v2, null, s11, 0, s16
	s_addc_u32 s16, s9, 0
	s_add_u32 s13, s6, s13
	s_addc_u32 s16, s7, s16
	s_add_u32 s8, s8, s14
	;; [unrolled: 2-line block ×3, first 2 shown]
	s_addc_u32 s9, s7, s9
	v_add_co_u32 v19, s8, s8, v0
	s_delay_alu instid0(VALU_DEP_1) | instskip(SKIP_1) | instid1(VALU_DEP_1)
	v_add_co_ci_u32_e64 v20, null, s9, 0, s8
	v_add_co_u32 v21, s8, s14, v0
	v_add_co_ci_u32_e64 v22, null, 0, 0, s8
	v_add_co_u32 v23, s8, v0, s0
	v_add_co_u32 v15, s13, s13, v0
	s_add_u32 s6, s6, s0
	s_delay_alu instid0(VALU_DEP_2)
	v_lshlrev_b32_e32 v5, 1, v23
	v_add_co_ci_u32_e64 v16, null, s16, 0, s13
	v_add_co_u32 v17, s13, s15, v0
	s_addc_u32 s7, s7, 0
	v_add_co_u32 v25, vcc_lo, s6, v3
	v_add_co_u32 v3, s6, s12, v5
	v_add_co_ci_u32_e64 v18, null, 0, 0, s13
	v_add_co_ci_u32_e64 v24, null, 0, 0, s8
	v_add_co_ci_u32_e32 v26, vcc_lo, s7, v4, vcc_lo
	v_add_co_ci_u32_e64 v4, null, s11, 0, s6
	s_mul_i32 s8, s0, 6
	s_mov_b64 s[6:7], 0
	s_branch .LBB233_33
.LBB233_32:                             ;   in Loop: Header=BB233_33 Depth=1
	s_or_b32 exec_lo, exec_lo, s0
	s_add_u32 s6, s6, s1
	s_addc_u32 s7, s7, 0
	v_add_co_u32 v1, vcc_lo, v1, s10
	v_cmp_ge_i64_e64 s0, s[6:7], s[4:5]
	v_cmp_lt_u64_e64 s9, 0xffff, s[6:7]
	v_add_co_ci_u32_e32 v2, vcc_lo, 0, v2, vcc_lo
	v_add_co_u32 v3, vcc_lo, v3, s10
	v_add_co_ci_u32_e32 v4, vcc_lo, 0, v4, vcc_lo
	s_delay_alu instid0(VALU_DEP_4) | instskip(NEXT) | instid1(SALU_CYCLE_1)
	s_or_b32 s0, s0, s9
	s_and_b32 vcc_lo, exec_lo, s0
	s_cbranch_vccnz .LBB233_73
.LBB233_33:                             ; =>This Inner Loop Header: Depth=1
	v_add_co_u32 v5, s0, v0, s6
	s_delay_alu instid0(VALU_DEP_1) | instskip(NEXT) | instid1(VALU_DEP_1)
	v_add_co_ci_u32_e64 v6, null, 0, s7, s0
	v_cmp_gt_i64_e32 vcc_lo, s[4:5], v[5:6]
	v_cmp_gt_u64_e64 s0, 0x10000, v[5:6]
	s_delay_alu instid0(VALU_DEP_1) | instskip(NEXT) | instid1(SALU_CYCLE_1)
	s_and_b32 s9, vcc_lo, s0
	s_and_saveexec_b32 s0, s9
	s_cbranch_execz .LBB233_35
; %bb.34:                               ;   in Loop: Header=BB233_33 Depth=1
	v_add_co_u32 v7, vcc_lo, v13, s6
	v_add_co_ci_u32_e32 v8, vcc_lo, s7, v14, vcc_lo
	global_load_u8 v30, v[7:8], off
.LBB233_35:                             ;   in Loop: Header=BB233_33 Depth=1
	s_or_b32 exec_lo, exec_lo, s0
	v_add_co_u32 v7, vcc_lo, v23, s6
	v_add_co_ci_u32_e32 v8, vcc_lo, s7, v24, vcc_lo
	s_delay_alu instid0(VALU_DEP_1) | instskip(SKIP_1) | instid1(VALU_DEP_1)
	v_cmp_gt_i64_e32 vcc_lo, s[4:5], v[7:8]
	v_cmp_gt_u64_e64 s0, 0x10000, v[7:8]
	s_and_b32 s9, vcc_lo, s0
	s_delay_alu instid0(SALU_CYCLE_1)
	s_and_saveexec_b32 s0, s9
	s_cbranch_execz .LBB233_37
; %bb.36:                               ;   in Loop: Header=BB233_33 Depth=1
	v_add_co_u32 v9, vcc_lo, v25, s6
	v_add_co_ci_u32_e32 v10, vcc_lo, s7, v26, vcc_lo
	global_load_u8 v29, v[9:10], off
.LBB233_37:                             ;   in Loop: Header=BB233_33 Depth=1
	s_or_b32 exec_lo, exec_lo, s0
	v_add_co_u32 v9, vcc_lo, v21, s6
	v_add_co_ci_u32_e32 v10, vcc_lo, s7, v22, vcc_lo
	s_delay_alu instid0(VALU_DEP_1) | instskip(SKIP_1) | instid1(VALU_DEP_1)
	v_cmp_gt_i64_e32 vcc_lo, s[4:5], v[9:10]
	v_cmp_gt_u64_e64 s0, 0x10000, v[9:10]
	s_and_b32 s9, vcc_lo, s0
	s_delay_alu instid0(SALU_CYCLE_1)
	;; [unrolled: 15-line block ×3, first 2 shown]
	s_and_saveexec_b32 s0, s9
	s_cbranch_execz .LBB233_41
; %bb.40:                               ;   in Loop: Header=BB233_33 Depth=1
	v_add_co_u32 v31, vcc_lo, v15, s6
	v_add_co_ci_u32_e32 v32, vcc_lo, s7, v16, vcc_lo
	global_load_u8 v27, v[31:32], off
.LBB233_41:                             ;   in Loop: Header=BB233_33 Depth=1
	s_or_b32 exec_lo, exec_lo, s0
	s_waitcnt vmcnt(0)
	v_and_b32_e32 v32, 0xff, v30
	s_mov_b32 s0, 0
	s_mov_b32 s9, exec_lo
                                        ; implicit-def: $sgpr11
	s_delay_alu instid0(VALU_DEP_1)
	v_cmpx_lt_i16_e32 0x7f, v32
	s_xor_b32 s9, exec_lo, s9
	s_cbranch_execnz .LBB233_61
; %bb.42:                               ;   in Loop: Header=BB233_33 Depth=1
	s_or_saveexec_b32 s9, s9
	v_mov_b32_e32 v31, s11
	s_xor_b32 exec_lo, exec_lo, s9
	s_cbranch_execnz .LBB233_62
.LBB233_43:                             ;   in Loop: Header=BB233_33 Depth=1
	s_or_b32 exec_lo, exec_lo, s9
	s_and_saveexec_b32 s9, s0
	s_cbranch_execz .LBB233_45
.LBB233_44:                             ;   in Loop: Header=BB233_33 Depth=1
	v_lshrrev_b16 v34, 3, v30
	v_lshlrev_b32_e32 v35, 24, v30
	s_delay_alu instid0(VALU_DEP_2) | instskip(NEXT) | instid1(VALU_DEP_1)
	v_and_b32_e32 v34, 15, v34
	v_cmp_eq_u32_e32 vcc_lo, 0, v34
	v_and_b32_e32 v31, 7, v30
	s_delay_alu instid0(VALU_DEP_1) | instskip(NEXT) | instid1(VALU_DEP_1)
	v_clz_i32_u32_e32 v32, v31
	v_min_u32_e32 v32, 32, v32
	s_delay_alu instid0(VALU_DEP_1) | instskip(SKIP_1) | instid1(VALU_DEP_1)
	v_subrev_nc_u32_e32 v33, 28, v32
	v_sub_nc_u32_e32 v32, 29, v32
	v_dual_cndmask_b32 v32, v34, v32 :: v_dual_lshlrev_b32 v33, v33, v30
	s_delay_alu instid0(VALU_DEP_1) | instskip(NEXT) | instid1(VALU_DEP_2)
	v_and_b32_e32 v33, 7, v33
	v_lshl_add_u32 v32, v32, 23, 0x3b800000
	s_delay_alu instid0(VALU_DEP_2) | instskip(SKIP_1) | instid1(VALU_DEP_2)
	v_cndmask_b32_e32 v31, v31, v33, vcc_lo
	v_and_b32_e32 v33, 0x80000000, v35
	v_lshlrev_b32_e32 v31, 20, v31
	s_delay_alu instid0(VALU_DEP_1) | instskip(NEXT) | instid1(VALU_DEP_1)
	v_or3_b32 v31, v33, v32, v31
	v_cvt_i32_f32_e32 v31, v31
.LBB233_45:                             ;   in Loop: Header=BB233_33 Depth=1
	s_or_b32 exec_lo, exec_lo, s9
	v_and_b32_e32 v33, 0xff, v29
	s_mov_b32 s0, 0
	s_mov_b32 s9, exec_lo
                                        ; implicit-def: $sgpr11
	s_delay_alu instid0(VALU_DEP_1)
	v_cmpx_lt_i16_e32 0x7f, v33
	s_xor_b32 s9, exec_lo, s9
	s_cbranch_execnz .LBB233_63
; %bb.46:                               ;   in Loop: Header=BB233_33 Depth=1
	s_or_saveexec_b32 s9, s9
	v_mov_b32_e32 v32, s11
	s_xor_b32 exec_lo, exec_lo, s9
	s_cbranch_execnz .LBB233_64
.LBB233_47:                             ;   in Loop: Header=BB233_33 Depth=1
	s_or_b32 exec_lo, exec_lo, s9
	s_and_saveexec_b32 s9, s0
	s_cbranch_execz .LBB233_49
.LBB233_48:                             ;   in Loop: Header=BB233_33 Depth=1
	v_and_b32_e32 v32, 7, v29
	v_lshrrev_b16 v35, 3, v29
	v_lshlrev_b32_e32 v36, 24, v29
	s_delay_alu instid0(VALU_DEP_3) | instskip(NEXT) | instid1(VALU_DEP_1)
	v_clz_i32_u32_e32 v33, v32
	v_min_u32_e32 v33, 32, v33
	s_delay_alu instid0(VALU_DEP_1) | instskip(SKIP_1) | instid1(VALU_DEP_2)
	v_subrev_nc_u32_e32 v34, 28, v33
	v_sub_nc_u32_e32 v33, 29, v33
	v_lshlrev_b32_e32 v34, v34, v29
	s_delay_alu instid0(VALU_DEP_1) | instskip(SKIP_1) | instid1(VALU_DEP_1)
	v_and_b32_e32 v34, 7, v34
	v_and_b32_e32 v35, 15, v35
	v_cmp_eq_u32_e32 vcc_lo, 0, v35
	s_delay_alu instid0(VALU_DEP_3) | instskip(SKIP_1) | instid1(VALU_DEP_2)
	v_dual_cndmask_b32 v32, v32, v34 :: v_dual_cndmask_b32 v33, v35, v33
	v_and_b32_e32 v34, 0x80000000, v36
	v_lshlrev_b32_e32 v32, 20, v32
	s_delay_alu instid0(VALU_DEP_3) | instskip(NEXT) | instid1(VALU_DEP_1)
	v_lshl_add_u32 v33, v33, 23, 0x3b800000
	v_or3_b32 v32, v34, v33, v32
	s_delay_alu instid0(VALU_DEP_1)
	v_cvt_i32_f32_e32 v32, v32
.LBB233_49:                             ;   in Loop: Header=BB233_33 Depth=1
	s_or_b32 exec_lo, exec_lo, s9
	v_and_b32_e32 v34, 0xff, v28
	s_mov_b32 s0, 0
	s_mov_b32 s9, exec_lo
                                        ; implicit-def: $sgpr11
	s_delay_alu instid0(VALU_DEP_1)
	v_cmpx_lt_i16_e32 0x7f, v34
	s_xor_b32 s9, exec_lo, s9
	s_cbranch_execnz .LBB233_65
; %bb.50:                               ;   in Loop: Header=BB233_33 Depth=1
	s_or_saveexec_b32 s9, s9
	v_mov_b32_e32 v33, s11
	s_xor_b32 exec_lo, exec_lo, s9
	s_cbranch_execnz .LBB233_66
.LBB233_51:                             ;   in Loop: Header=BB233_33 Depth=1
	s_or_b32 exec_lo, exec_lo, s9
	s_and_saveexec_b32 s9, s0
	s_cbranch_execz .LBB233_53
.LBB233_52:                             ;   in Loop: Header=BB233_33 Depth=1
	v_lshrrev_b16 v36, 3, v28
	v_lshlrev_b32_e32 v37, 24, v28
	s_delay_alu instid0(VALU_DEP_2) | instskip(NEXT) | instid1(VALU_DEP_1)
	v_and_b32_e32 v36, 15, v36
	v_cmp_eq_u32_e32 vcc_lo, 0, v36
	v_and_b32_e32 v33, 7, v28
	s_delay_alu instid0(VALU_DEP_1) | instskip(NEXT) | instid1(VALU_DEP_1)
	v_clz_i32_u32_e32 v34, v33
	v_min_u32_e32 v34, 32, v34
	s_delay_alu instid0(VALU_DEP_1) | instskip(SKIP_1) | instid1(VALU_DEP_1)
	v_subrev_nc_u32_e32 v35, 28, v34
	v_sub_nc_u32_e32 v34, 29, v34
	v_dual_cndmask_b32 v34, v36, v34 :: v_dual_lshlrev_b32 v35, v35, v28
	s_delay_alu instid0(VALU_DEP_1) | instskip(NEXT) | instid1(VALU_DEP_2)
	v_and_b32_e32 v35, 7, v35
	v_lshl_add_u32 v34, v34, 23, 0x3b800000
	s_delay_alu instid0(VALU_DEP_2) | instskip(SKIP_1) | instid1(VALU_DEP_2)
	v_cndmask_b32_e32 v33, v33, v35, vcc_lo
	v_and_b32_e32 v35, 0x80000000, v37
	v_lshlrev_b32_e32 v33, 20, v33
	s_delay_alu instid0(VALU_DEP_1) | instskip(NEXT) | instid1(VALU_DEP_1)
	v_or3_b32 v33, v35, v34, v33
	v_cvt_i32_f32_e32 v33, v33
.LBB233_53:                             ;   in Loop: Header=BB233_33 Depth=1
	s_or_b32 exec_lo, exec_lo, s9
	v_and_b32_e32 v35, 0xff, v27
	s_mov_b32 s0, 0
	s_mov_b32 s9, exec_lo
                                        ; implicit-def: $sgpr11
	s_delay_alu instid0(VALU_DEP_1)
	v_cmpx_lt_i16_e32 0x7f, v35
	s_xor_b32 s9, exec_lo, s9
	s_cbranch_execnz .LBB233_67
; %bb.54:                               ;   in Loop: Header=BB233_33 Depth=1
	s_or_saveexec_b32 s9, s9
	v_mov_b32_e32 v34, s11
	s_xor_b32 exec_lo, exec_lo, s9
	s_cbranch_execnz .LBB233_68
.LBB233_55:                             ;   in Loop: Header=BB233_33 Depth=1
	s_or_b32 exec_lo, exec_lo, s9
	s_and_saveexec_b32 s9, s0
	s_cbranch_execz .LBB233_57
.LBB233_56:                             ;   in Loop: Header=BB233_33 Depth=1
	v_and_b32_e32 v34, 7, v27
	v_lshrrev_b16 v37, 3, v27
	v_lshlrev_b32_e32 v38, 24, v27
	s_delay_alu instid0(VALU_DEP_3) | instskip(NEXT) | instid1(VALU_DEP_1)
	v_clz_i32_u32_e32 v35, v34
	v_min_u32_e32 v35, 32, v35
	s_delay_alu instid0(VALU_DEP_1) | instskip(SKIP_1) | instid1(VALU_DEP_2)
	v_subrev_nc_u32_e32 v36, 28, v35
	v_sub_nc_u32_e32 v35, 29, v35
	v_lshlrev_b32_e32 v36, v36, v27
	s_delay_alu instid0(VALU_DEP_1) | instskip(SKIP_1) | instid1(VALU_DEP_1)
	v_and_b32_e32 v36, 7, v36
	v_and_b32_e32 v37, 15, v37
	v_cmp_eq_u32_e32 vcc_lo, 0, v37
	s_delay_alu instid0(VALU_DEP_3) | instskip(SKIP_1) | instid1(VALU_DEP_2)
	v_dual_cndmask_b32 v34, v34, v36 :: v_dual_cndmask_b32 v35, v37, v35
	v_and_b32_e32 v36, 0x80000000, v38
	v_lshlrev_b32_e32 v34, 20, v34
	s_delay_alu instid0(VALU_DEP_3) | instskip(NEXT) | instid1(VALU_DEP_1)
	v_lshl_add_u32 v35, v35, 23, 0x3b800000
	v_or3_b32 v34, v36, v35, v34
	s_delay_alu instid0(VALU_DEP_1)
	v_cvt_i32_f32_e32 v34, v34
.LBB233_57:                             ;   in Loop: Header=BB233_33 Depth=1
	s_or_b32 exec_lo, exec_lo, s9
	s_delay_alu instid0(SALU_CYCLE_1)
	s_mov_b32 s0, exec_lo
	v_cmpx_gt_u64_e64 s[2:3], v[5:6]
	s_xor_b32 s0, exec_lo, s0
	s_cbranch_execnz .LBB233_69
; %bb.58:                               ;   in Loop: Header=BB233_33 Depth=1
	s_or_b32 exec_lo, exec_lo, s0
	s_delay_alu instid0(SALU_CYCLE_1)
	s_mov_b32 s0, exec_lo
	v_cmpx_gt_u64_e64 s[2:3], v[7:8]
	s_cbranch_execnz .LBB233_70
.LBB233_59:                             ;   in Loop: Header=BB233_33 Depth=1
	s_or_b32 exec_lo, exec_lo, s0
	s_delay_alu instid0(SALU_CYCLE_1)
	s_mov_b32 s0, exec_lo
	v_cmpx_gt_u64_e64 s[2:3], v[9:10]
	s_cbranch_execnz .LBB233_71
.LBB233_60:                             ;   in Loop: Header=BB233_33 Depth=1
	s_or_b32 exec_lo, exec_lo, s0
	s_delay_alu instid0(SALU_CYCLE_1)
	s_mov_b32 s0, exec_lo
	v_cmpx_gt_u64_e64 s[2:3], v[11:12]
	s_cbranch_execz .LBB233_32
	s_branch .LBB233_72
.LBB233_61:                             ;   in Loop: Header=BB233_33 Depth=1
	v_cmp_ne_u16_e32 vcc_lo, 0x80, v32
	s_mov_b32 s11, 0
                                        ; implicit-def: $vgpr32
	s_and_b32 s0, vcc_lo, exec_lo
	s_or_saveexec_b32 s9, s9
	v_mov_b32_e32 v31, s11
	s_xor_b32 exec_lo, exec_lo, s9
	s_cbranch_execz .LBB233_43
.LBB233_62:                             ;   in Loop: Header=BB233_33 Depth=1
	v_cmp_ne_u16_e32 vcc_lo, 0, v32
	v_mov_b32_e32 v31, 0
	s_and_not1_b32 s0, s0, exec_lo
	s_and_b32 s11, vcc_lo, exec_lo
	s_delay_alu instid0(SALU_CYCLE_1)
	s_or_b32 s0, s0, s11
	s_or_b32 exec_lo, exec_lo, s9
	s_and_saveexec_b32 s9, s0
	s_cbranch_execnz .LBB233_44
	s_branch .LBB233_45
.LBB233_63:                             ;   in Loop: Header=BB233_33 Depth=1
	v_cmp_ne_u16_e32 vcc_lo, 0x80, v33
	s_mov_b32 s11, 0
                                        ; implicit-def: $vgpr33
	s_and_b32 s0, vcc_lo, exec_lo
	s_or_saveexec_b32 s9, s9
	v_mov_b32_e32 v32, s11
	s_xor_b32 exec_lo, exec_lo, s9
	s_cbranch_execz .LBB233_47
.LBB233_64:                             ;   in Loop: Header=BB233_33 Depth=1
	v_cmp_ne_u16_e32 vcc_lo, 0, v33
	v_mov_b32_e32 v32, 0
	s_and_not1_b32 s0, s0, exec_lo
	s_and_b32 s11, vcc_lo, exec_lo
	s_delay_alu instid0(SALU_CYCLE_1)
	s_or_b32 s0, s0, s11
	s_or_b32 exec_lo, exec_lo, s9
	s_and_saveexec_b32 s9, s0
	s_cbranch_execnz .LBB233_48
	s_branch .LBB233_49
.LBB233_65:                             ;   in Loop: Header=BB233_33 Depth=1
	v_cmp_ne_u16_e32 vcc_lo, 0x80, v34
	s_mov_b32 s11, 0
                                        ; implicit-def: $vgpr34
	s_and_b32 s0, vcc_lo, exec_lo
	s_or_saveexec_b32 s9, s9
	v_mov_b32_e32 v33, s11
	s_xor_b32 exec_lo, exec_lo, s9
	s_cbranch_execz .LBB233_51
.LBB233_66:                             ;   in Loop: Header=BB233_33 Depth=1
	v_cmp_ne_u16_e32 vcc_lo, 0, v34
	v_mov_b32_e32 v33, 0
	s_and_not1_b32 s0, s0, exec_lo
	s_and_b32 s11, vcc_lo, exec_lo
	s_delay_alu instid0(SALU_CYCLE_1)
	s_or_b32 s0, s0, s11
	s_or_b32 exec_lo, exec_lo, s9
	s_and_saveexec_b32 s9, s0
	s_cbranch_execnz .LBB233_52
	s_branch .LBB233_53
.LBB233_67:                             ;   in Loop: Header=BB233_33 Depth=1
	v_cmp_ne_u16_e32 vcc_lo, 0x80, v35
	s_mov_b32 s11, 0
                                        ; implicit-def: $vgpr35
	s_and_b32 s0, vcc_lo, exec_lo
	s_or_saveexec_b32 s9, s9
	v_mov_b32_e32 v34, s11
	s_xor_b32 exec_lo, exec_lo, s9
	s_cbranch_execz .LBB233_55
.LBB233_68:                             ;   in Loop: Header=BB233_33 Depth=1
	v_cmp_ne_u16_e32 vcc_lo, 0, v35
	v_mov_b32_e32 v34, 0
	s_and_not1_b32 s0, s0, exec_lo
	s_and_b32 s11, vcc_lo, exec_lo
	s_delay_alu instid0(SALU_CYCLE_1)
	s_or_b32 s0, s0, s11
	s_or_b32 exec_lo, exec_lo, s9
	s_and_saveexec_b32 s9, s0
	s_cbranch_execnz .LBB233_56
	s_branch .LBB233_57
.LBB233_69:                             ;   in Loop: Header=BB233_33 Depth=1
	global_store_b16 v[1:2], v31, off
	s_or_b32 exec_lo, exec_lo, s0
	s_delay_alu instid0(SALU_CYCLE_1)
	s_mov_b32 s0, exec_lo
	v_cmpx_gt_u64_e64 s[2:3], v[7:8]
	s_cbranch_execz .LBB233_59
.LBB233_70:                             ;   in Loop: Header=BB233_33 Depth=1
	global_store_b16 v[3:4], v32, off
	s_or_b32 exec_lo, exec_lo, s0
	s_delay_alu instid0(SALU_CYCLE_1)
	s_mov_b32 s0, exec_lo
	v_cmpx_gt_u64_e64 s[2:3], v[9:10]
	s_cbranch_execz .LBB233_60
.LBB233_71:                             ;   in Loop: Header=BB233_33 Depth=1
	v_add_co_u32 v5, vcc_lo, v1, s1
	v_add_co_ci_u32_e32 v6, vcc_lo, 0, v2, vcc_lo
	global_store_b16 v[5:6], v33, off
	s_or_b32 exec_lo, exec_lo, s0
	s_delay_alu instid0(SALU_CYCLE_1)
	s_mov_b32 s0, exec_lo
	v_cmpx_gt_u64_e64 s[2:3], v[11:12]
	s_cbranch_execz .LBB233_32
.LBB233_72:                             ;   in Loop: Header=BB233_33 Depth=1
	v_add_co_u32 v5, vcc_lo, v1, s8
	v_add_co_ci_u32_e32 v6, vcc_lo, 0, v2, vcc_lo
	global_store_b16 v[5:6], v34, off
	s_branch .LBB233_32
.LBB233_73:
	s_nop 0
	s_sendmsg sendmsg(MSG_DEALLOC_VGPRS)
	s_endpgm
	.section	.rodata,"a",@progbits
	.p2align	6, 0x0
	.amdhsa_kernel _ZN2at6native12_GLOBAL__N_125multi_tensor_apply_kernelINS1_18TensorListMetadataILi2EEENS1_11CopyFunctorIsN3c1015Float8_e4m3fnuzELi2ELi1ELi1EEEJNS0_4CopyIsS7_EEEEEvT_T0_DpT1_
		.amdhsa_group_segment_fixed_size 0
		.amdhsa_private_segment_fixed_size 0
		.amdhsa_kernarg_size 3408
		.amdhsa_user_sgpr_count 15
		.amdhsa_user_sgpr_dispatch_ptr 0
		.amdhsa_user_sgpr_queue_ptr 0
		.amdhsa_user_sgpr_kernarg_segment_ptr 1
		.amdhsa_user_sgpr_dispatch_id 0
		.amdhsa_user_sgpr_private_segment_size 0
		.amdhsa_wavefront_size32 1
		.amdhsa_uses_dynamic_stack 0
		.amdhsa_enable_private_segment 0
		.amdhsa_system_sgpr_workgroup_id_x 1
		.amdhsa_system_sgpr_workgroup_id_y 0
		.amdhsa_system_sgpr_workgroup_id_z 0
		.amdhsa_system_sgpr_workgroup_info 0
		.amdhsa_system_vgpr_workitem_id 0
		.amdhsa_next_free_vgpr 39
		.amdhsa_next_free_sgpr 21
		.amdhsa_reserve_vcc 1
		.amdhsa_float_round_mode_32 0
		.amdhsa_float_round_mode_16_64 0
		.amdhsa_float_denorm_mode_32 3
		.amdhsa_float_denorm_mode_16_64 3
		.amdhsa_dx10_clamp 1
		.amdhsa_ieee_mode 1
		.amdhsa_fp16_overflow 0
		.amdhsa_workgroup_processor_mode 1
		.amdhsa_memory_ordered 1
		.amdhsa_forward_progress 0
		.amdhsa_shared_vgpr_count 0
		.amdhsa_exception_fp_ieee_invalid_op 0
		.amdhsa_exception_fp_denorm_src 0
		.amdhsa_exception_fp_ieee_div_zero 0
		.amdhsa_exception_fp_ieee_overflow 0
		.amdhsa_exception_fp_ieee_underflow 0
		.amdhsa_exception_fp_ieee_inexact 0
		.amdhsa_exception_int_div_zero 0
	.end_amdhsa_kernel
	.section	.text._ZN2at6native12_GLOBAL__N_125multi_tensor_apply_kernelINS1_18TensorListMetadataILi2EEENS1_11CopyFunctorIsN3c1015Float8_e4m3fnuzELi2ELi1ELi1EEEJNS0_4CopyIsS7_EEEEEvT_T0_DpT1_,"axG",@progbits,_ZN2at6native12_GLOBAL__N_125multi_tensor_apply_kernelINS1_18TensorListMetadataILi2EEENS1_11CopyFunctorIsN3c1015Float8_e4m3fnuzELi2ELi1ELi1EEEJNS0_4CopyIsS7_EEEEEvT_T0_DpT1_,comdat
.Lfunc_end233:
	.size	_ZN2at6native12_GLOBAL__N_125multi_tensor_apply_kernelINS1_18TensorListMetadataILi2EEENS1_11CopyFunctorIsN3c1015Float8_e4m3fnuzELi2ELi1ELi1EEEJNS0_4CopyIsS7_EEEEEvT_T0_DpT1_, .Lfunc_end233-_ZN2at6native12_GLOBAL__N_125multi_tensor_apply_kernelINS1_18TensorListMetadataILi2EEENS1_11CopyFunctorIsN3c1015Float8_e4m3fnuzELi2ELi1ELi1EEEJNS0_4CopyIsS7_EEEEEvT_T0_DpT1_
                                        ; -- End function
	.section	.AMDGPU.csdata,"",@progbits
; Kernel info:
; codeLenInByte = 3384
; NumSgprs: 23
; NumVgprs: 39
; ScratchSize: 0
; MemoryBound: 0
; FloatMode: 240
; IeeeMode: 1
; LDSByteSize: 0 bytes/workgroup (compile time only)
; SGPRBlocks: 2
; VGPRBlocks: 4
; NumSGPRsForWavesPerEU: 23
; NumVGPRsForWavesPerEU: 39
; Occupancy: 16
; WaveLimiterHint : 0
; COMPUTE_PGM_RSRC2:SCRATCH_EN: 0
; COMPUTE_PGM_RSRC2:USER_SGPR: 15
; COMPUTE_PGM_RSRC2:TRAP_HANDLER: 0
; COMPUTE_PGM_RSRC2:TGID_X_EN: 1
; COMPUTE_PGM_RSRC2:TGID_Y_EN: 0
; COMPUTE_PGM_RSRC2:TGID_Z_EN: 0
; COMPUTE_PGM_RSRC2:TIDIG_COMP_CNT: 0
	.section	.text._ZN2at6native12_GLOBAL__N_125multi_tensor_apply_kernelINS1_18TensorListMetadataILi2EEENS1_11CopyFunctorIsN3c1011Float8_e5m2ELi2ELi1ELi1EEEJNS0_4CopyIsS7_EEEEEvT_T0_DpT1_,"axG",@progbits,_ZN2at6native12_GLOBAL__N_125multi_tensor_apply_kernelINS1_18TensorListMetadataILi2EEENS1_11CopyFunctorIsN3c1011Float8_e5m2ELi2ELi1ELi1EEEJNS0_4CopyIsS7_EEEEEvT_T0_DpT1_,comdat
	.globl	_ZN2at6native12_GLOBAL__N_125multi_tensor_apply_kernelINS1_18TensorListMetadataILi2EEENS1_11CopyFunctorIsN3c1011Float8_e5m2ELi2ELi1ELi1EEEJNS0_4CopyIsS7_EEEEEvT_T0_DpT1_ ; -- Begin function _ZN2at6native12_GLOBAL__N_125multi_tensor_apply_kernelINS1_18TensorListMetadataILi2EEENS1_11CopyFunctorIsN3c1011Float8_e5m2ELi2ELi1ELi1EEEJNS0_4CopyIsS7_EEEEEvT_T0_DpT1_
	.p2align	8
	.type	_ZN2at6native12_GLOBAL__N_125multi_tensor_apply_kernelINS1_18TensorListMetadataILi2EEENS1_11CopyFunctorIsN3c1011Float8_e5m2ELi2ELi1ELi1EEEJNS0_4CopyIsS7_EEEEEvT_T0_DpT1_,@function
_ZN2at6native12_GLOBAL__N_125multi_tensor_apply_kernelINS1_18TensorListMetadataILi2EEENS1_11CopyFunctorIsN3c1011Float8_e5m2ELi2ELi1ELi1EEEJNS0_4CopyIsS7_EEEEEvT_T0_DpT1_: ; @_ZN2at6native12_GLOBAL__N_125multi_tensor_apply_kernelINS1_18TensorListMetadataILi2EEENS1_11CopyFunctorIsN3c1011Float8_e5m2ELi2ELi1ELi1EEEJNS0_4CopyIsS7_EEEEEvT_T0_DpT1_
; %bb.0:
	v_mov_b32_e32 v1, s15
	s_add_u32 s2, s0, s15
	s_mul_hi_u32 s3, s15, 3
	s_mul_i32 s15, s15, 3
	s_addc_u32 s4, s1, 0
	global_load_u8 v1, v1, s[0:1] offset:1536
	s_add_u32 s2, s2, s15
	s_addc_u32 s3, s4, s3
	s_load_b32 s10, s[2:3], 0x740
	s_waitcnt lgkmcnt(0)
	s_ashr_i32 s11, s10, 31
	s_delay_alu instid0(SALU_CYCLE_1) | instskip(SKIP_2) | instid1(VALU_DEP_1)
	s_lshl_b64 s[8:9], s[10:11], 16
	s_waitcnt vmcnt(0)
	v_readfirstlane_b32 s5, v1
	s_lshl_b32 s2, s5, 3
	s_mov_b32 s5, 0
	s_clause 0x2
	s_load_b64 s[6:7], s[0:1], s2 offset:0x0
	s_load_b64 s[12:13], s[0:1], s2 offset:0x200
	;; [unrolled: 1-line block ×3, first 2 shown]
	s_waitcnt lgkmcnt(0)
	s_add_u32 s14, s6, s8
	s_addc_u32 s15, s7, s9
	s_and_b32 s16, s12, 7
	s_and_b32 s17, s2, 3
	;; [unrolled: 1-line block ×3, first 2 shown]
	s_or_b32 s16, s17, s16
	s_mov_b32 s17, s5
	s_delay_alu instid0(SALU_CYCLE_1)
	s_or_b64 s[16:17], s[4:5], s[16:17]
	s_sub_u32 s4, s2, s8
	s_subb_u32 s5, s3, s9
	s_cmp_eq_u64 s[16:17], 0
	s_mov_b32 s2, -1
	s_cbranch_scc0 .LBB234_5
; %bb.1:
	v_dual_mov_b32 v2, 0 :: v_dual_lshlrev_b32 v1, 2, v0
	s_mov_b32 s16, exec_lo
	s_delay_alu instid0(VALU_DEP_1)
	v_cmpx_gt_i64_e64 s[4:5], v[1:2]
	s_cbranch_execz .LBB234_4
; %bb.2:
	s_load_b32 s17, s[0:1], 0xc5c
	v_lshlrev_b32_e32 v3, 3, v0
	s_lshl_b64 s[2:3], s[10:11], 17
	s_mov_b32 s18, 0
	s_mov_b32 s20, 0xfe00000
	s_waitcnt lgkmcnt(0)
	s_and_b32 s19, s17, 0xffff
	s_delay_alu instid0(SALU_CYCLE_1) | instskip(SKIP_3) | instid1(VALU_DEP_1)
	s_lshl_b32 s17, s19, 2
	s_add_u32 s2, s12, s2
	s_addc_u32 s3, s13, s3
	v_add_co_u32 v3, s2, s2, v3
	v_add_co_ci_u32_e64 v4, null, s3, 0, s2
	s_lshl_b32 s19, s19, 3
.LBB234_3:                              ; =>This Inner Loop Header: Depth=1
	v_add_co_u32 v5, vcc_lo, s14, v1
	v_add_co_ci_u32_e32 v6, vcc_lo, s15, v2, vcc_lo
	v_add_co_u32 v1, vcc_lo, s17, v1
	v_add_co_ci_u32_e32 v2, vcc_lo, 0, v2, vcc_lo
	global_load_b32 v5, v[5:6], off
	v_cmp_le_i64_e32 vcc_lo, s[4:5], v[1:2]
	v_cmp_lt_u64_e64 s2, 0xffff, v[1:2]
	s_delay_alu instid0(VALU_DEP_1) | instskip(NEXT) | instid1(SALU_CYCLE_1)
	s_or_b32 s2, vcc_lo, s2
	s_and_b32 s21, exec_lo, s2
	s_delay_alu instid0(SALU_CYCLE_1)
	s_or_b32 s18, s21, s18
	s_waitcnt vmcnt(0)
	v_lshrrev_b32_e32 v15, 3, v5
	v_lshrrev_b32_e32 v12, 16, v5
	v_lshrrev_b32_e32 v13, 8, v5
	v_lshlrev_b16 v6, 8, v5
	v_lshlrev_b32_e32 v16, 5, v5
	v_and_or_b32 v15, v15, s20, 0x70000000
	v_lshlrev_b32_e32 v10, 13, v5
	v_lshlrev_b32_e32 v20, 17, v12
	v_and_or_b32 v12, 0x7f00, v12, 0.5
	v_lshlrev_b32_e32 v19, 17, v13
	v_mul_f32_e32 v15, 0x7800000, v15
	v_and_or_b32 v10, v10, s20, 0x70000000
	v_lshlrev_b32_e32 v9, 25, v5
	v_and_or_b32 v13, 0x7f00, v13, 0.5
	v_and_or_b32 v11, 0x7f00, v5, 0.5
	v_lshlrev_b32_e32 v8, 17, v5
	v_mul_f32_e32 v10, 0x7800000, v10
	v_lshrrev_b32_e32 v18, 4, v9
	v_bfe_i32 v17, v6, 0, 16
	v_add_f32_e32 v11, -0.5, v11
	v_and_or_b32 v6, 0x7f00, v6, 0.5
	v_and_or_b32 v16, v16, s20, 0x70000000
	v_or_b32_e32 v18, 0x70000000, v18
	v_dual_add_f32 v12, -0.5, v12 :: v_dual_add_f32 v13, -0.5, v13
	v_cmp_gt_u32_e32 vcc_lo, 0x8000000, v20
	v_dual_add_f32 v6, -0.5, v6 :: v_dual_lshlrev_b32 v7, 16, v5
	v_mul_f32_e32 v16, 0x7800000, v16
	v_cmp_gt_u32_e64 s2, 0x8000000, v19
	v_cmp_gt_u32_e64 s3, 0x8000000, v8
	v_mul_f32_e32 v8, 0x7800000, v18
	v_cndmask_b32_e32 v12, v15, v12, vcc_lo
	v_cmp_gt_u32_e32 vcc_lo, 0x8000000, v9
	v_lshlrev_b32_e32 v14, 8, v5
	v_cndmask_b32_e64 v10, v10, v11, s3
	v_cndmask_b32_e64 v11, v16, v13, s2
	v_and_or_b32 v5, 0x80000000, v5, v12
	v_cndmask_b32_e32 v6, v8, v6, vcc_lo
	s_delay_alu instid0(VALU_DEP_4) | instskip(NEXT) | instid1(VALU_DEP_4)
	v_and_or_b32 v7, 0x80000000, v7, v10
	v_and_or_b32 v8, 0x80000000, v14, v11
	s_delay_alu instid0(VALU_DEP_4) | instskip(NEXT) | instid1(VALU_DEP_4)
	v_cvt_i32_f32_e32 v5, v5
	v_and_or_b32 v6, 0x80000000, v17, v6
	s_delay_alu instid0(VALU_DEP_4) | instskip(NEXT) | instid1(VALU_DEP_4)
	v_cvt_i32_f32_e32 v7, v7
	v_cvt_i32_f32_e32 v8, v8
	s_delay_alu instid0(VALU_DEP_3) | instskip(NEXT) | instid1(VALU_DEP_2)
	v_cvt_i32_f32_e32 v9, v6
	v_perm_b32 v6, v5, v8, 0x5040100
	s_delay_alu instid0(VALU_DEP_2)
	v_perm_b32 v5, v7, v9, 0x5040100
	global_store_b64 v[3:4], v[5:6], off
	v_add_co_u32 v3, vcc_lo, v3, s19
	v_add_co_ci_u32_e32 v4, vcc_lo, 0, v4, vcc_lo
	s_and_not1_b32 exec_lo, exec_lo, s18
	s_cbranch_execnz .LBB234_3
.LBB234_4:
	s_or_b32 exec_lo, exec_lo, s16
	s_mov_b32 s2, 0
.LBB234_5:
	s_delay_alu instid0(SALU_CYCLE_1)
	s_and_not1_b32 vcc_lo, exec_lo, s2
	s_cbranch_vccnz .LBB234_25
; %bb.6:
	v_cmp_lt_i64_e64 s2, s[4:5], 1
	s_delay_alu instid0(VALU_DEP_1)
	s_and_b32 vcc_lo, exec_lo, s2
	s_cbranch_vccnz .LBB234_25
; %bb.7:
	s_load_b32 s0, s[0:1], 0xc5c
	v_cmp_gt_u64_e64 s1, 0x10000, s[4:5]
	v_add_co_u32 v3, s2, s8, v0
	v_lshlrev_b32_e32 v1, 1, v0
	v_add_co_ci_u32_e64 v4, null, s9, 0, s2
	s_delay_alu instid0(VALU_DEP_3) | instskip(NEXT) | instid1(VALU_DEP_2)
	v_add_co_u32 v13, vcc_lo, s6, v3
                                        ; implicit-def: $vgpr27
                                        ; implicit-def: $vgpr28
                                        ; implicit-def: $vgpr29
                                        ; implicit-def: $vgpr30
	v_add_co_ci_u32_e32 v14, vcc_lo, s7, v4, vcc_lo
	s_waitcnt lgkmcnt(0)
	s_and_b32 s0, s0, 0xffff
	s_and_b32 s1, s1, exec_lo
	s_cselect_b32 s3, s5, 0
	s_cselect_b32 s2, s4, 0x10000
	s_lshl_b64 s[10:11], s[10:11], 17
	s_lshl_b32 s14, s0, 1
	s_lshl_b32 s1, s0, 2
	s_add_u32 s12, s12, s10
	s_mul_i32 s15, s0, 3
	s_addc_u32 s11, s13, s11
	s_lshl_b32 s10, s0, 3
	v_add_co_u32 v1, s16, s12, v1
	s_add_u32 s13, s8, s15
	v_add_co_ci_u32_e64 v2, null, s11, 0, s16
	s_addc_u32 s16, s9, 0
	s_add_u32 s13, s6, s13
	s_addc_u32 s16, s7, s16
	s_add_u32 s8, s8, s14
	;; [unrolled: 2-line block ×3, first 2 shown]
	s_addc_u32 s9, s7, s9
	v_add_co_u32 v19, s8, s8, v0
	s_delay_alu instid0(VALU_DEP_1) | instskip(SKIP_1) | instid1(VALU_DEP_1)
	v_add_co_ci_u32_e64 v20, null, s9, 0, s8
	v_add_co_u32 v21, s8, s14, v0
	v_add_co_ci_u32_e64 v22, null, 0, 0, s8
	v_add_co_u32 v23, s8, v0, s0
	v_add_co_u32 v15, s13, s13, v0
	s_add_u32 s6, s6, s0
	s_delay_alu instid0(VALU_DEP_2)
	v_lshlrev_b32_e32 v5, 1, v23
	v_add_co_ci_u32_e64 v16, null, s16, 0, s13
	v_add_co_u32 v17, s13, s15, v0
	s_addc_u32 s7, s7, 0
	v_add_co_u32 v25, vcc_lo, s6, v3
	v_add_co_u32 v3, s6, s12, v5
	v_add_co_ci_u32_e64 v18, null, 0, 0, s13
	v_add_co_ci_u32_e64 v24, null, 0, 0, s8
	v_add_co_ci_u32_e32 v26, vcc_lo, s7, v4, vcc_lo
	v_add_co_ci_u32_e64 v4, null, s11, 0, s6
	s_mul_i32 s8, s0, 6
	s_mov_b64 s[6:7], 0
	s_branch .LBB234_9
.LBB234_8:                              ;   in Loop: Header=BB234_9 Depth=1
	s_or_b32 exec_lo, exec_lo, s0
	s_add_u32 s6, s6, s1
	s_addc_u32 s7, s7, 0
	v_add_co_u32 v1, vcc_lo, v1, s10
	v_cmp_ge_i64_e64 s0, s[6:7], s[4:5]
	v_cmp_lt_u64_e64 s9, 0xffff, s[6:7]
	v_add_co_ci_u32_e32 v2, vcc_lo, 0, v2, vcc_lo
	v_add_co_u32 v3, vcc_lo, v3, s10
	v_add_co_ci_u32_e32 v4, vcc_lo, 0, v4, vcc_lo
	s_delay_alu instid0(VALU_DEP_4) | instskip(NEXT) | instid1(SALU_CYCLE_1)
	s_or_b32 s0, s0, s9
	s_and_b32 vcc_lo, exec_lo, s0
	s_cbranch_vccnz .LBB234_25
.LBB234_9:                              ; =>This Inner Loop Header: Depth=1
	v_add_co_u32 v11, s0, v0, s6
	s_delay_alu instid0(VALU_DEP_1) | instskip(NEXT) | instid1(VALU_DEP_1)
	v_add_co_ci_u32_e64 v12, null, 0, s7, s0
	v_cmp_gt_i64_e32 vcc_lo, s[4:5], v[11:12]
	v_cmp_gt_u64_e64 s0, 0x10000, v[11:12]
	s_delay_alu instid0(VALU_DEP_1) | instskip(NEXT) | instid1(SALU_CYCLE_1)
	s_and_b32 s9, vcc_lo, s0
	s_and_saveexec_b32 s0, s9
	s_cbranch_execz .LBB234_11
; %bb.10:                               ;   in Loop: Header=BB234_9 Depth=1
	v_add_co_u32 v5, vcc_lo, v13, s6
	v_add_co_ci_u32_e32 v6, vcc_lo, s7, v14, vcc_lo
	global_load_u8 v30, v[5:6], off
.LBB234_11:                             ;   in Loop: Header=BB234_9 Depth=1
	s_or_b32 exec_lo, exec_lo, s0
	v_add_co_u32 v9, vcc_lo, v23, s6
	v_add_co_ci_u32_e32 v10, vcc_lo, s7, v24, vcc_lo
	s_delay_alu instid0(VALU_DEP_1) | instskip(SKIP_1) | instid1(VALU_DEP_1)
	v_cmp_gt_i64_e32 vcc_lo, s[4:5], v[9:10]
	v_cmp_gt_u64_e64 s0, 0x10000, v[9:10]
	s_and_b32 s9, vcc_lo, s0
	s_delay_alu instid0(SALU_CYCLE_1)
	s_and_saveexec_b32 s0, s9
	s_cbranch_execz .LBB234_13
; %bb.12:                               ;   in Loop: Header=BB234_9 Depth=1
	v_add_co_u32 v5, vcc_lo, v25, s6
	v_add_co_ci_u32_e32 v6, vcc_lo, s7, v26, vcc_lo
	global_load_u8 v29, v[5:6], off
.LBB234_13:                             ;   in Loop: Header=BB234_9 Depth=1
	s_or_b32 exec_lo, exec_lo, s0
	v_add_co_u32 v7, vcc_lo, v21, s6
	v_add_co_ci_u32_e32 v8, vcc_lo, s7, v22, vcc_lo
	s_delay_alu instid0(VALU_DEP_1) | instskip(SKIP_1) | instid1(VALU_DEP_1)
	v_cmp_gt_i64_e32 vcc_lo, s[4:5], v[7:8]
	v_cmp_gt_u64_e64 s0, 0x10000, v[7:8]
	s_and_b32 s9, vcc_lo, s0
	s_delay_alu instid0(SALU_CYCLE_1)
	;; [unrolled: 15-line block ×3, first 2 shown]
	s_and_saveexec_b32 s0, s9
	s_cbranch_execnz .LBB234_20
; %bb.16:                               ;   in Loop: Header=BB234_9 Depth=1
	s_or_b32 exec_lo, exec_lo, s0
	s_delay_alu instid0(SALU_CYCLE_1)
	s_mov_b32 s0, exec_lo
	v_cmpx_gt_u64_e64 s[2:3], v[11:12]
	s_cbranch_execnz .LBB234_21
.LBB234_17:                             ;   in Loop: Header=BB234_9 Depth=1
	s_or_b32 exec_lo, exec_lo, s0
	s_delay_alu instid0(SALU_CYCLE_1)
	s_mov_b32 s0, exec_lo
	v_cmpx_gt_u64_e64 s[2:3], v[9:10]
	s_cbranch_execnz .LBB234_22
.LBB234_18:                             ;   in Loop: Header=BB234_9 Depth=1
	s_or_b32 exec_lo, exec_lo, s0
	s_delay_alu instid0(SALU_CYCLE_1)
	s_mov_b32 s0, exec_lo
	v_cmpx_gt_u64_e64 s[2:3], v[7:8]
	s_cbranch_execnz .LBB234_23
.LBB234_19:                             ;   in Loop: Header=BB234_9 Depth=1
	s_or_b32 exec_lo, exec_lo, s0
	s_delay_alu instid0(SALU_CYCLE_1)
	s_mov_b32 s0, exec_lo
	v_cmpx_gt_u64_e64 s[2:3], v[5:6]
	s_cbranch_execz .LBB234_8
	s_branch .LBB234_24
.LBB234_20:                             ;   in Loop: Header=BB234_9 Depth=1
	v_add_co_u32 v31, vcc_lo, v15, s6
	v_add_co_ci_u32_e32 v32, vcc_lo, s7, v16, vcc_lo
	global_load_u8 v27, v[31:32], off
	s_or_b32 exec_lo, exec_lo, s0
	s_delay_alu instid0(SALU_CYCLE_1)
	s_mov_b32 s0, exec_lo
	v_cmpx_gt_u64_e64 s[2:3], v[11:12]
	s_cbranch_execz .LBB234_17
.LBB234_21:                             ;   in Loop: Header=BB234_9 Depth=1
	s_waitcnt vmcnt(0)
	v_lshlrev_b16 v12, 8, v30
	s_delay_alu instid0(VALU_DEP_1) | instskip(SKIP_2) | instid1(VALU_DEP_3)
	v_and_or_b32 v32, 0x7f00, v12, 0.5
	v_lshlrev_b32_e32 v11, 25, v30
	v_bfe_i32 v12, v12, 0, 16
	v_add_f32_e32 v32, -0.5, v32
	s_delay_alu instid0(VALU_DEP_3) | instskip(SKIP_1) | instid1(VALU_DEP_2)
	v_lshrrev_b32_e32 v31, 4, v11
	v_cmp_gt_u32_e32 vcc_lo, 0x8000000, v11
	v_or_b32_e32 v31, 0x70000000, v31
	s_delay_alu instid0(VALU_DEP_1) | instskip(NEXT) | instid1(VALU_DEP_1)
	v_mul_f32_e32 v31, 0x7800000, v31
	v_cndmask_b32_e32 v11, v31, v32, vcc_lo
	s_delay_alu instid0(VALU_DEP_1) | instskip(NEXT) | instid1(VALU_DEP_1)
	v_and_or_b32 v11, 0x80000000, v12, v11
	v_cvt_i32_f32_e32 v11, v11
	global_store_b16 v[1:2], v11, off
	s_or_b32 exec_lo, exec_lo, s0
	s_delay_alu instid0(SALU_CYCLE_1)
	s_mov_b32 s0, exec_lo
	v_cmpx_gt_u64_e64 s[2:3], v[9:10]
	s_cbranch_execz .LBB234_18
.LBB234_22:                             ;   in Loop: Header=BB234_9 Depth=1
	s_waitcnt vmcnt(0)
	v_lshlrev_b16 v10, 8, v29
	s_delay_alu instid0(VALU_DEP_1) | instskip(SKIP_2) | instid1(VALU_DEP_3)
	v_and_or_b32 v12, 0x7f00, v10, 0.5
	v_lshlrev_b32_e32 v9, 25, v29
	v_bfe_i32 v10, v10, 0, 16
	v_add_f32_e32 v12, -0.5, v12
	s_delay_alu instid0(VALU_DEP_3) | instskip(SKIP_1) | instid1(VALU_DEP_2)
	v_lshrrev_b32_e32 v11, 4, v9
	v_cmp_gt_u32_e32 vcc_lo, 0x8000000, v9
	v_or_b32_e32 v11, 0x70000000, v11
	s_delay_alu instid0(VALU_DEP_1) | instskip(NEXT) | instid1(VALU_DEP_1)
	v_mul_f32_e32 v11, 0x7800000, v11
	v_cndmask_b32_e32 v9, v11, v12, vcc_lo
	s_delay_alu instid0(VALU_DEP_1) | instskip(NEXT) | instid1(VALU_DEP_1)
	v_and_or_b32 v9, 0x80000000, v10, v9
	v_cvt_i32_f32_e32 v9, v9
	global_store_b16 v[3:4], v9, off
	s_or_b32 exec_lo, exec_lo, s0
	s_delay_alu instid0(SALU_CYCLE_1)
	s_mov_b32 s0, exec_lo
	v_cmpx_gt_u64_e64 s[2:3], v[7:8]
	s_cbranch_execz .LBB234_19
.LBB234_23:                             ;   in Loop: Header=BB234_9 Depth=1
	s_waitcnt vmcnt(0)
	v_lshlrev_b16 v8, 8, v28
	s_delay_alu instid0(VALU_DEP_1) | instskip(SKIP_2) | instid1(VALU_DEP_3)
	v_and_or_b32 v10, 0x7f00, v8, 0.5
	v_lshlrev_b32_e32 v7, 25, v28
	v_bfe_i32 v8, v8, 0, 16
	v_add_f32_e32 v10, -0.5, v10
	s_delay_alu instid0(VALU_DEP_3) | instskip(SKIP_1) | instid1(VALU_DEP_2)
	v_lshrrev_b32_e32 v9, 4, v7
	v_cmp_gt_u32_e32 vcc_lo, 0x8000000, v7
	v_or_b32_e32 v9, 0x70000000, v9
	s_delay_alu instid0(VALU_DEP_1) | instskip(NEXT) | instid1(VALU_DEP_1)
	v_mul_f32_e32 v9, 0x7800000, v9
	v_cndmask_b32_e32 v7, v9, v10, vcc_lo
	s_delay_alu instid0(VALU_DEP_1) | instskip(NEXT) | instid1(VALU_DEP_1)
	v_and_or_b32 v7, 0x80000000, v8, v7
	v_cvt_i32_f32_e32 v9, v7
	v_add_co_u32 v7, vcc_lo, v1, s1
	v_add_co_ci_u32_e32 v8, vcc_lo, 0, v2, vcc_lo
	global_store_b16 v[7:8], v9, off
	s_or_b32 exec_lo, exec_lo, s0
	s_delay_alu instid0(SALU_CYCLE_1)
	s_mov_b32 s0, exec_lo
	v_cmpx_gt_u64_e64 s[2:3], v[5:6]
	s_cbranch_execz .LBB234_8
.LBB234_24:                             ;   in Loop: Header=BB234_9 Depth=1
	s_waitcnt vmcnt(0)
	v_lshlrev_b16 v6, 8, v27
	s_delay_alu instid0(VALU_DEP_1) | instskip(SKIP_2) | instid1(VALU_DEP_3)
	v_and_or_b32 v8, 0x7f00, v6, 0.5
	v_lshlrev_b32_e32 v5, 25, v27
	v_bfe_i32 v6, v6, 0, 16
	v_add_f32_e32 v8, -0.5, v8
	s_delay_alu instid0(VALU_DEP_3) | instskip(SKIP_1) | instid1(VALU_DEP_2)
	v_lshrrev_b32_e32 v7, 4, v5
	v_cmp_gt_u32_e32 vcc_lo, 0x8000000, v5
	v_or_b32_e32 v7, 0x70000000, v7
	s_delay_alu instid0(VALU_DEP_1) | instskip(NEXT) | instid1(VALU_DEP_1)
	v_mul_f32_e32 v7, 0x7800000, v7
	v_cndmask_b32_e32 v5, v7, v8, vcc_lo
	s_delay_alu instid0(VALU_DEP_1) | instskip(NEXT) | instid1(VALU_DEP_1)
	v_and_or_b32 v5, 0x80000000, v6, v5
	v_cvt_i32_f32_e32 v7, v5
	v_add_co_u32 v5, vcc_lo, v1, s8
	v_add_co_ci_u32_e32 v6, vcc_lo, 0, v2, vcc_lo
	global_store_b16 v[5:6], v7, off
	s_branch .LBB234_8
.LBB234_25:
	s_nop 0
	s_sendmsg sendmsg(MSG_DEALLOC_VGPRS)
	s_endpgm
	.section	.rodata,"a",@progbits
	.p2align	6, 0x0
	.amdhsa_kernel _ZN2at6native12_GLOBAL__N_125multi_tensor_apply_kernelINS1_18TensorListMetadataILi2EEENS1_11CopyFunctorIsN3c1011Float8_e5m2ELi2ELi1ELi1EEEJNS0_4CopyIsS7_EEEEEvT_T0_DpT1_
		.amdhsa_group_segment_fixed_size 0
		.amdhsa_private_segment_fixed_size 0
		.amdhsa_kernarg_size 3408
		.amdhsa_user_sgpr_count 15
		.amdhsa_user_sgpr_dispatch_ptr 0
		.amdhsa_user_sgpr_queue_ptr 0
		.amdhsa_user_sgpr_kernarg_segment_ptr 1
		.amdhsa_user_sgpr_dispatch_id 0
		.amdhsa_user_sgpr_private_segment_size 0
		.amdhsa_wavefront_size32 1
		.amdhsa_uses_dynamic_stack 0
		.amdhsa_enable_private_segment 0
		.amdhsa_system_sgpr_workgroup_id_x 1
		.amdhsa_system_sgpr_workgroup_id_y 0
		.amdhsa_system_sgpr_workgroup_id_z 0
		.amdhsa_system_sgpr_workgroup_info 0
		.amdhsa_system_vgpr_workitem_id 0
		.amdhsa_next_free_vgpr 33
		.amdhsa_next_free_sgpr 22
		.amdhsa_reserve_vcc 1
		.amdhsa_float_round_mode_32 0
		.amdhsa_float_round_mode_16_64 0
		.amdhsa_float_denorm_mode_32 3
		.amdhsa_float_denorm_mode_16_64 3
		.amdhsa_dx10_clamp 1
		.amdhsa_ieee_mode 1
		.amdhsa_fp16_overflow 0
		.amdhsa_workgroup_processor_mode 1
		.amdhsa_memory_ordered 1
		.amdhsa_forward_progress 0
		.amdhsa_shared_vgpr_count 0
		.amdhsa_exception_fp_ieee_invalid_op 0
		.amdhsa_exception_fp_denorm_src 0
		.amdhsa_exception_fp_ieee_div_zero 0
		.amdhsa_exception_fp_ieee_overflow 0
		.amdhsa_exception_fp_ieee_underflow 0
		.amdhsa_exception_fp_ieee_inexact 0
		.amdhsa_exception_int_div_zero 0
	.end_amdhsa_kernel
	.section	.text._ZN2at6native12_GLOBAL__N_125multi_tensor_apply_kernelINS1_18TensorListMetadataILi2EEENS1_11CopyFunctorIsN3c1011Float8_e5m2ELi2ELi1ELi1EEEJNS0_4CopyIsS7_EEEEEvT_T0_DpT1_,"axG",@progbits,_ZN2at6native12_GLOBAL__N_125multi_tensor_apply_kernelINS1_18TensorListMetadataILi2EEENS1_11CopyFunctorIsN3c1011Float8_e5m2ELi2ELi1ELi1EEEJNS0_4CopyIsS7_EEEEEvT_T0_DpT1_,comdat
.Lfunc_end234:
	.size	_ZN2at6native12_GLOBAL__N_125multi_tensor_apply_kernelINS1_18TensorListMetadataILi2EEENS1_11CopyFunctorIsN3c1011Float8_e5m2ELi2ELi1ELi1EEEJNS0_4CopyIsS7_EEEEEvT_T0_DpT1_, .Lfunc_end234-_ZN2at6native12_GLOBAL__N_125multi_tensor_apply_kernelINS1_18TensorListMetadataILi2EEENS1_11CopyFunctorIsN3c1011Float8_e5m2ELi2ELi1ELi1EEEJNS0_4CopyIsS7_EEEEEvT_T0_DpT1_
                                        ; -- End function
	.section	.AMDGPU.csdata,"",@progbits
; Kernel info:
; codeLenInByte = 2128
; NumSgprs: 24
; NumVgprs: 33
; ScratchSize: 0
; MemoryBound: 0
; FloatMode: 240
; IeeeMode: 1
; LDSByteSize: 0 bytes/workgroup (compile time only)
; SGPRBlocks: 2
; VGPRBlocks: 4
; NumSGPRsForWavesPerEU: 24
; NumVGPRsForWavesPerEU: 33
; Occupancy: 16
; WaveLimiterHint : 0
; COMPUTE_PGM_RSRC2:SCRATCH_EN: 0
; COMPUTE_PGM_RSRC2:USER_SGPR: 15
; COMPUTE_PGM_RSRC2:TRAP_HANDLER: 0
; COMPUTE_PGM_RSRC2:TGID_X_EN: 1
; COMPUTE_PGM_RSRC2:TGID_Y_EN: 0
; COMPUTE_PGM_RSRC2:TGID_Z_EN: 0
; COMPUTE_PGM_RSRC2:TIDIG_COMP_CNT: 0
	.section	.text._ZN2at6native12_GLOBAL__N_125multi_tensor_apply_kernelINS1_18TensorListMetadataILi2EEENS1_11CopyFunctorIsN3c1015Float8_e5m2fnuzELi2ELi1ELi1EEEJNS0_4CopyIsS7_EEEEEvT_T0_DpT1_,"axG",@progbits,_ZN2at6native12_GLOBAL__N_125multi_tensor_apply_kernelINS1_18TensorListMetadataILi2EEENS1_11CopyFunctorIsN3c1015Float8_e5m2fnuzELi2ELi1ELi1EEEJNS0_4CopyIsS7_EEEEEvT_T0_DpT1_,comdat
	.globl	_ZN2at6native12_GLOBAL__N_125multi_tensor_apply_kernelINS1_18TensorListMetadataILi2EEENS1_11CopyFunctorIsN3c1015Float8_e5m2fnuzELi2ELi1ELi1EEEJNS0_4CopyIsS7_EEEEEvT_T0_DpT1_ ; -- Begin function _ZN2at6native12_GLOBAL__N_125multi_tensor_apply_kernelINS1_18TensorListMetadataILi2EEENS1_11CopyFunctorIsN3c1015Float8_e5m2fnuzELi2ELi1ELi1EEEJNS0_4CopyIsS7_EEEEEvT_T0_DpT1_
	.p2align	8
	.type	_ZN2at6native12_GLOBAL__N_125multi_tensor_apply_kernelINS1_18TensorListMetadataILi2EEENS1_11CopyFunctorIsN3c1015Float8_e5m2fnuzELi2ELi1ELi1EEEJNS0_4CopyIsS7_EEEEEvT_T0_DpT1_,@function
_ZN2at6native12_GLOBAL__N_125multi_tensor_apply_kernelINS1_18TensorListMetadataILi2EEENS1_11CopyFunctorIsN3c1015Float8_e5m2fnuzELi2ELi1ELi1EEEJNS0_4CopyIsS7_EEEEEvT_T0_DpT1_: ; @_ZN2at6native12_GLOBAL__N_125multi_tensor_apply_kernelINS1_18TensorListMetadataILi2EEENS1_11CopyFunctorIsN3c1015Float8_e5m2fnuzELi2ELi1ELi1EEEJNS0_4CopyIsS7_EEEEEvT_T0_DpT1_
; %bb.0:
	v_mov_b32_e32 v1, s15
	s_add_u32 s2, s0, s15
	s_mul_hi_u32 s3, s15, 3
	s_mul_i32 s15, s15, 3
	s_addc_u32 s4, s1, 0
	global_load_u8 v1, v1, s[0:1] offset:1536
	s_add_u32 s2, s2, s15
	s_addc_u32 s3, s4, s3
	s_mov_b32 s17, 0
	s_load_b32 s10, s[2:3], 0x740
	s_mov_b32 s19, s17
	s_waitcnt lgkmcnt(0)
	s_ashr_i32 s11, s10, 31
	s_delay_alu instid0(SALU_CYCLE_1) | instskip(SKIP_2) | instid1(VALU_DEP_1)
	s_lshl_b64 s[8:9], s[10:11], 16
	s_waitcnt vmcnt(0)
	v_readfirstlane_b32 s5, v1
	s_lshl_b32 s2, s5, 3
	s_clause 0x2
	s_load_b64 s[6:7], s[0:1], s2 offset:0x0
	s_load_b64 s[12:13], s[0:1], s2 offset:0x200
	;; [unrolled: 1-line block ×3, first 2 shown]
	s_waitcnt lgkmcnt(0)
	s_add_u32 s3, s6, s8
	s_addc_u32 s14, s7, s9
	s_and_b32 s2, s12, 7
	s_and_b32 s15, s4, 3
	;; [unrolled: 1-line block ×3, first 2 shown]
	s_or_b32 s18, s15, s2
	s_mov_b32 s2, -1
	s_or_b64 s[16:17], s[16:17], s[18:19]
	s_sub_u32 s4, s4, s8
	s_subb_u32 s5, s5, s9
	s_cmp_eq_u64 s[16:17], 0
	s_cbranch_scc0 .LBB235_29
; %bb.1:
	v_dual_mov_b32 v2, 0 :: v_dual_lshlrev_b32 v1, 2, v0
	s_mov_b32 s15, exec_lo
	s_delay_alu instid0(VALU_DEP_1)
	v_cmpx_gt_i64_e64 s[4:5], v[1:2]
	s_cbranch_execz .LBB235_28
; %bb.2:
	s_load_b32 s2, s[0:1], 0xc5c
	v_lshlrev_b32_e32 v3, 3, v0
	s_lshl_b64 s[18:19], s[10:11], 17
	s_waitcnt lgkmcnt(0)
	s_and_b32 s2, s2, 0xffff
	s_delay_alu instid0(SALU_CYCLE_1) | instskip(SKIP_3) | instid1(VALU_DEP_1)
	s_lshl_b32 s16, s2, 2
	s_add_u32 s17, s12, s18
	s_addc_u32 s18, s13, s19
	v_add_co_u32 v3, s17, s17, v3
	v_add_co_ci_u32_e64 v4, null, s18, 0, s17
	s_mov_b32 s17, 0
	s_lshl_b32 s18, s2, 3
	s_branch .LBB235_4
.LBB235_3:                              ;   in Loop: Header=BB235_4 Depth=1
	s_or_b32 exec_lo, exec_lo, s19
	v_add_co_u32 v1, vcc_lo, s16, v1
	v_add_co_ci_u32_e32 v2, vcc_lo, 0, v2, vcc_lo
	v_perm_b32 v8, v10, v8, 0x5040100
	v_perm_b32 v7, v7, v6, 0x5040100
	s_delay_alu instid0(VALU_DEP_3)
	v_cmp_le_i64_e32 vcc_lo, s[4:5], v[1:2]
	v_cmp_lt_u64_e64 s2, 0xffff, v[1:2]
	global_store_b64 v[3:4], v[7:8], off
	s_or_b32 s2, vcc_lo, s2
	v_add_co_u32 v3, vcc_lo, v3, s18
	v_add_co_ci_u32_e32 v4, vcc_lo, 0, v4, vcc_lo
	s_and_b32 s2, exec_lo, s2
	s_delay_alu instid0(SALU_CYCLE_1) | instskip(NEXT) | instid1(SALU_CYCLE_1)
	s_or_b32 s17, s2, s17
	s_and_not1_b32 exec_lo, exec_lo, s17
	s_cbranch_execz .LBB235_28
.LBB235_4:                              ; =>This Inner Loop Header: Depth=1
	v_add_co_u32 v5, vcc_lo, s3, v1
	v_add_co_ci_u32_e32 v6, vcc_lo, s14, v2, vcc_lo
	s_mov_b32 s2, 0
	s_mov_b32 s19, exec_lo
                                        ; implicit-def: $sgpr20
	global_load_b32 v5, v[5:6], off
	s_waitcnt vmcnt(0)
	v_and_b32_e32 v7, 0xff, v5
	s_delay_alu instid0(VALU_DEP_1)
	v_cmpx_lt_i16_e32 0x7f, v7
	s_xor_b32 s19, exec_lo, s19
	s_cbranch_execnz .LBB235_19
; %bb.5:                                ;   in Loop: Header=BB235_4 Depth=1
	s_or_saveexec_b32 s19, s19
	v_mov_b32_e32 v6, s20
	s_xor_b32 exec_lo, exec_lo, s19
	s_cbranch_execnz .LBB235_20
.LBB235_6:                              ;   in Loop: Header=BB235_4 Depth=1
	s_or_b32 exec_lo, exec_lo, s19
	s_and_saveexec_b32 s19, s2
	s_cbranch_execz .LBB235_8
.LBB235_7:                              ;   in Loop: Header=BB235_4 Depth=1
	v_bfe_u32 v9, v5, 2, 5
	v_lshlrev_b32_e32 v10, 24, v5
	s_delay_alu instid0(VALU_DEP_2) | instskip(SKIP_1) | instid1(VALU_DEP_1)
	v_cmp_eq_u32_e32 vcc_lo, 0, v9
	v_and_b32_e32 v6, 3, v5
	v_clz_i32_u32_e32 v7, v6
	s_delay_alu instid0(VALU_DEP_1) | instskip(NEXT) | instid1(VALU_DEP_1)
	v_min_u32_e32 v7, 32, v7
	v_subrev_nc_u32_e32 v8, 29, v7
	v_sub_nc_u32_e32 v7, 30, v7
	s_delay_alu instid0(VALU_DEP_1) | instskip(NEXT) | instid1(VALU_DEP_1)
	v_dual_cndmask_b32 v7, v9, v7 :: v_dual_lshlrev_b32 v8, v8, v5
	v_and_b32_e32 v8, 3, v8
	s_delay_alu instid0(VALU_DEP_2) | instskip(NEXT) | instid1(VALU_DEP_2)
	v_lshl_add_u32 v7, v7, 23, 0x37800000
	v_cndmask_b32_e32 v6, v6, v8, vcc_lo
	v_and_b32_e32 v8, 0x80000000, v10
	s_delay_alu instid0(VALU_DEP_2) | instskip(NEXT) | instid1(VALU_DEP_1)
	v_lshlrev_b32_e32 v6, 21, v6
	v_or3_b32 v6, v8, v7, v6
	s_delay_alu instid0(VALU_DEP_1)
	v_cvt_i32_f32_e32 v6, v6
.LBB235_8:                              ;   in Loop: Header=BB235_4 Depth=1
	s_or_b32 exec_lo, exec_lo, s19
	v_lshrrev_b32_e32 v8, 8, v5
	s_mov_b32 s2, 0
	s_mov_b32 s19, exec_lo
                                        ; implicit-def: $sgpr20
	s_delay_alu instid0(VALU_DEP_1) | instskip(NEXT) | instid1(VALU_DEP_1)
	v_and_b32_e32 v9, 0xff, v8
	v_cmpx_lt_i16_e32 0x7f, v9
	s_xor_b32 s19, exec_lo, s19
	s_cbranch_execnz .LBB235_21
; %bb.9:                                ;   in Loop: Header=BB235_4 Depth=1
	s_or_saveexec_b32 s19, s19
	v_mov_b32_e32 v7, s20
	s_xor_b32 exec_lo, exec_lo, s19
	s_cbranch_execnz .LBB235_22
.LBB235_10:                             ;   in Loop: Header=BB235_4 Depth=1
	s_or_b32 exec_lo, exec_lo, s19
	s_and_saveexec_b32 s19, s2
	s_cbranch_execz .LBB235_12
.LBB235_11:                             ;   in Loop: Header=BB235_4 Depth=1
	v_bfe_u32 v7, v5, 8, 2
	v_bfe_u32 v11, v5, 10, 5
	s_delay_alu instid0(VALU_DEP_2) | instskip(NEXT) | instid1(VALU_DEP_2)
	v_clz_i32_u32_e32 v9, v7
	v_cmp_eq_u32_e32 vcc_lo, 0, v11
	s_delay_alu instid0(VALU_DEP_2) | instskip(NEXT) | instid1(VALU_DEP_1)
	v_min_u32_e32 v9, 32, v9
	v_subrev_nc_u32_e32 v10, 29, v9
	v_sub_nc_u32_e32 v9, 30, v9
	s_delay_alu instid0(VALU_DEP_1) | instskip(NEXT) | instid1(VALU_DEP_1)
	v_dual_cndmask_b32 v9, v11, v9 :: v_dual_lshlrev_b32 v10, v10, v8
	v_and_b32_e32 v10, 3, v10
	v_lshlrev_b32_e32 v8, 24, v8
	s_delay_alu instid0(VALU_DEP_3) | instskip(NEXT) | instid1(VALU_DEP_2)
	v_lshl_add_u32 v9, v9, 23, 0x37800000
	v_dual_cndmask_b32 v7, v7, v10 :: v_dual_and_b32 v8, 0x80000000, v8
	s_delay_alu instid0(VALU_DEP_1) | instskip(NEXT) | instid1(VALU_DEP_1)
	v_lshlrev_b32_e32 v7, 21, v7
	v_or3_b32 v7, v8, v9, v7
	s_delay_alu instid0(VALU_DEP_1)
	v_cvt_i32_f32_e32 v7, v7
.LBB235_12:                             ;   in Loop: Header=BB235_4 Depth=1
	s_or_b32 exec_lo, exec_lo, s19
	v_lshrrev_b32_e32 v9, 16, v5
	s_mov_b32 s2, 0
	s_mov_b32 s19, exec_lo
                                        ; implicit-def: $sgpr20
	s_delay_alu instid0(VALU_DEP_1) | instskip(NEXT) | instid1(VALU_DEP_1)
	v_and_b32_e32 v10, 0xff, v9
	v_cmpx_lt_i16_e32 0x7f, v10
	s_xor_b32 s19, exec_lo, s19
	s_cbranch_execnz .LBB235_23
; %bb.13:                               ;   in Loop: Header=BB235_4 Depth=1
	s_or_saveexec_b32 s19, s19
	v_mov_b32_e32 v8, s20
	s_xor_b32 exec_lo, exec_lo, s19
	s_cbranch_execnz .LBB235_24
.LBB235_14:                             ;   in Loop: Header=BB235_4 Depth=1
	s_or_b32 exec_lo, exec_lo, s19
	s_and_saveexec_b32 s19, s2
	s_cbranch_execz .LBB235_16
.LBB235_15:                             ;   in Loop: Header=BB235_4 Depth=1
	v_bfe_u32 v8, v5, 16, 2
	v_bfe_u32 v12, v5, 18, 5
	s_delay_alu instid0(VALU_DEP_2) | instskip(NEXT) | instid1(VALU_DEP_2)
	v_clz_i32_u32_e32 v10, v8
	v_cmp_eq_u32_e32 vcc_lo, 0, v12
	s_delay_alu instid0(VALU_DEP_2) | instskip(NEXT) | instid1(VALU_DEP_1)
	v_min_u32_e32 v10, 32, v10
	v_subrev_nc_u32_e32 v11, 29, v10
	v_sub_nc_u32_e32 v10, 30, v10
	s_delay_alu instid0(VALU_DEP_1) | instskip(NEXT) | instid1(VALU_DEP_1)
	v_dual_cndmask_b32 v10, v12, v10 :: v_dual_lshlrev_b32 v11, v11, v9
	v_and_b32_e32 v11, 3, v11
	v_lshlrev_b32_e32 v9, 24, v9
	s_delay_alu instid0(VALU_DEP_3) | instskip(NEXT) | instid1(VALU_DEP_2)
	v_lshl_add_u32 v10, v10, 23, 0x37800000
	v_dual_cndmask_b32 v8, v8, v11 :: v_dual_and_b32 v9, 0x80000000, v9
	s_delay_alu instid0(VALU_DEP_1) | instskip(NEXT) | instid1(VALU_DEP_1)
	v_lshlrev_b32_e32 v8, 21, v8
	v_or3_b32 v8, v9, v10, v8
	s_delay_alu instid0(VALU_DEP_1)
	v_cvt_i32_f32_e32 v8, v8
.LBB235_16:                             ;   in Loop: Header=BB235_4 Depth=1
	s_or_b32 exec_lo, exec_lo, s19
	v_lshrrev_b32_e32 v9, 24, v5
	s_mov_b32 s2, 0
	s_mov_b32 s19, exec_lo
                                        ; implicit-def: $sgpr20
	s_delay_alu instid0(VALU_DEP_1)
	v_cmpx_lt_i16_e32 0x7f, v9
	s_xor_b32 s19, exec_lo, s19
	s_cbranch_execnz .LBB235_25
; %bb.17:                               ;   in Loop: Header=BB235_4 Depth=1
	s_or_saveexec_b32 s19, s19
	v_mov_b32_e32 v10, s20
	s_xor_b32 exec_lo, exec_lo, s19
	s_cbranch_execnz .LBB235_26
.LBB235_18:                             ;   in Loop: Header=BB235_4 Depth=1
	s_or_b32 exec_lo, exec_lo, s19
	s_and_saveexec_b32 s19, s2
	s_cbranch_execz .LBB235_3
	s_branch .LBB235_27
.LBB235_19:                             ;   in Loop: Header=BB235_4 Depth=1
	v_cmp_ne_u16_e32 vcc_lo, 0x80, v7
	s_mov_b32 s20, 0
                                        ; implicit-def: $vgpr7
	s_and_b32 s2, vcc_lo, exec_lo
	s_or_saveexec_b32 s19, s19
	v_mov_b32_e32 v6, s20
	s_xor_b32 exec_lo, exec_lo, s19
	s_cbranch_execz .LBB235_6
.LBB235_20:                             ;   in Loop: Header=BB235_4 Depth=1
	v_cmp_ne_u16_e32 vcc_lo, 0, v7
	v_mov_b32_e32 v6, 0
	s_and_not1_b32 s2, s2, exec_lo
	s_and_b32 s20, vcc_lo, exec_lo
	s_delay_alu instid0(SALU_CYCLE_1)
	s_or_b32 s2, s2, s20
	s_or_b32 exec_lo, exec_lo, s19
	s_and_saveexec_b32 s19, s2
	s_cbranch_execnz .LBB235_7
	s_branch .LBB235_8
.LBB235_21:                             ;   in Loop: Header=BB235_4 Depth=1
	v_cmp_ne_u16_e32 vcc_lo, 0x80, v9
	s_mov_b32 s20, 0
                                        ; implicit-def: $vgpr9
	s_and_b32 s2, vcc_lo, exec_lo
	s_or_saveexec_b32 s19, s19
	v_mov_b32_e32 v7, s20
	s_xor_b32 exec_lo, exec_lo, s19
	s_cbranch_execz .LBB235_10
.LBB235_22:                             ;   in Loop: Header=BB235_4 Depth=1
	v_cmp_ne_u16_e32 vcc_lo, 0, v9
	v_mov_b32_e32 v7, 0
	s_and_not1_b32 s2, s2, exec_lo
	s_and_b32 s20, vcc_lo, exec_lo
	s_delay_alu instid0(SALU_CYCLE_1)
	s_or_b32 s2, s2, s20
	s_or_b32 exec_lo, exec_lo, s19
	s_and_saveexec_b32 s19, s2
	s_cbranch_execnz .LBB235_11
	s_branch .LBB235_12
.LBB235_23:                             ;   in Loop: Header=BB235_4 Depth=1
	v_cmp_ne_u16_e32 vcc_lo, 0x80, v10
	s_mov_b32 s20, 0
                                        ; implicit-def: $vgpr10
	s_and_b32 s2, vcc_lo, exec_lo
	s_or_saveexec_b32 s19, s19
	v_mov_b32_e32 v8, s20
	s_xor_b32 exec_lo, exec_lo, s19
	s_cbranch_execz .LBB235_14
.LBB235_24:                             ;   in Loop: Header=BB235_4 Depth=1
	v_cmp_ne_u16_e32 vcc_lo, 0, v10
	v_mov_b32_e32 v8, 0
	s_and_not1_b32 s2, s2, exec_lo
	s_and_b32 s20, vcc_lo, exec_lo
	s_delay_alu instid0(SALU_CYCLE_1)
	s_or_b32 s2, s2, s20
	s_or_b32 exec_lo, exec_lo, s19
	s_and_saveexec_b32 s19, s2
	s_cbranch_execnz .LBB235_15
	s_branch .LBB235_16
.LBB235_25:                             ;   in Loop: Header=BB235_4 Depth=1
	v_cmp_ne_u16_e32 vcc_lo, 0x80, v9
	s_mov_b32 s20, 0
	s_and_b32 s2, vcc_lo, exec_lo
	s_or_saveexec_b32 s19, s19
	v_mov_b32_e32 v10, s20
	s_xor_b32 exec_lo, exec_lo, s19
	s_cbranch_execz .LBB235_18
.LBB235_26:                             ;   in Loop: Header=BB235_4 Depth=1
	v_cmp_ne_u16_e32 vcc_lo, 0, v9
	v_mov_b32_e32 v10, 0
	s_and_not1_b32 s2, s2, exec_lo
	s_and_b32 s20, vcc_lo, exec_lo
	s_delay_alu instid0(SALU_CYCLE_1)
	s_or_b32 s2, s2, s20
	s_or_b32 exec_lo, exec_lo, s19
	s_and_saveexec_b32 s19, s2
	s_cbranch_execz .LBB235_3
.LBB235_27:                             ;   in Loop: Header=BB235_4 Depth=1
	v_bfe_u32 v10, v5, 24, 2
	s_delay_alu instid0(VALU_DEP_1) | instskip(NEXT) | instid1(VALU_DEP_1)
	v_clz_i32_u32_e32 v11, v10
	v_min_u32_e32 v11, 32, v11
	s_delay_alu instid0(VALU_DEP_1) | instskip(SKIP_1) | instid1(VALU_DEP_2)
	v_subrev_nc_u32_e32 v12, 29, v11
	v_sub_nc_u32_e32 v11, 30, v11
	v_lshlrev_b32_e32 v9, v12, v9
	v_bfe_u32 v12, v5, 26, 5
	v_and_b32_e32 v5, 0x80000000, v5
	s_delay_alu instid0(VALU_DEP_3) | instskip(NEXT) | instid1(VALU_DEP_3)
	v_and_b32_e32 v9, 3, v9
	v_cmp_eq_u32_e32 vcc_lo, 0, v12
	v_cndmask_b32_e32 v11, v12, v11, vcc_lo
	s_delay_alu instid0(VALU_DEP_3) | instskip(NEXT) | instid1(VALU_DEP_2)
	v_cndmask_b32_e32 v9, v10, v9, vcc_lo
	v_lshl_add_u32 v10, v11, 23, 0x37800000
	s_delay_alu instid0(VALU_DEP_2) | instskip(NEXT) | instid1(VALU_DEP_1)
	v_lshlrev_b32_e32 v9, 21, v9
	v_or3_b32 v5, v5, v10, v9
	s_delay_alu instid0(VALU_DEP_1)
	v_cvt_i32_f32_e32 v10, v5
	s_branch .LBB235_3
.LBB235_28:
	s_or_b32 exec_lo, exec_lo, s15
	s_mov_b32 s2, 0
.LBB235_29:
	s_delay_alu instid0(SALU_CYCLE_1)
	s_and_not1_b32 vcc_lo, exec_lo, s2
	s_cbranch_vccnz .LBB235_73
; %bb.30:
	v_cmp_lt_i64_e64 s2, s[4:5], 1
	s_delay_alu instid0(VALU_DEP_1)
	s_and_b32 vcc_lo, exec_lo, s2
	s_cbranch_vccnz .LBB235_73
; %bb.31:
	s_load_b32 s0, s[0:1], 0xc5c
	v_cmp_gt_u64_e64 s1, 0x10000, s[4:5]
	v_add_co_u32 v3, s2, s8, v0
	v_lshlrev_b32_e32 v1, 1, v0
	v_add_co_ci_u32_e64 v4, null, s9, 0, s2
	s_delay_alu instid0(VALU_DEP_3) | instskip(NEXT) | instid1(VALU_DEP_2)
	v_add_co_u32 v13, vcc_lo, s6, v3
                                        ; implicit-def: $vgpr27
                                        ; implicit-def: $vgpr28
                                        ; implicit-def: $vgpr29
                                        ; implicit-def: $vgpr30
	v_add_co_ci_u32_e32 v14, vcc_lo, s7, v4, vcc_lo
	s_waitcnt lgkmcnt(0)
	s_and_b32 s0, s0, 0xffff
	s_and_b32 s1, s1, exec_lo
	s_cselect_b32 s3, s5, 0
	s_cselect_b32 s2, s4, 0x10000
	s_lshl_b64 s[10:11], s[10:11], 17
	s_lshl_b32 s14, s0, 1
	s_lshl_b32 s1, s0, 2
	s_add_u32 s12, s12, s10
	s_mul_i32 s15, s0, 3
	s_addc_u32 s11, s13, s11
	s_lshl_b32 s10, s0, 3
	v_add_co_u32 v1, s16, s12, v1
	s_add_u32 s13, s8, s15
	v_add_co_ci_u32_e64 v2, null, s11, 0, s16
	s_addc_u32 s16, s9, 0
	s_add_u32 s13, s6, s13
	s_addc_u32 s16, s7, s16
	s_add_u32 s8, s8, s14
	;; [unrolled: 2-line block ×3, first 2 shown]
	s_addc_u32 s9, s7, s9
	v_add_co_u32 v19, s8, s8, v0
	s_delay_alu instid0(VALU_DEP_1) | instskip(SKIP_1) | instid1(VALU_DEP_1)
	v_add_co_ci_u32_e64 v20, null, s9, 0, s8
	v_add_co_u32 v21, s8, s14, v0
	v_add_co_ci_u32_e64 v22, null, 0, 0, s8
	v_add_co_u32 v23, s8, v0, s0
	v_add_co_u32 v15, s13, s13, v0
	s_add_u32 s6, s6, s0
	s_delay_alu instid0(VALU_DEP_2)
	v_lshlrev_b32_e32 v5, 1, v23
	v_add_co_ci_u32_e64 v16, null, s16, 0, s13
	v_add_co_u32 v17, s13, s15, v0
	s_addc_u32 s7, s7, 0
	v_add_co_u32 v25, vcc_lo, s6, v3
	v_add_co_u32 v3, s6, s12, v5
	v_add_co_ci_u32_e64 v18, null, 0, 0, s13
	v_add_co_ci_u32_e64 v24, null, 0, 0, s8
	v_add_co_ci_u32_e32 v26, vcc_lo, s7, v4, vcc_lo
	v_add_co_ci_u32_e64 v4, null, s11, 0, s6
	s_mul_i32 s8, s0, 6
	s_mov_b64 s[6:7], 0
	s_branch .LBB235_33
.LBB235_32:                             ;   in Loop: Header=BB235_33 Depth=1
	s_or_b32 exec_lo, exec_lo, s0
	s_add_u32 s6, s6, s1
	s_addc_u32 s7, s7, 0
	v_add_co_u32 v1, vcc_lo, v1, s10
	v_cmp_ge_i64_e64 s0, s[6:7], s[4:5]
	v_cmp_lt_u64_e64 s9, 0xffff, s[6:7]
	v_add_co_ci_u32_e32 v2, vcc_lo, 0, v2, vcc_lo
	v_add_co_u32 v3, vcc_lo, v3, s10
	v_add_co_ci_u32_e32 v4, vcc_lo, 0, v4, vcc_lo
	s_delay_alu instid0(VALU_DEP_4) | instskip(NEXT) | instid1(SALU_CYCLE_1)
	s_or_b32 s0, s0, s9
	s_and_b32 vcc_lo, exec_lo, s0
	s_cbranch_vccnz .LBB235_73
.LBB235_33:                             ; =>This Inner Loop Header: Depth=1
	v_add_co_u32 v5, s0, v0, s6
	s_delay_alu instid0(VALU_DEP_1) | instskip(NEXT) | instid1(VALU_DEP_1)
	v_add_co_ci_u32_e64 v6, null, 0, s7, s0
	v_cmp_gt_i64_e32 vcc_lo, s[4:5], v[5:6]
	v_cmp_gt_u64_e64 s0, 0x10000, v[5:6]
	s_delay_alu instid0(VALU_DEP_1) | instskip(NEXT) | instid1(SALU_CYCLE_1)
	s_and_b32 s9, vcc_lo, s0
	s_and_saveexec_b32 s0, s9
	s_cbranch_execz .LBB235_35
; %bb.34:                               ;   in Loop: Header=BB235_33 Depth=1
	v_add_co_u32 v7, vcc_lo, v13, s6
	v_add_co_ci_u32_e32 v8, vcc_lo, s7, v14, vcc_lo
	global_load_u8 v30, v[7:8], off
.LBB235_35:                             ;   in Loop: Header=BB235_33 Depth=1
	s_or_b32 exec_lo, exec_lo, s0
	v_add_co_u32 v7, vcc_lo, v23, s6
	v_add_co_ci_u32_e32 v8, vcc_lo, s7, v24, vcc_lo
	s_delay_alu instid0(VALU_DEP_1) | instskip(SKIP_1) | instid1(VALU_DEP_1)
	v_cmp_gt_i64_e32 vcc_lo, s[4:5], v[7:8]
	v_cmp_gt_u64_e64 s0, 0x10000, v[7:8]
	s_and_b32 s9, vcc_lo, s0
	s_delay_alu instid0(SALU_CYCLE_1)
	s_and_saveexec_b32 s0, s9
	s_cbranch_execz .LBB235_37
; %bb.36:                               ;   in Loop: Header=BB235_33 Depth=1
	v_add_co_u32 v9, vcc_lo, v25, s6
	v_add_co_ci_u32_e32 v10, vcc_lo, s7, v26, vcc_lo
	global_load_u8 v29, v[9:10], off
.LBB235_37:                             ;   in Loop: Header=BB235_33 Depth=1
	s_or_b32 exec_lo, exec_lo, s0
	v_add_co_u32 v9, vcc_lo, v21, s6
	v_add_co_ci_u32_e32 v10, vcc_lo, s7, v22, vcc_lo
	s_delay_alu instid0(VALU_DEP_1) | instskip(SKIP_1) | instid1(VALU_DEP_1)
	v_cmp_gt_i64_e32 vcc_lo, s[4:5], v[9:10]
	v_cmp_gt_u64_e64 s0, 0x10000, v[9:10]
	s_and_b32 s9, vcc_lo, s0
	s_delay_alu instid0(SALU_CYCLE_1)
	;; [unrolled: 15-line block ×3, first 2 shown]
	s_and_saveexec_b32 s0, s9
	s_cbranch_execz .LBB235_41
; %bb.40:                               ;   in Loop: Header=BB235_33 Depth=1
	v_add_co_u32 v31, vcc_lo, v15, s6
	v_add_co_ci_u32_e32 v32, vcc_lo, s7, v16, vcc_lo
	global_load_u8 v27, v[31:32], off
.LBB235_41:                             ;   in Loop: Header=BB235_33 Depth=1
	s_or_b32 exec_lo, exec_lo, s0
	s_waitcnt vmcnt(0)
	v_and_b32_e32 v32, 0xff, v30
	s_mov_b32 s0, 0
	s_mov_b32 s9, exec_lo
                                        ; implicit-def: $sgpr11
	s_delay_alu instid0(VALU_DEP_1)
	v_cmpx_lt_i16_e32 0x7f, v32
	s_xor_b32 s9, exec_lo, s9
	s_cbranch_execnz .LBB235_61
; %bb.42:                               ;   in Loop: Header=BB235_33 Depth=1
	s_or_saveexec_b32 s9, s9
	v_mov_b32_e32 v31, s11
	s_xor_b32 exec_lo, exec_lo, s9
	s_cbranch_execnz .LBB235_62
.LBB235_43:                             ;   in Loop: Header=BB235_33 Depth=1
	s_or_b32 exec_lo, exec_lo, s9
	s_and_saveexec_b32 s9, s0
	s_cbranch_execz .LBB235_45
.LBB235_44:                             ;   in Loop: Header=BB235_33 Depth=1
	v_lshrrev_b16 v34, 2, v30
	v_lshlrev_b32_e32 v35, 24, v30
	s_delay_alu instid0(VALU_DEP_2) | instskip(NEXT) | instid1(VALU_DEP_1)
	v_and_b32_e32 v34, 31, v34
	v_cmp_eq_u32_e32 vcc_lo, 0, v34
	v_and_b32_e32 v31, 3, v30
	s_delay_alu instid0(VALU_DEP_1) | instskip(NEXT) | instid1(VALU_DEP_1)
	v_clz_i32_u32_e32 v32, v31
	v_min_u32_e32 v32, 32, v32
	s_delay_alu instid0(VALU_DEP_1) | instskip(SKIP_1) | instid1(VALU_DEP_1)
	v_subrev_nc_u32_e32 v33, 29, v32
	v_sub_nc_u32_e32 v32, 30, v32
	v_dual_cndmask_b32 v32, v34, v32 :: v_dual_lshlrev_b32 v33, v33, v30
	s_delay_alu instid0(VALU_DEP_1) | instskip(NEXT) | instid1(VALU_DEP_2)
	v_and_b32_e32 v33, 3, v33
	v_lshl_add_u32 v32, v32, 23, 0x37800000
	s_delay_alu instid0(VALU_DEP_2) | instskip(SKIP_1) | instid1(VALU_DEP_2)
	v_cndmask_b32_e32 v31, v31, v33, vcc_lo
	v_and_b32_e32 v33, 0x80000000, v35
	v_lshlrev_b32_e32 v31, 21, v31
	s_delay_alu instid0(VALU_DEP_1) | instskip(NEXT) | instid1(VALU_DEP_1)
	v_or3_b32 v31, v33, v32, v31
	v_cvt_i32_f32_e32 v31, v31
.LBB235_45:                             ;   in Loop: Header=BB235_33 Depth=1
	s_or_b32 exec_lo, exec_lo, s9
	v_and_b32_e32 v33, 0xff, v29
	s_mov_b32 s0, 0
	s_mov_b32 s9, exec_lo
                                        ; implicit-def: $sgpr11
	s_delay_alu instid0(VALU_DEP_1)
	v_cmpx_lt_i16_e32 0x7f, v33
	s_xor_b32 s9, exec_lo, s9
	s_cbranch_execnz .LBB235_63
; %bb.46:                               ;   in Loop: Header=BB235_33 Depth=1
	s_or_saveexec_b32 s9, s9
	v_mov_b32_e32 v32, s11
	s_xor_b32 exec_lo, exec_lo, s9
	s_cbranch_execnz .LBB235_64
.LBB235_47:                             ;   in Loop: Header=BB235_33 Depth=1
	s_or_b32 exec_lo, exec_lo, s9
	s_and_saveexec_b32 s9, s0
	s_cbranch_execz .LBB235_49
.LBB235_48:                             ;   in Loop: Header=BB235_33 Depth=1
	v_and_b32_e32 v32, 3, v29
	v_lshrrev_b16 v35, 2, v29
	v_lshlrev_b32_e32 v36, 24, v29
	s_delay_alu instid0(VALU_DEP_3) | instskip(NEXT) | instid1(VALU_DEP_1)
	v_clz_i32_u32_e32 v33, v32
	v_min_u32_e32 v33, 32, v33
	s_delay_alu instid0(VALU_DEP_1) | instskip(SKIP_1) | instid1(VALU_DEP_2)
	v_subrev_nc_u32_e32 v34, 29, v33
	v_sub_nc_u32_e32 v33, 30, v33
	v_lshlrev_b32_e32 v34, v34, v29
	s_delay_alu instid0(VALU_DEP_1) | instskip(SKIP_1) | instid1(VALU_DEP_1)
	v_and_b32_e32 v34, 3, v34
	v_and_b32_e32 v35, 31, v35
	v_cmp_eq_u32_e32 vcc_lo, 0, v35
	s_delay_alu instid0(VALU_DEP_3) | instskip(SKIP_1) | instid1(VALU_DEP_2)
	v_dual_cndmask_b32 v32, v32, v34 :: v_dual_cndmask_b32 v33, v35, v33
	v_and_b32_e32 v34, 0x80000000, v36
	v_lshlrev_b32_e32 v32, 21, v32
	s_delay_alu instid0(VALU_DEP_3) | instskip(NEXT) | instid1(VALU_DEP_1)
	v_lshl_add_u32 v33, v33, 23, 0x37800000
	v_or3_b32 v32, v34, v33, v32
	s_delay_alu instid0(VALU_DEP_1)
	v_cvt_i32_f32_e32 v32, v32
.LBB235_49:                             ;   in Loop: Header=BB235_33 Depth=1
	s_or_b32 exec_lo, exec_lo, s9
	v_and_b32_e32 v34, 0xff, v28
	s_mov_b32 s0, 0
	s_mov_b32 s9, exec_lo
                                        ; implicit-def: $sgpr11
	s_delay_alu instid0(VALU_DEP_1)
	v_cmpx_lt_i16_e32 0x7f, v34
	s_xor_b32 s9, exec_lo, s9
	s_cbranch_execnz .LBB235_65
; %bb.50:                               ;   in Loop: Header=BB235_33 Depth=1
	s_or_saveexec_b32 s9, s9
	v_mov_b32_e32 v33, s11
	s_xor_b32 exec_lo, exec_lo, s9
	s_cbranch_execnz .LBB235_66
.LBB235_51:                             ;   in Loop: Header=BB235_33 Depth=1
	s_or_b32 exec_lo, exec_lo, s9
	s_and_saveexec_b32 s9, s0
	s_cbranch_execz .LBB235_53
.LBB235_52:                             ;   in Loop: Header=BB235_33 Depth=1
	v_lshrrev_b16 v36, 2, v28
	v_lshlrev_b32_e32 v37, 24, v28
	s_delay_alu instid0(VALU_DEP_2) | instskip(NEXT) | instid1(VALU_DEP_1)
	v_and_b32_e32 v36, 31, v36
	v_cmp_eq_u32_e32 vcc_lo, 0, v36
	v_and_b32_e32 v33, 3, v28
	s_delay_alu instid0(VALU_DEP_1) | instskip(NEXT) | instid1(VALU_DEP_1)
	v_clz_i32_u32_e32 v34, v33
	v_min_u32_e32 v34, 32, v34
	s_delay_alu instid0(VALU_DEP_1) | instskip(SKIP_1) | instid1(VALU_DEP_1)
	v_subrev_nc_u32_e32 v35, 29, v34
	v_sub_nc_u32_e32 v34, 30, v34
	v_dual_cndmask_b32 v34, v36, v34 :: v_dual_lshlrev_b32 v35, v35, v28
	s_delay_alu instid0(VALU_DEP_1) | instskip(NEXT) | instid1(VALU_DEP_2)
	v_and_b32_e32 v35, 3, v35
	v_lshl_add_u32 v34, v34, 23, 0x37800000
	s_delay_alu instid0(VALU_DEP_2) | instskip(SKIP_1) | instid1(VALU_DEP_2)
	v_cndmask_b32_e32 v33, v33, v35, vcc_lo
	v_and_b32_e32 v35, 0x80000000, v37
	v_lshlrev_b32_e32 v33, 21, v33
	s_delay_alu instid0(VALU_DEP_1) | instskip(NEXT) | instid1(VALU_DEP_1)
	v_or3_b32 v33, v35, v34, v33
	v_cvt_i32_f32_e32 v33, v33
.LBB235_53:                             ;   in Loop: Header=BB235_33 Depth=1
	s_or_b32 exec_lo, exec_lo, s9
	v_and_b32_e32 v35, 0xff, v27
	s_mov_b32 s0, 0
	s_mov_b32 s9, exec_lo
                                        ; implicit-def: $sgpr11
	s_delay_alu instid0(VALU_DEP_1)
	v_cmpx_lt_i16_e32 0x7f, v35
	s_xor_b32 s9, exec_lo, s9
	s_cbranch_execnz .LBB235_67
; %bb.54:                               ;   in Loop: Header=BB235_33 Depth=1
	s_or_saveexec_b32 s9, s9
	v_mov_b32_e32 v34, s11
	s_xor_b32 exec_lo, exec_lo, s9
	s_cbranch_execnz .LBB235_68
.LBB235_55:                             ;   in Loop: Header=BB235_33 Depth=1
	s_or_b32 exec_lo, exec_lo, s9
	s_and_saveexec_b32 s9, s0
	s_cbranch_execz .LBB235_57
.LBB235_56:                             ;   in Loop: Header=BB235_33 Depth=1
	v_and_b32_e32 v34, 3, v27
	v_lshrrev_b16 v37, 2, v27
	v_lshlrev_b32_e32 v38, 24, v27
	s_delay_alu instid0(VALU_DEP_3) | instskip(NEXT) | instid1(VALU_DEP_1)
	v_clz_i32_u32_e32 v35, v34
	v_min_u32_e32 v35, 32, v35
	s_delay_alu instid0(VALU_DEP_1) | instskip(SKIP_1) | instid1(VALU_DEP_2)
	v_subrev_nc_u32_e32 v36, 29, v35
	v_sub_nc_u32_e32 v35, 30, v35
	v_lshlrev_b32_e32 v36, v36, v27
	s_delay_alu instid0(VALU_DEP_1) | instskip(SKIP_1) | instid1(VALU_DEP_1)
	v_and_b32_e32 v36, 3, v36
	v_and_b32_e32 v37, 31, v37
	v_cmp_eq_u32_e32 vcc_lo, 0, v37
	s_delay_alu instid0(VALU_DEP_3) | instskip(SKIP_1) | instid1(VALU_DEP_2)
	v_dual_cndmask_b32 v34, v34, v36 :: v_dual_cndmask_b32 v35, v37, v35
	v_and_b32_e32 v36, 0x80000000, v38
	v_lshlrev_b32_e32 v34, 21, v34
	s_delay_alu instid0(VALU_DEP_3) | instskip(NEXT) | instid1(VALU_DEP_1)
	v_lshl_add_u32 v35, v35, 23, 0x37800000
	v_or3_b32 v34, v36, v35, v34
	s_delay_alu instid0(VALU_DEP_1)
	v_cvt_i32_f32_e32 v34, v34
.LBB235_57:                             ;   in Loop: Header=BB235_33 Depth=1
	s_or_b32 exec_lo, exec_lo, s9
	s_delay_alu instid0(SALU_CYCLE_1)
	s_mov_b32 s0, exec_lo
	v_cmpx_gt_u64_e64 s[2:3], v[5:6]
	s_xor_b32 s0, exec_lo, s0
	s_cbranch_execnz .LBB235_69
; %bb.58:                               ;   in Loop: Header=BB235_33 Depth=1
	s_or_b32 exec_lo, exec_lo, s0
	s_delay_alu instid0(SALU_CYCLE_1)
	s_mov_b32 s0, exec_lo
	v_cmpx_gt_u64_e64 s[2:3], v[7:8]
	s_cbranch_execnz .LBB235_70
.LBB235_59:                             ;   in Loop: Header=BB235_33 Depth=1
	s_or_b32 exec_lo, exec_lo, s0
	s_delay_alu instid0(SALU_CYCLE_1)
	s_mov_b32 s0, exec_lo
	v_cmpx_gt_u64_e64 s[2:3], v[9:10]
	s_cbranch_execnz .LBB235_71
.LBB235_60:                             ;   in Loop: Header=BB235_33 Depth=1
	s_or_b32 exec_lo, exec_lo, s0
	s_delay_alu instid0(SALU_CYCLE_1)
	s_mov_b32 s0, exec_lo
	v_cmpx_gt_u64_e64 s[2:3], v[11:12]
	s_cbranch_execz .LBB235_32
	s_branch .LBB235_72
.LBB235_61:                             ;   in Loop: Header=BB235_33 Depth=1
	v_cmp_ne_u16_e32 vcc_lo, 0x80, v32
	s_mov_b32 s11, 0
                                        ; implicit-def: $vgpr32
	s_and_b32 s0, vcc_lo, exec_lo
	s_or_saveexec_b32 s9, s9
	v_mov_b32_e32 v31, s11
	s_xor_b32 exec_lo, exec_lo, s9
	s_cbranch_execz .LBB235_43
.LBB235_62:                             ;   in Loop: Header=BB235_33 Depth=1
	v_cmp_ne_u16_e32 vcc_lo, 0, v32
	v_mov_b32_e32 v31, 0
	s_and_not1_b32 s0, s0, exec_lo
	s_and_b32 s11, vcc_lo, exec_lo
	s_delay_alu instid0(SALU_CYCLE_1)
	s_or_b32 s0, s0, s11
	s_or_b32 exec_lo, exec_lo, s9
	s_and_saveexec_b32 s9, s0
	s_cbranch_execnz .LBB235_44
	s_branch .LBB235_45
.LBB235_63:                             ;   in Loop: Header=BB235_33 Depth=1
	v_cmp_ne_u16_e32 vcc_lo, 0x80, v33
	s_mov_b32 s11, 0
                                        ; implicit-def: $vgpr33
	s_and_b32 s0, vcc_lo, exec_lo
	s_or_saveexec_b32 s9, s9
	v_mov_b32_e32 v32, s11
	s_xor_b32 exec_lo, exec_lo, s9
	s_cbranch_execz .LBB235_47
.LBB235_64:                             ;   in Loop: Header=BB235_33 Depth=1
	v_cmp_ne_u16_e32 vcc_lo, 0, v33
	v_mov_b32_e32 v32, 0
	s_and_not1_b32 s0, s0, exec_lo
	s_and_b32 s11, vcc_lo, exec_lo
	s_delay_alu instid0(SALU_CYCLE_1)
	s_or_b32 s0, s0, s11
	s_or_b32 exec_lo, exec_lo, s9
	s_and_saveexec_b32 s9, s0
	s_cbranch_execnz .LBB235_48
	s_branch .LBB235_49
.LBB235_65:                             ;   in Loop: Header=BB235_33 Depth=1
	v_cmp_ne_u16_e32 vcc_lo, 0x80, v34
	s_mov_b32 s11, 0
                                        ; implicit-def: $vgpr34
	s_and_b32 s0, vcc_lo, exec_lo
	s_or_saveexec_b32 s9, s9
	v_mov_b32_e32 v33, s11
	s_xor_b32 exec_lo, exec_lo, s9
	s_cbranch_execz .LBB235_51
.LBB235_66:                             ;   in Loop: Header=BB235_33 Depth=1
	v_cmp_ne_u16_e32 vcc_lo, 0, v34
	v_mov_b32_e32 v33, 0
	s_and_not1_b32 s0, s0, exec_lo
	s_and_b32 s11, vcc_lo, exec_lo
	s_delay_alu instid0(SALU_CYCLE_1)
	s_or_b32 s0, s0, s11
	s_or_b32 exec_lo, exec_lo, s9
	s_and_saveexec_b32 s9, s0
	s_cbranch_execnz .LBB235_52
	s_branch .LBB235_53
.LBB235_67:                             ;   in Loop: Header=BB235_33 Depth=1
	v_cmp_ne_u16_e32 vcc_lo, 0x80, v35
	s_mov_b32 s11, 0
                                        ; implicit-def: $vgpr35
	s_and_b32 s0, vcc_lo, exec_lo
	s_or_saveexec_b32 s9, s9
	v_mov_b32_e32 v34, s11
	s_xor_b32 exec_lo, exec_lo, s9
	s_cbranch_execz .LBB235_55
.LBB235_68:                             ;   in Loop: Header=BB235_33 Depth=1
	v_cmp_ne_u16_e32 vcc_lo, 0, v35
	v_mov_b32_e32 v34, 0
	s_and_not1_b32 s0, s0, exec_lo
	s_and_b32 s11, vcc_lo, exec_lo
	s_delay_alu instid0(SALU_CYCLE_1)
	s_or_b32 s0, s0, s11
	s_or_b32 exec_lo, exec_lo, s9
	s_and_saveexec_b32 s9, s0
	s_cbranch_execnz .LBB235_56
	s_branch .LBB235_57
.LBB235_69:                             ;   in Loop: Header=BB235_33 Depth=1
	global_store_b16 v[1:2], v31, off
	s_or_b32 exec_lo, exec_lo, s0
	s_delay_alu instid0(SALU_CYCLE_1)
	s_mov_b32 s0, exec_lo
	v_cmpx_gt_u64_e64 s[2:3], v[7:8]
	s_cbranch_execz .LBB235_59
.LBB235_70:                             ;   in Loop: Header=BB235_33 Depth=1
	global_store_b16 v[3:4], v32, off
	s_or_b32 exec_lo, exec_lo, s0
	s_delay_alu instid0(SALU_CYCLE_1)
	s_mov_b32 s0, exec_lo
	v_cmpx_gt_u64_e64 s[2:3], v[9:10]
	s_cbranch_execz .LBB235_60
.LBB235_71:                             ;   in Loop: Header=BB235_33 Depth=1
	v_add_co_u32 v5, vcc_lo, v1, s1
	v_add_co_ci_u32_e32 v6, vcc_lo, 0, v2, vcc_lo
	global_store_b16 v[5:6], v33, off
	s_or_b32 exec_lo, exec_lo, s0
	s_delay_alu instid0(SALU_CYCLE_1)
	s_mov_b32 s0, exec_lo
	v_cmpx_gt_u64_e64 s[2:3], v[11:12]
	s_cbranch_execz .LBB235_32
.LBB235_72:                             ;   in Loop: Header=BB235_33 Depth=1
	v_add_co_u32 v5, vcc_lo, v1, s8
	v_add_co_ci_u32_e32 v6, vcc_lo, 0, v2, vcc_lo
	global_store_b16 v[5:6], v34, off
	s_branch .LBB235_32
.LBB235_73:
	s_nop 0
	s_sendmsg sendmsg(MSG_DEALLOC_VGPRS)
	s_endpgm
	.section	.rodata,"a",@progbits
	.p2align	6, 0x0
	.amdhsa_kernel _ZN2at6native12_GLOBAL__N_125multi_tensor_apply_kernelINS1_18TensorListMetadataILi2EEENS1_11CopyFunctorIsN3c1015Float8_e5m2fnuzELi2ELi1ELi1EEEJNS0_4CopyIsS7_EEEEEvT_T0_DpT1_
		.amdhsa_group_segment_fixed_size 0
		.amdhsa_private_segment_fixed_size 0
		.amdhsa_kernarg_size 3408
		.amdhsa_user_sgpr_count 15
		.amdhsa_user_sgpr_dispatch_ptr 0
		.amdhsa_user_sgpr_queue_ptr 0
		.amdhsa_user_sgpr_kernarg_segment_ptr 1
		.amdhsa_user_sgpr_dispatch_id 0
		.amdhsa_user_sgpr_private_segment_size 0
		.amdhsa_wavefront_size32 1
		.amdhsa_uses_dynamic_stack 0
		.amdhsa_enable_private_segment 0
		.amdhsa_system_sgpr_workgroup_id_x 1
		.amdhsa_system_sgpr_workgroup_id_y 0
		.amdhsa_system_sgpr_workgroup_id_z 0
		.amdhsa_system_sgpr_workgroup_info 0
		.amdhsa_system_vgpr_workitem_id 0
		.amdhsa_next_free_vgpr 39
		.amdhsa_next_free_sgpr 21
		.amdhsa_reserve_vcc 1
		.amdhsa_float_round_mode_32 0
		.amdhsa_float_round_mode_16_64 0
		.amdhsa_float_denorm_mode_32 3
		.amdhsa_float_denorm_mode_16_64 3
		.amdhsa_dx10_clamp 1
		.amdhsa_ieee_mode 1
		.amdhsa_fp16_overflow 0
		.amdhsa_workgroup_processor_mode 1
		.amdhsa_memory_ordered 1
		.amdhsa_forward_progress 0
		.amdhsa_shared_vgpr_count 0
		.amdhsa_exception_fp_ieee_invalid_op 0
		.amdhsa_exception_fp_denorm_src 0
		.amdhsa_exception_fp_ieee_div_zero 0
		.amdhsa_exception_fp_ieee_overflow 0
		.amdhsa_exception_fp_ieee_underflow 0
		.amdhsa_exception_fp_ieee_inexact 0
		.amdhsa_exception_int_div_zero 0
	.end_amdhsa_kernel
	.section	.text._ZN2at6native12_GLOBAL__N_125multi_tensor_apply_kernelINS1_18TensorListMetadataILi2EEENS1_11CopyFunctorIsN3c1015Float8_e5m2fnuzELi2ELi1ELi1EEEJNS0_4CopyIsS7_EEEEEvT_T0_DpT1_,"axG",@progbits,_ZN2at6native12_GLOBAL__N_125multi_tensor_apply_kernelINS1_18TensorListMetadataILi2EEENS1_11CopyFunctorIsN3c1015Float8_e5m2fnuzELi2ELi1ELi1EEEJNS0_4CopyIsS7_EEEEEvT_T0_DpT1_,comdat
.Lfunc_end235:
	.size	_ZN2at6native12_GLOBAL__N_125multi_tensor_apply_kernelINS1_18TensorListMetadataILi2EEENS1_11CopyFunctorIsN3c1015Float8_e5m2fnuzELi2ELi1ELi1EEEJNS0_4CopyIsS7_EEEEEvT_T0_DpT1_, .Lfunc_end235-_ZN2at6native12_GLOBAL__N_125multi_tensor_apply_kernelINS1_18TensorListMetadataILi2EEENS1_11CopyFunctorIsN3c1015Float8_e5m2fnuzELi2ELi1ELi1EEEJNS0_4CopyIsS7_EEEEEvT_T0_DpT1_
                                        ; -- End function
	.section	.AMDGPU.csdata,"",@progbits
; Kernel info:
; codeLenInByte = 3384
; NumSgprs: 23
; NumVgprs: 39
; ScratchSize: 0
; MemoryBound: 0
; FloatMode: 240
; IeeeMode: 1
; LDSByteSize: 0 bytes/workgroup (compile time only)
; SGPRBlocks: 2
; VGPRBlocks: 4
; NumSGPRsForWavesPerEU: 23
; NumVGPRsForWavesPerEU: 39
; Occupancy: 16
; WaveLimiterHint : 0
; COMPUTE_PGM_RSRC2:SCRATCH_EN: 0
; COMPUTE_PGM_RSRC2:USER_SGPR: 15
; COMPUTE_PGM_RSRC2:TRAP_HANDLER: 0
; COMPUTE_PGM_RSRC2:TGID_X_EN: 1
; COMPUTE_PGM_RSRC2:TGID_Y_EN: 0
; COMPUTE_PGM_RSRC2:TGID_Z_EN: 0
; COMPUTE_PGM_RSRC2:TIDIG_COMP_CNT: 0
	.section	.text._ZN2at6native12_GLOBAL__N_125multi_tensor_apply_kernelINS1_18TensorListMetadataILi2EEENS1_11CopyFunctorIdhLi2ELi1ELi1EEEJNS0_4CopyIdhEEEEEvT_T0_DpT1_,"axG",@progbits,_ZN2at6native12_GLOBAL__N_125multi_tensor_apply_kernelINS1_18TensorListMetadataILi2EEENS1_11CopyFunctorIdhLi2ELi1ELi1EEEJNS0_4CopyIdhEEEEEvT_T0_DpT1_,comdat
	.globl	_ZN2at6native12_GLOBAL__N_125multi_tensor_apply_kernelINS1_18TensorListMetadataILi2EEENS1_11CopyFunctorIdhLi2ELi1ELi1EEEJNS0_4CopyIdhEEEEEvT_T0_DpT1_ ; -- Begin function _ZN2at6native12_GLOBAL__N_125multi_tensor_apply_kernelINS1_18TensorListMetadataILi2EEENS1_11CopyFunctorIdhLi2ELi1ELi1EEEJNS0_4CopyIdhEEEEEvT_T0_DpT1_
	.p2align	8
	.type	_ZN2at6native12_GLOBAL__N_125multi_tensor_apply_kernelINS1_18TensorListMetadataILi2EEENS1_11CopyFunctorIdhLi2ELi1ELi1EEEJNS0_4CopyIdhEEEEEvT_T0_DpT1_,@function
_ZN2at6native12_GLOBAL__N_125multi_tensor_apply_kernelINS1_18TensorListMetadataILi2EEENS1_11CopyFunctorIdhLi2ELi1ELi1EEEJNS0_4CopyIdhEEEEEvT_T0_DpT1_: ; @_ZN2at6native12_GLOBAL__N_125multi_tensor_apply_kernelINS1_18TensorListMetadataILi2EEENS1_11CopyFunctorIdhLi2ELi1ELi1EEEJNS0_4CopyIdhEEEEEvT_T0_DpT1_
; %bb.0:
	v_mov_b32_e32 v1, s15
	s_add_u32 s2, s0, s15
	s_mul_hi_u32 s3, s15, 3
	s_mul_i32 s15, s15, 3
	s_addc_u32 s4, s1, 0
	global_load_u8 v1, v1, s[0:1] offset:1536
	s_add_u32 s2, s2, s15
	s_addc_u32 s3, s4, s3
	s_mov_b32 s15, 0
	s_load_b32 s10, s[2:3], 0x740
	s_mov_b32 s17, s15
	s_waitcnt lgkmcnt(0)
	s_ashr_i32 s11, s10, 31
	s_delay_alu instid0(SALU_CYCLE_1) | instskip(SKIP_2) | instid1(VALU_DEP_1)
	s_lshl_b64 s[8:9], s[10:11], 16
	s_waitcnt vmcnt(0)
	v_readfirstlane_b32 s5, v1
	s_lshl_b32 s2, s5, 3
	s_clause 0x2
	s_load_b64 s[6:7], s[0:1], s2 offset:0x0
	s_load_b64 s[12:13], s[0:1], s2 offset:0x200
	;; [unrolled: 1-line block ×3, first 2 shown]
	s_waitcnt lgkmcnt(0)
	s_add_u32 s3, s6, s8
	s_addc_u32 s18, s7, s9
	s_and_b32 s2, s12, 31
	s_and_b32 s16, s4, 3
	;; [unrolled: 1-line block ×3, first 2 shown]
	s_or_b32 s16, s16, s2
	s_mov_b32 s2, -1
	s_or_b64 s[14:15], s[14:15], s[16:17]
	s_sub_u32 s4, s4, s8
	s_subb_u32 s5, s5, s9
	s_cmp_eq_u64 s[14:15], 0
	s_cbranch_scc0 .LBB236_5
; %bb.1:
	v_dual_mov_b32 v2, 0 :: v_dual_lshlrev_b32 v1, 2, v0
	s_mov_b32 s19, exec_lo
	s_delay_alu instid0(VALU_DEP_1)
	v_cmpx_gt_i64_e64 s[4:5], v[1:2]
	s_cbranch_execz .LBB236_4
; %bb.2:
	s_load_b32 s2, s[0:1], 0xc5c
	v_lshlrev_b32_e32 v2, 5, v0
	s_lshl_b64 s[16:17], s[10:11], 19
	s_waitcnt lgkmcnt(0)
	s_and_b32 s2, s2, 0xffff
	s_delay_alu instid0(SALU_CYCLE_1) | instskip(SKIP_3) | instid1(VALU_DEP_1)
	s_lshl_b32 s14, s2, 2
	s_add_u32 s15, s12, s16
	s_addc_u32 s16, s13, s17
	v_add_co_u32 v2, s15, s15, v2
	v_add_co_ci_u32_e64 v3, null, s16, 0, s15
	s_mov_b32 s15, 0
	s_delay_alu instid0(VALU_DEP_2) | instskip(NEXT) | instid1(VALU_DEP_2)
	v_add_co_u32 v2, vcc_lo, v2, 16
	v_add_co_ci_u32_e32 v3, vcc_lo, 0, v3, vcc_lo
	s_lshl_b32 s20, s2, 5
	s_mov_b64 s[16:17], s[14:15]
	s_set_inst_prefetch_distance 0x1
	.p2align	6
.LBB236_3:                              ; =>This Inner Loop Header: Depth=1
	v_add_co_u32 v4, s2, s3, v1
	s_delay_alu instid0(VALU_DEP_1) | instskip(SKIP_1) | instid1(VALU_DEP_1)
	v_add_co_ci_u32_e64 v5, null, s18, 0, s2
	v_add_co_u32 v12, s2, v1, s16
	v_add_co_ci_u32_e64 v13, null, 0, s17, s2
	global_load_b32 v4, v[4:5], off
	v_cmp_le_i64_e32 vcc_lo, s[4:5], v[12:13]
	v_cmp_lt_u64_e64 s2, 0xffff, v[12:13]
	s_delay_alu instid0(VALU_DEP_1)
	s_or_b32 s2, vcc_lo, s2
	s_add_u32 s16, s16, s14
	s_addc_u32 s17, s17, 0
	s_add_u32 s3, s3, s14
	s_addc_u32 s18, s18, 0
	s_and_b32 s2, exec_lo, s2
	s_delay_alu instid0(SALU_CYCLE_1)
	s_or_b32 s15, s2, s15
	s_waitcnt vmcnt(0)
	v_and_b32_e32 v5, 0xff, v4
	v_bfe_u32 v6, v4, 8, 8
	v_bfe_u32 v8, v4, 16, 8
	v_lshrrev_b32_e32 v10, 24, v4
	s_delay_alu instid0(VALU_DEP_4) | instskip(NEXT) | instid1(VALU_DEP_4)
	v_cvt_f64_u32_e32 v[4:5], v5
	v_cvt_f64_u32_e32 v[6:7], v6
	s_delay_alu instid0(VALU_DEP_4) | instskip(NEXT) | instid1(VALU_DEP_4)
	v_cvt_f64_u32_e32 v[8:9], v8
	v_cvt_f64_u32_e32 v[10:11], v10
	s_clause 0x1
	global_store_b128 v[2:3], v[4:7], off offset:-16
	global_store_b128 v[2:3], v[8:11], off
	v_add_co_u32 v2, vcc_lo, v2, s20
	v_add_co_ci_u32_e32 v3, vcc_lo, 0, v3, vcc_lo
	s_and_not1_b32 exec_lo, exec_lo, s15
	s_cbranch_execnz .LBB236_3
.LBB236_4:
	s_set_inst_prefetch_distance 0x2
	s_or_b32 exec_lo, exec_lo, s19
	s_mov_b32 s2, 0
.LBB236_5:
	s_delay_alu instid0(SALU_CYCLE_1)
	s_and_not1_b32 vcc_lo, exec_lo, s2
	s_cbranch_vccnz .LBB236_25
; %bb.6:
	v_cmp_lt_i64_e64 s2, s[4:5], 1
	s_delay_alu instid0(VALU_DEP_1)
	s_and_b32 vcc_lo, exec_lo, s2
	s_cbranch_vccnz .LBB236_25
; %bb.7:
	s_load_b32 s0, s[0:1], 0xc5c
	v_cmp_gt_u64_e64 s1, 0x10000, s[4:5]
	v_add_co_u32 v3, s2, s8, v0
	v_lshlrev_b32_e32 v1, 3, v0
	v_add_co_ci_u32_e64 v4, null, s9, 0, s2
	s_delay_alu instid0(VALU_DEP_3) | instskip(NEXT) | instid1(VALU_DEP_2)
	v_add_co_u32 v13, vcc_lo, s6, v3
                                        ; implicit-def: $vgpr27
                                        ; implicit-def: $vgpr28
                                        ; implicit-def: $vgpr29
                                        ; implicit-def: $vgpr30
	v_add_co_ci_u32_e32 v14, vcc_lo, s7, v4, vcc_lo
	s_waitcnt lgkmcnt(0)
	s_and_b32 s0, s0, 0xffff
	s_and_b32 s1, s1, exec_lo
	s_cselect_b32 s3, s5, 0
	s_cselect_b32 s2, s4, 0x10000
	s_lshl_b64 s[10:11], s[10:11], 19
	s_lshl_b32 s14, s0, 1
	s_lshl_b32 s1, s0, 2
	s_add_u32 s12, s12, s10
	s_mul_i32 s15, s0, 3
	s_addc_u32 s11, s13, s11
	s_lshl_b32 s10, s0, 5
	v_add_co_u32 v1, s16, s12, v1
	s_add_u32 s13, s8, s15
	v_add_co_ci_u32_e64 v2, null, s11, 0, s16
	s_addc_u32 s16, s9, 0
	s_add_u32 s13, s6, s13
	s_addc_u32 s16, s7, s16
	s_add_u32 s8, s8, s14
	;; [unrolled: 2-line block ×3, first 2 shown]
	s_addc_u32 s9, s7, s9
	v_add_co_u32 v19, s8, s8, v0
	s_delay_alu instid0(VALU_DEP_1) | instskip(SKIP_1) | instid1(VALU_DEP_1)
	v_add_co_ci_u32_e64 v20, null, s9, 0, s8
	v_add_co_u32 v21, s9, s14, v0
	v_add_co_ci_u32_e64 v22, null, 0, 0, s9
	v_add_co_u32 v23, s9, v0, s0
	s_lshl_b32 s8, s0, 4
	v_add_co_u32 v15, s13, s13, v0
	s_delay_alu instid0(VALU_DEP_2)
	v_lshlrev_b32_e32 v5, 3, v23
	s_add_u32 s6, s6, s0
	v_add_co_ci_u32_e64 v16, null, s16, 0, s13
	v_add_co_u32 v17, s13, s15, v0
	s_addc_u32 s7, s7, 0
	v_add_co_u32 v25, vcc_lo, s6, v3
	v_add_co_u32 v3, s6, s12, v5
	v_add_co_ci_u32_e64 v18, null, 0, 0, s13
	v_add_co_ci_u32_e64 v24, null, 0, 0, s9
	v_add_co_ci_u32_e32 v26, vcc_lo, s7, v4, vcc_lo
	v_add_co_ci_u32_e64 v4, null, s11, 0, s6
	s_mul_i32 s9, s0, 24
	s_mov_b64 s[6:7], 0
	s_branch .LBB236_9
.LBB236_8:                              ;   in Loop: Header=BB236_9 Depth=1
	s_or_b32 exec_lo, exec_lo, s0
	s_add_u32 s6, s6, s1
	s_addc_u32 s7, s7, 0
	v_add_co_u32 v1, vcc_lo, v1, s10
	v_cmp_ge_i64_e64 s0, s[6:7], s[4:5]
	v_cmp_lt_u64_e64 s11, 0xffff, s[6:7]
	v_add_co_ci_u32_e32 v2, vcc_lo, 0, v2, vcc_lo
	v_add_co_u32 v3, vcc_lo, v3, s10
	v_add_co_ci_u32_e32 v4, vcc_lo, 0, v4, vcc_lo
	s_delay_alu instid0(VALU_DEP_4) | instskip(NEXT) | instid1(SALU_CYCLE_1)
	s_or_b32 s0, s0, s11
	s_and_b32 vcc_lo, exec_lo, s0
	s_cbranch_vccnz .LBB236_25
.LBB236_9:                              ; =>This Inner Loop Header: Depth=1
	v_add_co_u32 v5, s0, v0, s6
	s_delay_alu instid0(VALU_DEP_1) | instskip(NEXT) | instid1(VALU_DEP_1)
	v_add_co_ci_u32_e64 v6, null, 0, s7, s0
	v_cmp_gt_i64_e32 vcc_lo, s[4:5], v[5:6]
	v_cmp_gt_u64_e64 s0, 0x10000, v[5:6]
	s_delay_alu instid0(VALU_DEP_1) | instskip(NEXT) | instid1(SALU_CYCLE_1)
	s_and_b32 s11, vcc_lo, s0
	s_and_saveexec_b32 s0, s11
	s_cbranch_execz .LBB236_11
; %bb.10:                               ;   in Loop: Header=BB236_9 Depth=1
	v_add_co_u32 v7, vcc_lo, v13, s6
	v_add_co_ci_u32_e32 v8, vcc_lo, s7, v14, vcc_lo
	global_load_u8 v27, v[7:8], off
.LBB236_11:                             ;   in Loop: Header=BB236_9 Depth=1
	s_or_b32 exec_lo, exec_lo, s0
	v_add_co_u32 v7, vcc_lo, v23, s6
	v_add_co_ci_u32_e32 v8, vcc_lo, s7, v24, vcc_lo
	s_delay_alu instid0(VALU_DEP_1) | instskip(SKIP_1) | instid1(VALU_DEP_1)
	v_cmp_gt_i64_e32 vcc_lo, s[4:5], v[7:8]
	v_cmp_gt_u64_e64 s0, 0x10000, v[7:8]
	s_and_b32 s11, vcc_lo, s0
	s_delay_alu instid0(SALU_CYCLE_1)
	s_and_saveexec_b32 s0, s11
	s_cbranch_execz .LBB236_13
; %bb.12:                               ;   in Loop: Header=BB236_9 Depth=1
	v_add_co_u32 v9, vcc_lo, v25, s6
	v_add_co_ci_u32_e32 v10, vcc_lo, s7, v26, vcc_lo
	global_load_u8 v28, v[9:10], off
.LBB236_13:                             ;   in Loop: Header=BB236_9 Depth=1
	s_or_b32 exec_lo, exec_lo, s0
	v_add_co_u32 v9, vcc_lo, v21, s6
	v_add_co_ci_u32_e32 v10, vcc_lo, s7, v22, vcc_lo
	s_delay_alu instid0(VALU_DEP_1) | instskip(SKIP_1) | instid1(VALU_DEP_1)
	v_cmp_gt_i64_e32 vcc_lo, s[4:5], v[9:10]
	v_cmp_gt_u64_e64 s0, 0x10000, v[9:10]
	s_and_b32 s11, vcc_lo, s0
	s_delay_alu instid0(SALU_CYCLE_1)
	s_and_saveexec_b32 s0, s11
	s_cbranch_execz .LBB236_15
; %bb.14:                               ;   in Loop: Header=BB236_9 Depth=1
	v_add_co_u32 v11, vcc_lo, v19, s6
	v_add_co_ci_u32_e32 v12, vcc_lo, s7, v20, vcc_lo
	global_load_u8 v29, v[11:12], off
.LBB236_15:                             ;   in Loop: Header=BB236_9 Depth=1
	s_or_b32 exec_lo, exec_lo, s0
	v_add_co_u32 v11, vcc_lo, v17, s6
	v_add_co_ci_u32_e32 v12, vcc_lo, s7, v18, vcc_lo
	s_delay_alu instid0(VALU_DEP_1) | instskip(SKIP_1) | instid1(VALU_DEP_1)
	v_cmp_gt_i64_e32 vcc_lo, s[4:5], v[11:12]
	v_cmp_gt_u64_e64 s0, 0x10000, v[11:12]
	s_and_b32 s11, vcc_lo, s0
	s_delay_alu instid0(SALU_CYCLE_1)
	s_and_saveexec_b32 s0, s11
	s_cbranch_execnz .LBB236_20
; %bb.16:                               ;   in Loop: Header=BB236_9 Depth=1
	s_or_b32 exec_lo, exec_lo, s0
	s_delay_alu instid0(SALU_CYCLE_1)
	s_mov_b32 s0, exec_lo
	v_cmpx_gt_u64_e64 s[2:3], v[5:6]
	s_cbranch_execnz .LBB236_21
.LBB236_17:                             ;   in Loop: Header=BB236_9 Depth=1
	s_or_b32 exec_lo, exec_lo, s0
	s_delay_alu instid0(SALU_CYCLE_1)
	s_mov_b32 s0, exec_lo
	v_cmpx_gt_u64_e64 s[2:3], v[7:8]
	s_cbranch_execnz .LBB236_22
.LBB236_18:                             ;   in Loop: Header=BB236_9 Depth=1
	s_or_b32 exec_lo, exec_lo, s0
	s_delay_alu instid0(SALU_CYCLE_1)
	s_mov_b32 s0, exec_lo
	v_cmpx_gt_u64_e64 s[2:3], v[9:10]
	s_cbranch_execnz .LBB236_23
.LBB236_19:                             ;   in Loop: Header=BB236_9 Depth=1
	s_or_b32 exec_lo, exec_lo, s0
	s_delay_alu instid0(SALU_CYCLE_1)
	s_mov_b32 s0, exec_lo
	v_cmpx_gt_u64_e64 s[2:3], v[11:12]
	s_cbranch_execz .LBB236_8
	s_branch .LBB236_24
.LBB236_20:                             ;   in Loop: Header=BB236_9 Depth=1
	s_waitcnt vmcnt(0)
	v_add_co_u32 v30, vcc_lo, v15, s6
	v_add_co_ci_u32_e32 v31, vcc_lo, s7, v16, vcc_lo
	global_load_u8 v30, v[30:31], off
	s_or_b32 exec_lo, exec_lo, s0
	s_delay_alu instid0(SALU_CYCLE_1)
	s_mov_b32 s0, exec_lo
	v_cmpx_gt_u64_e64 s[2:3], v[5:6]
	s_cbranch_execz .LBB236_17
.LBB236_21:                             ;   in Loop: Header=BB236_9 Depth=1
	s_waitcnt vmcnt(0)
	v_and_b32_e32 v5, 0xff, v27
	s_delay_alu instid0(VALU_DEP_1) | instskip(NEXT) | instid1(VALU_DEP_1)
	v_and_b32_e32 v5, 0xffff, v5
	v_cvt_f64_u32_e32 v[5:6], v5
	global_store_b64 v[1:2], v[5:6], off
	s_or_b32 exec_lo, exec_lo, s0
	s_delay_alu instid0(SALU_CYCLE_1)
	s_mov_b32 s0, exec_lo
	v_cmpx_gt_u64_e64 s[2:3], v[7:8]
	s_cbranch_execz .LBB236_18
.LBB236_22:                             ;   in Loop: Header=BB236_9 Depth=1
	s_waitcnt vmcnt(0)
	v_and_b32_e32 v5, 0xff, v28
	s_delay_alu instid0(VALU_DEP_1) | instskip(NEXT) | instid1(VALU_DEP_1)
	v_and_b32_e32 v5, 0xffff, v5
	v_cvt_f64_u32_e32 v[5:6], v5
	global_store_b64 v[3:4], v[5:6], off
	s_or_b32 exec_lo, exec_lo, s0
	s_delay_alu instid0(SALU_CYCLE_1)
	s_mov_b32 s0, exec_lo
	v_cmpx_gt_u64_e64 s[2:3], v[9:10]
	s_cbranch_execz .LBB236_19
.LBB236_23:                             ;   in Loop: Header=BB236_9 Depth=1
	s_waitcnt vmcnt(0)
	v_and_b32_e32 v5, 0xff, v29
	v_add_co_u32 v7, vcc_lo, v1, s8
	v_add_co_ci_u32_e32 v8, vcc_lo, 0, v2, vcc_lo
	s_delay_alu instid0(VALU_DEP_3) | instskip(NEXT) | instid1(VALU_DEP_1)
	v_and_b32_e32 v5, 0xffff, v5
	v_cvt_f64_u32_e32 v[5:6], v5
	global_store_b64 v[7:8], v[5:6], off
	s_or_b32 exec_lo, exec_lo, s0
	s_delay_alu instid0(SALU_CYCLE_1)
	s_mov_b32 s0, exec_lo
	v_cmpx_gt_u64_e64 s[2:3], v[11:12]
	s_cbranch_execz .LBB236_8
.LBB236_24:                             ;   in Loop: Header=BB236_9 Depth=1
	s_waitcnt vmcnt(0)
	v_and_b32_e32 v5, 0xff, v30
	v_add_co_u32 v7, vcc_lo, v1, s9
	v_add_co_ci_u32_e32 v8, vcc_lo, 0, v2, vcc_lo
	s_delay_alu instid0(VALU_DEP_3) | instskip(NEXT) | instid1(VALU_DEP_1)
	v_and_b32_e32 v5, 0xffff, v5
	v_cvt_f64_u32_e32 v[5:6], v5
	global_store_b64 v[7:8], v[5:6], off
	s_branch .LBB236_8
.LBB236_25:
	s_nop 0
	s_sendmsg sendmsg(MSG_DEALLOC_VGPRS)
	s_endpgm
	.section	.rodata,"a",@progbits
	.p2align	6, 0x0
	.amdhsa_kernel _ZN2at6native12_GLOBAL__N_125multi_tensor_apply_kernelINS1_18TensorListMetadataILi2EEENS1_11CopyFunctorIdhLi2ELi1ELi1EEEJNS0_4CopyIdhEEEEEvT_T0_DpT1_
		.amdhsa_group_segment_fixed_size 0
		.amdhsa_private_segment_fixed_size 0
		.amdhsa_kernarg_size 3408
		.amdhsa_user_sgpr_count 15
		.amdhsa_user_sgpr_dispatch_ptr 0
		.amdhsa_user_sgpr_queue_ptr 0
		.amdhsa_user_sgpr_kernarg_segment_ptr 1
		.amdhsa_user_sgpr_dispatch_id 0
		.amdhsa_user_sgpr_private_segment_size 0
		.amdhsa_wavefront_size32 1
		.amdhsa_uses_dynamic_stack 0
		.amdhsa_enable_private_segment 0
		.amdhsa_system_sgpr_workgroup_id_x 1
		.amdhsa_system_sgpr_workgroup_id_y 0
		.amdhsa_system_sgpr_workgroup_id_z 0
		.amdhsa_system_sgpr_workgroup_info 0
		.amdhsa_system_vgpr_workitem_id 0
		.amdhsa_next_free_vgpr 32
		.amdhsa_next_free_sgpr 21
		.amdhsa_reserve_vcc 1
		.amdhsa_float_round_mode_32 0
		.amdhsa_float_round_mode_16_64 0
		.amdhsa_float_denorm_mode_32 3
		.amdhsa_float_denorm_mode_16_64 3
		.amdhsa_dx10_clamp 1
		.amdhsa_ieee_mode 1
		.amdhsa_fp16_overflow 0
		.amdhsa_workgroup_processor_mode 1
		.amdhsa_memory_ordered 1
		.amdhsa_forward_progress 0
		.amdhsa_shared_vgpr_count 0
		.amdhsa_exception_fp_ieee_invalid_op 0
		.amdhsa_exception_fp_denorm_src 0
		.amdhsa_exception_fp_ieee_div_zero 0
		.amdhsa_exception_fp_ieee_overflow 0
		.amdhsa_exception_fp_ieee_underflow 0
		.amdhsa_exception_fp_ieee_inexact 0
		.amdhsa_exception_int_div_zero 0
	.end_amdhsa_kernel
	.section	.text._ZN2at6native12_GLOBAL__N_125multi_tensor_apply_kernelINS1_18TensorListMetadataILi2EEENS1_11CopyFunctorIdhLi2ELi1ELi1EEEJNS0_4CopyIdhEEEEEvT_T0_DpT1_,"axG",@progbits,_ZN2at6native12_GLOBAL__N_125multi_tensor_apply_kernelINS1_18TensorListMetadataILi2EEENS1_11CopyFunctorIdhLi2ELi1ELi1EEEJNS0_4CopyIdhEEEEEvT_T0_DpT1_,comdat
.Lfunc_end236:
	.size	_ZN2at6native12_GLOBAL__N_125multi_tensor_apply_kernelINS1_18TensorListMetadataILi2EEENS1_11CopyFunctorIdhLi2ELi1ELi1EEEJNS0_4CopyIdhEEEEEvT_T0_DpT1_, .Lfunc_end236-_ZN2at6native12_GLOBAL__N_125multi_tensor_apply_kernelINS1_18TensorListMetadataILi2EEENS1_11CopyFunctorIdhLi2ELi1ELi1EEEJNS0_4CopyIdhEEEEEvT_T0_DpT1_
                                        ; -- End function
	.section	.AMDGPU.csdata,"",@progbits
; Kernel info:
; codeLenInByte = 1564
; NumSgprs: 23
; NumVgprs: 32
; ScratchSize: 0
; MemoryBound: 0
; FloatMode: 240
; IeeeMode: 1
; LDSByteSize: 0 bytes/workgroup (compile time only)
; SGPRBlocks: 2
; VGPRBlocks: 3
; NumSGPRsForWavesPerEU: 23
; NumVGPRsForWavesPerEU: 32
; Occupancy: 16
; WaveLimiterHint : 0
; COMPUTE_PGM_RSRC2:SCRATCH_EN: 0
; COMPUTE_PGM_RSRC2:USER_SGPR: 15
; COMPUTE_PGM_RSRC2:TRAP_HANDLER: 0
; COMPUTE_PGM_RSRC2:TGID_X_EN: 1
; COMPUTE_PGM_RSRC2:TGID_Y_EN: 0
; COMPUTE_PGM_RSRC2:TGID_Z_EN: 0
; COMPUTE_PGM_RSRC2:TIDIG_COMP_CNT: 0
	.section	.text._ZN2at6native12_GLOBAL__N_125multi_tensor_apply_kernelINS1_18TensorListMetadataILi2EEENS1_11CopyFunctorIdaLi2ELi1ELi1EEEJNS0_4CopyIdaEEEEEvT_T0_DpT1_,"axG",@progbits,_ZN2at6native12_GLOBAL__N_125multi_tensor_apply_kernelINS1_18TensorListMetadataILi2EEENS1_11CopyFunctorIdaLi2ELi1ELi1EEEJNS0_4CopyIdaEEEEEvT_T0_DpT1_,comdat
	.globl	_ZN2at6native12_GLOBAL__N_125multi_tensor_apply_kernelINS1_18TensorListMetadataILi2EEENS1_11CopyFunctorIdaLi2ELi1ELi1EEEJNS0_4CopyIdaEEEEEvT_T0_DpT1_ ; -- Begin function _ZN2at6native12_GLOBAL__N_125multi_tensor_apply_kernelINS1_18TensorListMetadataILi2EEENS1_11CopyFunctorIdaLi2ELi1ELi1EEEJNS0_4CopyIdaEEEEEvT_T0_DpT1_
	.p2align	8
	.type	_ZN2at6native12_GLOBAL__N_125multi_tensor_apply_kernelINS1_18TensorListMetadataILi2EEENS1_11CopyFunctorIdaLi2ELi1ELi1EEEJNS0_4CopyIdaEEEEEvT_T0_DpT1_,@function
_ZN2at6native12_GLOBAL__N_125multi_tensor_apply_kernelINS1_18TensorListMetadataILi2EEENS1_11CopyFunctorIdaLi2ELi1ELi1EEEJNS0_4CopyIdaEEEEEvT_T0_DpT1_: ; @_ZN2at6native12_GLOBAL__N_125multi_tensor_apply_kernelINS1_18TensorListMetadataILi2EEENS1_11CopyFunctorIdaLi2ELi1ELi1EEEJNS0_4CopyIdaEEEEEvT_T0_DpT1_
; %bb.0:
	v_mov_b32_e32 v1, s15
	s_add_u32 s2, s0, s15
	s_mul_hi_u32 s3, s15, 3
	s_mul_i32 s15, s15, 3
	s_addc_u32 s4, s1, 0
	global_load_u8 v1, v1, s[0:1] offset:1536
	s_add_u32 s2, s2, s15
	s_addc_u32 s3, s4, s3
	s_mov_b32 s15, 0
	s_load_b32 s10, s[2:3], 0x740
	s_mov_b32 s17, s15
	s_waitcnt lgkmcnt(0)
	s_ashr_i32 s11, s10, 31
	s_delay_alu instid0(SALU_CYCLE_1) | instskip(SKIP_2) | instid1(VALU_DEP_1)
	s_lshl_b64 s[8:9], s[10:11], 16
	s_waitcnt vmcnt(0)
	v_readfirstlane_b32 s5, v1
	s_lshl_b32 s2, s5, 3
	s_clause 0x2
	s_load_b64 s[6:7], s[0:1], s2 offset:0x0
	s_load_b64 s[12:13], s[0:1], s2 offset:0x200
	;; [unrolled: 1-line block ×3, first 2 shown]
	s_waitcnt lgkmcnt(0)
	s_add_u32 s3, s6, s8
	s_addc_u32 s18, s7, s9
	s_and_b32 s2, s12, 31
	s_and_b32 s16, s4, 3
	;; [unrolled: 1-line block ×3, first 2 shown]
	s_or_b32 s16, s16, s2
	s_mov_b32 s2, -1
	s_or_b64 s[14:15], s[14:15], s[16:17]
	s_sub_u32 s4, s4, s8
	s_subb_u32 s5, s5, s9
	s_cmp_eq_u64 s[14:15], 0
	s_cbranch_scc0 .LBB237_5
; %bb.1:
	v_dual_mov_b32 v2, 0 :: v_dual_lshlrev_b32 v1, 2, v0
	s_mov_b32 s19, exec_lo
	s_delay_alu instid0(VALU_DEP_1)
	v_cmpx_gt_i64_e64 s[4:5], v[1:2]
	s_cbranch_execz .LBB237_4
; %bb.2:
	s_load_b32 s2, s[0:1], 0xc5c
	v_lshlrev_b32_e32 v2, 5, v0
	s_lshl_b64 s[16:17], s[10:11], 19
	s_waitcnt lgkmcnt(0)
	s_and_b32 s2, s2, 0xffff
	s_delay_alu instid0(SALU_CYCLE_1) | instskip(SKIP_3) | instid1(VALU_DEP_1)
	s_lshl_b32 s14, s2, 2
	s_add_u32 s15, s12, s16
	s_addc_u32 s16, s13, s17
	v_add_co_u32 v2, s15, s15, v2
	v_add_co_ci_u32_e64 v3, null, s16, 0, s15
	s_mov_b32 s15, 0
	s_delay_alu instid0(VALU_DEP_2) | instskip(NEXT) | instid1(VALU_DEP_2)
	v_add_co_u32 v2, vcc_lo, v2, 16
	v_add_co_ci_u32_e32 v3, vcc_lo, 0, v3, vcc_lo
	s_lshl_b32 s20, s2, 5
	s_mov_b64 s[16:17], s[14:15]
.LBB237_3:                              ; =>This Inner Loop Header: Depth=1
	v_add_co_u32 v4, s2, s3, v1
	s_delay_alu instid0(VALU_DEP_1) | instskip(SKIP_1) | instid1(VALU_DEP_1)
	v_add_co_ci_u32_e64 v5, null, s18, 0, s2
	v_add_co_u32 v12, s2, v1, s16
	v_add_co_ci_u32_e64 v13, null, 0, s17, s2
	global_load_b32 v4, v[4:5], off
	v_cmp_le_i64_e32 vcc_lo, s[4:5], v[12:13]
	v_cmp_lt_u64_e64 s2, 0xffff, v[12:13]
	s_delay_alu instid0(VALU_DEP_1)
	s_or_b32 s2, vcc_lo, s2
	s_add_u32 s16, s16, s14
	s_addc_u32 s17, s17, 0
	s_add_u32 s3, s3, s14
	s_addc_u32 s18, s18, 0
	s_and_b32 s2, exec_lo, s2
	s_delay_alu instid0(SALU_CYCLE_1)
	s_or_b32 s15, s2, s15
	s_waitcnt vmcnt(0)
	v_lshrrev_b32_e32 v5, 8, v4
	v_lshrrev_b32_e32 v6, 16, v4
	;; [unrolled: 1-line block ×3, first 2 shown]
	v_bfe_i32 v4, v4, 0, 8
	s_delay_alu instid0(VALU_DEP_4) | instskip(NEXT) | instid1(VALU_DEP_4)
	v_bfe_i32 v5, v5, 0, 8
	v_bfe_i32 v6, v6, 0, 8
	s_delay_alu instid0(VALU_DEP_4) | instskip(NEXT) | instid1(VALU_DEP_4)
	v_bfe_i32 v7, v7, 0, 8
	v_bfe_i32 v4, v4, 0, 16
	s_delay_alu instid0(VALU_DEP_4) | instskip(NEXT) | instid1(VALU_DEP_4)
	v_bfe_i32 v8, v5, 0, 16
	v_bfe_i32 v9, v6, 0, 16
	s_delay_alu instid0(VALU_DEP_4) | instskip(NEXT) | instid1(VALU_DEP_4)
	v_bfe_i32 v10, v7, 0, 16
	v_cvt_f64_i32_e32 v[4:5], v4
	s_delay_alu instid0(VALU_DEP_4) | instskip(NEXT) | instid1(VALU_DEP_4)
	v_cvt_f64_i32_e32 v[6:7], v8
	v_cvt_f64_i32_e32 v[8:9], v9
	s_delay_alu instid0(VALU_DEP_4)
	v_cvt_f64_i32_e32 v[10:11], v10
	s_clause 0x1
	global_store_b128 v[2:3], v[4:7], off offset:-16
	global_store_b128 v[2:3], v[8:11], off
	v_add_co_u32 v2, vcc_lo, v2, s20
	v_add_co_ci_u32_e32 v3, vcc_lo, 0, v3, vcc_lo
	s_and_not1_b32 exec_lo, exec_lo, s15
	s_cbranch_execnz .LBB237_3
.LBB237_4:
	s_or_b32 exec_lo, exec_lo, s19
	s_mov_b32 s2, 0
.LBB237_5:
	s_delay_alu instid0(SALU_CYCLE_1)
	s_and_not1_b32 vcc_lo, exec_lo, s2
	s_cbranch_vccnz .LBB237_25
; %bb.6:
	v_cmp_lt_i64_e64 s2, s[4:5], 1
	s_delay_alu instid0(VALU_DEP_1)
	s_and_b32 vcc_lo, exec_lo, s2
	s_cbranch_vccnz .LBB237_25
; %bb.7:
	s_load_b32 s0, s[0:1], 0xc5c
	v_cmp_gt_u64_e64 s1, 0x10000, s[4:5]
	v_add_co_u32 v3, s2, s8, v0
	v_lshlrev_b32_e32 v1, 3, v0
	v_add_co_ci_u32_e64 v4, null, s9, 0, s2
	s_delay_alu instid0(VALU_DEP_3) | instskip(NEXT) | instid1(VALU_DEP_2)
	v_add_co_u32 v13, vcc_lo, s6, v3
                                        ; implicit-def: $vgpr27
                                        ; implicit-def: $vgpr28
                                        ; implicit-def: $vgpr29
                                        ; implicit-def: $vgpr30
	v_add_co_ci_u32_e32 v14, vcc_lo, s7, v4, vcc_lo
	s_waitcnt lgkmcnt(0)
	s_and_b32 s0, s0, 0xffff
	s_and_b32 s1, s1, exec_lo
	s_cselect_b32 s3, s5, 0
	s_cselect_b32 s2, s4, 0x10000
	s_lshl_b64 s[10:11], s[10:11], 19
	s_lshl_b32 s14, s0, 1
	s_lshl_b32 s1, s0, 2
	s_add_u32 s12, s12, s10
	s_mul_i32 s15, s0, 3
	s_addc_u32 s11, s13, s11
	s_lshl_b32 s10, s0, 5
	v_add_co_u32 v1, s16, s12, v1
	s_add_u32 s13, s8, s15
	v_add_co_ci_u32_e64 v2, null, s11, 0, s16
	s_addc_u32 s16, s9, 0
	s_add_u32 s13, s6, s13
	s_addc_u32 s16, s7, s16
	s_add_u32 s8, s8, s14
	;; [unrolled: 2-line block ×3, first 2 shown]
	s_addc_u32 s9, s7, s9
	v_add_co_u32 v19, s8, s8, v0
	s_delay_alu instid0(VALU_DEP_1) | instskip(SKIP_1) | instid1(VALU_DEP_1)
	v_add_co_ci_u32_e64 v20, null, s9, 0, s8
	v_add_co_u32 v21, s9, s14, v0
	v_add_co_ci_u32_e64 v22, null, 0, 0, s9
	v_add_co_u32 v23, s9, v0, s0
	s_lshl_b32 s8, s0, 4
	v_add_co_u32 v15, s13, s13, v0
	s_delay_alu instid0(VALU_DEP_2)
	v_lshlrev_b32_e32 v5, 3, v23
	s_add_u32 s6, s6, s0
	v_add_co_ci_u32_e64 v16, null, s16, 0, s13
	v_add_co_u32 v17, s13, s15, v0
	s_addc_u32 s7, s7, 0
	v_add_co_u32 v25, vcc_lo, s6, v3
	v_add_co_u32 v3, s6, s12, v5
	v_add_co_ci_u32_e64 v18, null, 0, 0, s13
	v_add_co_ci_u32_e64 v24, null, 0, 0, s9
	v_add_co_ci_u32_e32 v26, vcc_lo, s7, v4, vcc_lo
	v_add_co_ci_u32_e64 v4, null, s11, 0, s6
	s_mul_i32 s9, s0, 24
	s_mov_b64 s[6:7], 0
	s_branch .LBB237_9
.LBB237_8:                              ;   in Loop: Header=BB237_9 Depth=1
	s_or_b32 exec_lo, exec_lo, s0
	s_add_u32 s6, s6, s1
	s_addc_u32 s7, s7, 0
	v_add_co_u32 v1, vcc_lo, v1, s10
	v_cmp_ge_i64_e64 s0, s[6:7], s[4:5]
	v_cmp_lt_u64_e64 s11, 0xffff, s[6:7]
	v_add_co_ci_u32_e32 v2, vcc_lo, 0, v2, vcc_lo
	v_add_co_u32 v3, vcc_lo, v3, s10
	v_add_co_ci_u32_e32 v4, vcc_lo, 0, v4, vcc_lo
	s_delay_alu instid0(VALU_DEP_4) | instskip(NEXT) | instid1(SALU_CYCLE_1)
	s_or_b32 s0, s0, s11
	s_and_b32 vcc_lo, exec_lo, s0
	s_cbranch_vccnz .LBB237_25
.LBB237_9:                              ; =>This Inner Loop Header: Depth=1
	v_add_co_u32 v5, s0, v0, s6
	s_delay_alu instid0(VALU_DEP_1) | instskip(NEXT) | instid1(VALU_DEP_1)
	v_add_co_ci_u32_e64 v6, null, 0, s7, s0
	v_cmp_gt_i64_e32 vcc_lo, s[4:5], v[5:6]
	v_cmp_gt_u64_e64 s0, 0x10000, v[5:6]
	s_delay_alu instid0(VALU_DEP_1) | instskip(NEXT) | instid1(SALU_CYCLE_1)
	s_and_b32 s11, vcc_lo, s0
	s_and_saveexec_b32 s0, s11
	s_cbranch_execz .LBB237_11
; %bb.10:                               ;   in Loop: Header=BB237_9 Depth=1
	v_add_co_u32 v7, vcc_lo, v13, s6
	v_add_co_ci_u32_e32 v8, vcc_lo, s7, v14, vcc_lo
	global_load_u8 v27, v[7:8], off
.LBB237_11:                             ;   in Loop: Header=BB237_9 Depth=1
	s_or_b32 exec_lo, exec_lo, s0
	v_add_co_u32 v7, vcc_lo, v23, s6
	v_add_co_ci_u32_e32 v8, vcc_lo, s7, v24, vcc_lo
	s_delay_alu instid0(VALU_DEP_1) | instskip(SKIP_1) | instid1(VALU_DEP_1)
	v_cmp_gt_i64_e32 vcc_lo, s[4:5], v[7:8]
	v_cmp_gt_u64_e64 s0, 0x10000, v[7:8]
	s_and_b32 s11, vcc_lo, s0
	s_delay_alu instid0(SALU_CYCLE_1)
	s_and_saveexec_b32 s0, s11
	s_cbranch_execz .LBB237_13
; %bb.12:                               ;   in Loop: Header=BB237_9 Depth=1
	v_add_co_u32 v9, vcc_lo, v25, s6
	v_add_co_ci_u32_e32 v10, vcc_lo, s7, v26, vcc_lo
	global_load_u8 v28, v[9:10], off
.LBB237_13:                             ;   in Loop: Header=BB237_9 Depth=1
	s_or_b32 exec_lo, exec_lo, s0
	v_add_co_u32 v9, vcc_lo, v21, s6
	v_add_co_ci_u32_e32 v10, vcc_lo, s7, v22, vcc_lo
	s_delay_alu instid0(VALU_DEP_1) | instskip(SKIP_1) | instid1(VALU_DEP_1)
	v_cmp_gt_i64_e32 vcc_lo, s[4:5], v[9:10]
	v_cmp_gt_u64_e64 s0, 0x10000, v[9:10]
	s_and_b32 s11, vcc_lo, s0
	s_delay_alu instid0(SALU_CYCLE_1)
	;; [unrolled: 15-line block ×3, first 2 shown]
	s_and_saveexec_b32 s0, s11
	s_cbranch_execnz .LBB237_20
; %bb.16:                               ;   in Loop: Header=BB237_9 Depth=1
	s_or_b32 exec_lo, exec_lo, s0
	s_delay_alu instid0(SALU_CYCLE_1)
	s_mov_b32 s0, exec_lo
	v_cmpx_gt_u64_e64 s[2:3], v[5:6]
	s_cbranch_execnz .LBB237_21
.LBB237_17:                             ;   in Loop: Header=BB237_9 Depth=1
	s_or_b32 exec_lo, exec_lo, s0
	s_delay_alu instid0(SALU_CYCLE_1)
	s_mov_b32 s0, exec_lo
	v_cmpx_gt_u64_e64 s[2:3], v[7:8]
	s_cbranch_execnz .LBB237_22
.LBB237_18:                             ;   in Loop: Header=BB237_9 Depth=1
	s_or_b32 exec_lo, exec_lo, s0
	s_delay_alu instid0(SALU_CYCLE_1)
	s_mov_b32 s0, exec_lo
	v_cmpx_gt_u64_e64 s[2:3], v[9:10]
	s_cbranch_execnz .LBB237_23
.LBB237_19:                             ;   in Loop: Header=BB237_9 Depth=1
	s_or_b32 exec_lo, exec_lo, s0
	s_delay_alu instid0(SALU_CYCLE_1)
	s_mov_b32 s0, exec_lo
	v_cmpx_gt_u64_e64 s[2:3], v[11:12]
	s_cbranch_execz .LBB237_8
	s_branch .LBB237_24
.LBB237_20:                             ;   in Loop: Header=BB237_9 Depth=1
	s_waitcnt vmcnt(0)
	v_add_co_u32 v30, vcc_lo, v15, s6
	v_add_co_ci_u32_e32 v31, vcc_lo, s7, v16, vcc_lo
	global_load_u8 v30, v[30:31], off
	s_or_b32 exec_lo, exec_lo, s0
	s_delay_alu instid0(SALU_CYCLE_1)
	s_mov_b32 s0, exec_lo
	v_cmpx_gt_u64_e64 s[2:3], v[5:6]
	s_cbranch_execz .LBB237_17
.LBB237_21:                             ;   in Loop: Header=BB237_9 Depth=1
	s_waitcnt vmcnt(0)
	v_bfe_i32 v5, v27, 0, 8
	s_delay_alu instid0(VALU_DEP_1) | instskip(NEXT) | instid1(VALU_DEP_1)
	v_bfe_i32 v5, v5, 0, 16
	v_cvt_f64_i32_e32 v[5:6], v5
	global_store_b64 v[1:2], v[5:6], off
	s_or_b32 exec_lo, exec_lo, s0
	s_delay_alu instid0(SALU_CYCLE_1)
	s_mov_b32 s0, exec_lo
	v_cmpx_gt_u64_e64 s[2:3], v[7:8]
	s_cbranch_execz .LBB237_18
.LBB237_22:                             ;   in Loop: Header=BB237_9 Depth=1
	s_waitcnt vmcnt(0)
	v_bfe_i32 v5, v28, 0, 8
	s_delay_alu instid0(VALU_DEP_1) | instskip(NEXT) | instid1(VALU_DEP_1)
	v_bfe_i32 v5, v5, 0, 16
	v_cvt_f64_i32_e32 v[5:6], v5
	global_store_b64 v[3:4], v[5:6], off
	s_or_b32 exec_lo, exec_lo, s0
	s_delay_alu instid0(SALU_CYCLE_1)
	s_mov_b32 s0, exec_lo
	v_cmpx_gt_u64_e64 s[2:3], v[9:10]
	s_cbranch_execz .LBB237_19
.LBB237_23:                             ;   in Loop: Header=BB237_9 Depth=1
	s_waitcnt vmcnt(0)
	v_bfe_i32 v5, v29, 0, 8
	v_add_co_u32 v7, vcc_lo, v1, s8
	v_add_co_ci_u32_e32 v8, vcc_lo, 0, v2, vcc_lo
	s_delay_alu instid0(VALU_DEP_3) | instskip(NEXT) | instid1(VALU_DEP_1)
	v_bfe_i32 v5, v5, 0, 16
	v_cvt_f64_i32_e32 v[5:6], v5
	global_store_b64 v[7:8], v[5:6], off
	s_or_b32 exec_lo, exec_lo, s0
	s_delay_alu instid0(SALU_CYCLE_1)
	s_mov_b32 s0, exec_lo
	v_cmpx_gt_u64_e64 s[2:3], v[11:12]
	s_cbranch_execz .LBB237_8
.LBB237_24:                             ;   in Loop: Header=BB237_9 Depth=1
	s_waitcnt vmcnt(0)
	v_bfe_i32 v5, v30, 0, 8
	v_add_co_u32 v7, vcc_lo, v1, s9
	v_add_co_ci_u32_e32 v8, vcc_lo, 0, v2, vcc_lo
	s_delay_alu instid0(VALU_DEP_3) | instskip(NEXT) | instid1(VALU_DEP_1)
	v_bfe_i32 v5, v5, 0, 16
	v_cvt_f64_i32_e32 v[5:6], v5
	global_store_b64 v[7:8], v[5:6], off
	s_branch .LBB237_8
.LBB237_25:
	s_nop 0
	s_sendmsg sendmsg(MSG_DEALLOC_VGPRS)
	s_endpgm
	.section	.rodata,"a",@progbits
	.p2align	6, 0x0
	.amdhsa_kernel _ZN2at6native12_GLOBAL__N_125multi_tensor_apply_kernelINS1_18TensorListMetadataILi2EEENS1_11CopyFunctorIdaLi2ELi1ELi1EEEJNS0_4CopyIdaEEEEEvT_T0_DpT1_
		.amdhsa_group_segment_fixed_size 0
		.amdhsa_private_segment_fixed_size 0
		.amdhsa_kernarg_size 3408
		.amdhsa_user_sgpr_count 15
		.amdhsa_user_sgpr_dispatch_ptr 0
		.amdhsa_user_sgpr_queue_ptr 0
		.amdhsa_user_sgpr_kernarg_segment_ptr 1
		.amdhsa_user_sgpr_dispatch_id 0
		.amdhsa_user_sgpr_private_segment_size 0
		.amdhsa_wavefront_size32 1
		.amdhsa_uses_dynamic_stack 0
		.amdhsa_enable_private_segment 0
		.amdhsa_system_sgpr_workgroup_id_x 1
		.amdhsa_system_sgpr_workgroup_id_y 0
		.amdhsa_system_sgpr_workgroup_id_z 0
		.amdhsa_system_sgpr_workgroup_info 0
		.amdhsa_system_vgpr_workitem_id 0
		.amdhsa_next_free_vgpr 32
		.amdhsa_next_free_sgpr 21
		.amdhsa_reserve_vcc 1
		.amdhsa_float_round_mode_32 0
		.amdhsa_float_round_mode_16_64 0
		.amdhsa_float_denorm_mode_32 3
		.amdhsa_float_denorm_mode_16_64 3
		.amdhsa_dx10_clamp 1
		.amdhsa_ieee_mode 1
		.amdhsa_fp16_overflow 0
		.amdhsa_workgroup_processor_mode 1
		.amdhsa_memory_ordered 1
		.amdhsa_forward_progress 0
		.amdhsa_shared_vgpr_count 0
		.amdhsa_exception_fp_ieee_invalid_op 0
		.amdhsa_exception_fp_denorm_src 0
		.amdhsa_exception_fp_ieee_div_zero 0
		.amdhsa_exception_fp_ieee_overflow 0
		.amdhsa_exception_fp_ieee_underflow 0
		.amdhsa_exception_fp_ieee_inexact 0
		.amdhsa_exception_int_div_zero 0
	.end_amdhsa_kernel
	.section	.text._ZN2at6native12_GLOBAL__N_125multi_tensor_apply_kernelINS1_18TensorListMetadataILi2EEENS1_11CopyFunctorIdaLi2ELi1ELi1EEEJNS0_4CopyIdaEEEEEvT_T0_DpT1_,"axG",@progbits,_ZN2at6native12_GLOBAL__N_125multi_tensor_apply_kernelINS1_18TensorListMetadataILi2EEENS1_11CopyFunctorIdaLi2ELi1ELi1EEEJNS0_4CopyIdaEEEEEvT_T0_DpT1_,comdat
.Lfunc_end237:
	.size	_ZN2at6native12_GLOBAL__N_125multi_tensor_apply_kernelINS1_18TensorListMetadataILi2EEENS1_11CopyFunctorIdaLi2ELi1ELi1EEEJNS0_4CopyIdaEEEEEvT_T0_DpT1_, .Lfunc_end237-_ZN2at6native12_GLOBAL__N_125multi_tensor_apply_kernelINS1_18TensorListMetadataILi2EEENS1_11CopyFunctorIdaLi2ELi1ELi1EEEJNS0_4CopyIdaEEEEEvT_T0_DpT1_
                                        ; -- End function
	.section	.AMDGPU.csdata,"",@progbits
; Kernel info:
; codeLenInByte = 1620
; NumSgprs: 23
; NumVgprs: 32
; ScratchSize: 0
; MemoryBound: 0
; FloatMode: 240
; IeeeMode: 1
; LDSByteSize: 0 bytes/workgroup (compile time only)
; SGPRBlocks: 2
; VGPRBlocks: 3
; NumSGPRsForWavesPerEU: 23
; NumVGPRsForWavesPerEU: 32
; Occupancy: 16
; WaveLimiterHint : 0
; COMPUTE_PGM_RSRC2:SCRATCH_EN: 0
; COMPUTE_PGM_RSRC2:USER_SGPR: 15
; COMPUTE_PGM_RSRC2:TRAP_HANDLER: 0
; COMPUTE_PGM_RSRC2:TGID_X_EN: 1
; COMPUTE_PGM_RSRC2:TGID_Y_EN: 0
; COMPUTE_PGM_RSRC2:TGID_Z_EN: 0
; COMPUTE_PGM_RSRC2:TIDIG_COMP_CNT: 0
	.section	.text._ZN2at6native12_GLOBAL__N_125multi_tensor_apply_kernelINS1_18TensorListMetadataILi2EEENS1_11CopyFunctorIdlLi2ELi1ELi1EEEJNS0_4CopyIdlEEEEEvT_T0_DpT1_,"axG",@progbits,_ZN2at6native12_GLOBAL__N_125multi_tensor_apply_kernelINS1_18TensorListMetadataILi2EEENS1_11CopyFunctorIdlLi2ELi1ELi1EEEJNS0_4CopyIdlEEEEEvT_T0_DpT1_,comdat
	.globl	_ZN2at6native12_GLOBAL__N_125multi_tensor_apply_kernelINS1_18TensorListMetadataILi2EEENS1_11CopyFunctorIdlLi2ELi1ELi1EEEJNS0_4CopyIdlEEEEEvT_T0_DpT1_ ; -- Begin function _ZN2at6native12_GLOBAL__N_125multi_tensor_apply_kernelINS1_18TensorListMetadataILi2EEENS1_11CopyFunctorIdlLi2ELi1ELi1EEEJNS0_4CopyIdlEEEEEvT_T0_DpT1_
	.p2align	8
	.type	_ZN2at6native12_GLOBAL__N_125multi_tensor_apply_kernelINS1_18TensorListMetadataILi2EEENS1_11CopyFunctorIdlLi2ELi1ELi1EEEJNS0_4CopyIdlEEEEEvT_T0_DpT1_,@function
_ZN2at6native12_GLOBAL__N_125multi_tensor_apply_kernelINS1_18TensorListMetadataILi2EEENS1_11CopyFunctorIdlLi2ELi1ELi1EEEJNS0_4CopyIdlEEEEEvT_T0_DpT1_: ; @_ZN2at6native12_GLOBAL__N_125multi_tensor_apply_kernelINS1_18TensorListMetadataILi2EEENS1_11CopyFunctorIdlLi2ELi1ELi1EEEJNS0_4CopyIdlEEEEEvT_T0_DpT1_
; %bb.0:
	v_mov_b32_e32 v1, s15
	s_add_u32 s2, s0, s15
	s_mul_hi_u32 s3, s15, 3
	s_mul_i32 s15, s15, 3
	s_addc_u32 s4, s1, 0
	global_load_u8 v1, v1, s[0:1] offset:1536
	s_add_u32 s2, s2, s15
	s_addc_u32 s3, s4, s3
	s_mov_b32 s17, 0
	s_load_b32 s2, s[2:3], 0x740
	s_mov_b32 s19, s17
	s_mov_b32 s21, s17
	s_waitcnt vmcnt(0)
	v_readfirstlane_b32 s5, v1
	s_delay_alu instid0(VALU_DEP_1)
	s_lshl_b32 s3, s5, 3
	s_clause 0x2
	s_load_b64 s[10:11], s[0:1], s3 offset:0x0
	s_load_b64 s[12:13], s[0:1], s3 offset:0x200
	;; [unrolled: 1-line block ×3, first 2 shown]
	s_waitcnt lgkmcnt(0)
	s_ashr_i32 s3, s2, 31
	s_delay_alu instid0(SALU_CYCLE_1)
	s_lshl_b64 s[4:5], s[2:3], 19
	s_lshl_b64 s[2:3], s[2:3], 16
	s_add_u32 s8, s10, s4
	s_addc_u32 s9, s11, s5
	s_add_u32 s14, s12, s4
	s_addc_u32 s15, s13, s5
	s_and_b32 s20, s6, 3
	s_and_b32 s18, s14, 31
	;; [unrolled: 1-line block ×3, first 2 shown]
	s_or_b64 s[18:19], s[18:19], s[20:21]
	s_delay_alu instid0(SALU_CYCLE_1)
	s_or_b64 s[16:17], s[16:17], s[18:19]
	s_sub_u32 s6, s6, s2
	s_subb_u32 s7, s7, s3
	s_cmp_eq_u64 s[16:17], 0
	s_mov_b32 s2, -1
	s_cbranch_scc0 .LBB238_5
; %bb.1:
	v_dual_mov_b32 v2, 0 :: v_dual_lshlrev_b32 v1, 2, v0
	s_mov_b32 s16, exec_lo
	s_delay_alu instid0(VALU_DEP_1)
	v_cmpx_gt_i64_e64 s[6:7], v[1:2]
	s_cbranch_execz .LBB238_4
; %bb.2:
	s_load_b32 s2, s[0:1], 0xc5c
	v_lshlrev_b32_e32 v3, 5, v0
	s_mov_b32 s17, 0
	s_waitcnt lgkmcnt(0)
	s_and_b32 s2, s2, 0xffff
	s_delay_alu instid0(SALU_CYCLE_1)
	v_add_lshl_u32 v1, v0, s2, 2
	s_lshl_b32 s18, s2, 2
	s_lshl_b32 s19, s2, 5
.LBB238_3:                              ; =>This Inner Loop Header: Depth=1
	v_add_co_u32 v8, s2, s8, v3
	s_delay_alu instid0(VALU_DEP_1)
	v_add_co_ci_u32_e64 v9, null, s9, 0, s2
	v_cmp_le_i64_e32 vcc_lo, s[6:7], v[1:2]
	v_cmp_lt_u64_e64 s2, 0xffff, v[1:2]
	s_clause 0x1
	global_load_b128 v[4:7], v[8:9], off
	global_load_b128 v[8:11], v[8:9], off offset:16
	s_or_b32 s2, vcc_lo, s2
	s_add_u32 s8, s8, s19
	s_addc_u32 s9, s9, 0
	s_waitcnt vmcnt(1)
	v_cvt_f64_i32_e32 v[12:13], v5
	v_cvt_f64_i32_e32 v[14:15], v7
	s_waitcnt vmcnt(0)
	v_cvt_f64_i32_e32 v[16:17], v9
	v_cvt_f64_i32_e32 v[18:19], v11
	v_cvt_f64_u32_e32 v[4:5], v4
	v_cvt_f64_u32_e32 v[6:7], v6
	;; [unrolled: 1-line block ×4, first 2 shown]
	v_ldexp_f64 v[12:13], v[12:13], 32
	v_ldexp_f64 v[14:15], v[14:15], 32
	;; [unrolled: 1-line block ×4, first 2 shown]
	s_delay_alu instid0(VALU_DEP_4) | instskip(NEXT) | instid1(VALU_DEP_4)
	v_add_f64 v[4:5], v[12:13], v[4:5]
	v_add_f64 v[6:7], v[14:15], v[6:7]
	s_delay_alu instid0(VALU_DEP_4) | instskip(NEXT) | instid1(VALU_DEP_4)
	v_add_f64 v[8:9], v[16:17], v[8:9]
	v_add_f64 v[10:11], v[18:19], v[10:11]
	v_add_co_u32 v12, s3, s14, v3
	s_delay_alu instid0(VALU_DEP_1)
	v_add_co_ci_u32_e64 v13, null, s15, 0, s3
	v_add_co_u32 v1, s3, v1, s18
	s_add_u32 s14, s14, s19
	v_add_co_ci_u32_e64 v2, s3, 0, v2, s3
	s_addc_u32 s15, s15, 0
	s_and_b32 s2, exec_lo, s2
	s_clause 0x1
	global_store_b128 v[12:13], v[4:7], off
	global_store_b128 v[12:13], v[8:11], off offset:16
	s_or_b32 s17, s2, s17
	s_delay_alu instid0(SALU_CYCLE_1)
	s_and_not1_b32 exec_lo, exec_lo, s17
	s_cbranch_execnz .LBB238_3
.LBB238_4:
	s_or_b32 exec_lo, exec_lo, s16
	s_mov_b32 s2, 0
.LBB238_5:
	s_delay_alu instid0(SALU_CYCLE_1)
	s_and_not1_b32 vcc_lo, exec_lo, s2
	s_cbranch_vccnz .LBB238_25
; %bb.6:
	v_cmp_lt_i64_e64 s2, s[6:7], 1
	s_delay_alu instid0(VALU_DEP_1)
	s_and_b32 vcc_lo, exec_lo, s2
	s_cbranch_vccnz .LBB238_25
; %bb.7:
	s_load_b32 s0, s[0:1], 0xc5c
	v_dual_mov_b32 v1, 0 :: v_dual_lshlrev_b32 v2, 3, v0
	v_cmp_gt_u64_e64 s2, 0x10000, s[6:7]
	s_mov_b32 s3, 0
                                        ; implicit-def: $vgpr6_vgpr7
                                        ; implicit-def: $vgpr8_vgpr9
	s_delay_alu instid0(VALU_DEP_2) | instskip(NEXT) | instid1(VALU_DEP_3)
	v_mov_b32_e32 v3, v1
	v_add_co_u32 v16, s1, s10, v2
	s_delay_alu instid0(VALU_DEP_1) | instskip(SKIP_1) | instid1(VALU_DEP_1)
	v_add_co_ci_u32_e64 v17, null, s11, 0, s1
	v_add_co_u32 v18, s1, s12, v2
	v_add_co_ci_u32_e64 v19, null, s13, 0, s1
	s_waitcnt lgkmcnt(0)
	s_and_b32 s1, s0, 0xffff
	s_and_b32 s0, s2, exec_lo
	v_mad_u64_u32 v[4:5], null, s1, 24, v[2:3]
	s_cselect_b32 s9, s7, 0
	s_cselect_b32 s8, s6, 0x10000
	s_lshl_b32 s0, s1, 4
	s_lshl_b32 s2, s1, 2
	v_add_co_u32 v2, s0, s0, v2
	s_delay_alu instid0(VALU_DEP_2) | instskip(NEXT) | instid1(VALU_DEP_3)
	v_add_co_u32 v20, vcc_lo, s10, v4
	v_add_co_ci_u32_e32 v21, vcc_lo, s11, v5, vcc_lo
	v_add_co_u32 v22, vcc_lo, s12, v4
	v_add_lshl_u32 v4, v0, s1, 3
	v_add_co_ci_u32_e64 v3, null, 0, 0, s0
	v_add_co_ci_u32_e32 v23, vcc_lo, s13, v5, vcc_lo
	v_add_co_u32 v24, vcc_lo, s10, v2
	s_delay_alu instid0(VALU_DEP_4) | instskip(NEXT) | instid1(VALU_DEP_4)
	v_add_co_u32 v28, s0, s10, v4
	v_add_co_ci_u32_e32 v25, vcc_lo, s11, v3, vcc_lo
	v_add_co_u32 v26, vcc_lo, s12, v2
	v_add_co_ci_u32_e64 v29, null, s11, 0, s0
	v_add_co_u32 v30, s0, s12, v4
	v_add_co_ci_u32_e32 v27, vcc_lo, s13, v3, vcc_lo
	v_add_co_ci_u32_e64 v31, null, s13, 0, s0
	s_lshl_b32 s14, s1, 1
	s_mul_i32 s15, s1, 3
	s_lshl_b32 s12, s1, 5
	s_mov_b64 s[10:11], s[2:3]
                                        ; implicit-def: $vgpr2_vgpr3
                                        ; implicit-def: $vgpr4_vgpr5
	s_branch .LBB238_9
.LBB238_8:                              ;   in Loop: Header=BB238_9 Depth=1
	s_or_b32 exec_lo, exec_lo, s0
	v_add_co_u32 v16, vcc_lo, v16, s12
	v_add_co_ci_u32_e32 v17, vcc_lo, 0, v17, vcc_lo
	v_add_co_u32 v18, vcc_lo, v18, s12
	v_add_co_ci_u32_e32 v19, vcc_lo, 0, v19, vcc_lo
	;; [unrolled: 2-line block ×7, first 2 shown]
	v_cmp_ge_i64_e64 s0, s[10:11], s[6:7]
	v_cmp_lt_u64_e64 s3, 0xffff, s[10:11]
	v_add_co_u32 v28, vcc_lo, v28, s12
	v_add_co_ci_u32_e32 v29, vcc_lo, 0, v29, vcc_lo
	v_add_co_u32 v30, vcc_lo, v30, s12
	v_add_co_ci_u32_e32 v31, vcc_lo, 0, v31, vcc_lo
	s_or_b32 s0, s0, s3
	s_add_u32 s10, s10, s2
	s_addc_u32 s11, s11, 0
	s_and_b32 vcc_lo, exec_lo, s0
	s_cbranch_vccnz .LBB238_25
.LBB238_9:                              ; =>This Inner Loop Header: Depth=1
	v_cmp_gt_i64_e32 vcc_lo, s[6:7], v[0:1]
	v_cmp_gt_u64_e64 s0, 0x10000, v[0:1]
	s_delay_alu instid0(VALU_DEP_1) | instskip(NEXT) | instid1(SALU_CYCLE_1)
	s_and_b32 s3, vcc_lo, s0
	s_and_saveexec_b32 s0, s3
	s_cbranch_execz .LBB238_11
; %bb.10:                               ;   in Loop: Header=BB238_9 Depth=1
	s_waitcnt vmcnt(0)
	v_add_co_u32 v8, vcc_lo, v16, s4
	v_add_co_ci_u32_e32 v9, vcc_lo, s5, v17, vcc_lo
	global_load_b64 v[8:9], v[8:9], off
.LBB238_11:                             ;   in Loop: Header=BB238_9 Depth=1
	s_or_b32 exec_lo, exec_lo, s0
	v_add_co_u32 v10, vcc_lo, s1, v0
	v_add_co_ci_u32_e32 v11, vcc_lo, 0, v1, vcc_lo
	s_delay_alu instid0(VALU_DEP_1) | instskip(SKIP_1) | instid1(VALU_DEP_1)
	v_cmp_gt_i64_e32 vcc_lo, s[6:7], v[10:11]
	v_cmp_gt_u64_e64 s0, 0x10000, v[10:11]
	s_and_b32 s3, vcc_lo, s0
	s_delay_alu instid0(SALU_CYCLE_1)
	s_and_saveexec_b32 s0, s3
	s_cbranch_execz .LBB238_13
; %bb.12:                               ;   in Loop: Header=BB238_9 Depth=1
	s_waitcnt vmcnt(0)
	v_add_co_u32 v6, vcc_lo, v28, s4
	v_add_co_ci_u32_e32 v7, vcc_lo, s5, v29, vcc_lo
	global_load_b64 v[6:7], v[6:7], off
.LBB238_13:                             ;   in Loop: Header=BB238_9 Depth=1
	s_or_b32 exec_lo, exec_lo, s0
	v_add_co_u32 v12, vcc_lo, s14, v0
	v_add_co_ci_u32_e32 v13, vcc_lo, 0, v1, vcc_lo
	s_delay_alu instid0(VALU_DEP_1) | instskip(SKIP_1) | instid1(VALU_DEP_1)
	v_cmp_gt_i64_e32 vcc_lo, s[6:7], v[12:13]
	v_cmp_gt_u64_e64 s0, 0x10000, v[12:13]
	s_and_b32 s3, vcc_lo, s0
	s_delay_alu instid0(SALU_CYCLE_1)
	;; [unrolled: 16-line block ×3, first 2 shown]
	s_and_saveexec_b32 s0, s3
	s_cbranch_execnz .LBB238_20
; %bb.16:                               ;   in Loop: Header=BB238_9 Depth=1
	s_or_b32 exec_lo, exec_lo, s0
	s_delay_alu instid0(SALU_CYCLE_1)
	s_mov_b32 s0, exec_lo
	v_cmpx_gt_u64_e64 s[8:9], v[0:1]
	s_cbranch_execnz .LBB238_21
.LBB238_17:                             ;   in Loop: Header=BB238_9 Depth=1
	s_or_b32 exec_lo, exec_lo, s0
	s_delay_alu instid0(SALU_CYCLE_1)
	s_mov_b32 s0, exec_lo
	v_cmpx_gt_u64_e64 s[8:9], v[10:11]
	s_cbranch_execnz .LBB238_22
.LBB238_18:                             ;   in Loop: Header=BB238_9 Depth=1
	s_or_b32 exec_lo, exec_lo, s0
	s_delay_alu instid0(SALU_CYCLE_1)
	s_mov_b32 s0, exec_lo
	v_cmpx_gt_u64_e64 s[8:9], v[12:13]
	s_cbranch_execnz .LBB238_23
.LBB238_19:                             ;   in Loop: Header=BB238_9 Depth=1
	s_or_b32 exec_lo, exec_lo, s0
	s_delay_alu instid0(SALU_CYCLE_1)
	s_mov_b32 s0, exec_lo
	v_cmpx_gt_u64_e64 s[8:9], v[14:15]
	s_cbranch_execz .LBB238_8
	s_branch .LBB238_24
.LBB238_20:                             ;   in Loop: Header=BB238_9 Depth=1
	s_waitcnt vmcnt(0)
	v_add_co_u32 v2, vcc_lo, v20, s4
	v_add_co_ci_u32_e32 v3, vcc_lo, s5, v21, vcc_lo
	global_load_b64 v[2:3], v[2:3], off
	s_or_b32 exec_lo, exec_lo, s0
	s_delay_alu instid0(SALU_CYCLE_1)
	s_mov_b32 s0, exec_lo
	v_cmpx_gt_u64_e64 s[8:9], v[0:1]
	s_cbranch_execz .LBB238_17
.LBB238_21:                             ;   in Loop: Header=BB238_9 Depth=1
	s_waitcnt vmcnt(0)
	v_cvt_f64_i32_e32 v[32:33], v9
	v_cvt_f64_u32_e32 v[34:35], v8
	s_delay_alu instid0(VALU_DEP_2) | instskip(NEXT) | instid1(VALU_DEP_1)
	v_ldexp_f64 v[32:33], v[32:33], 32
	v_add_f64 v[32:33], v[32:33], v[34:35]
	v_add_co_u32 v34, vcc_lo, v18, s4
	v_add_co_ci_u32_e32 v35, vcc_lo, s5, v19, vcc_lo
	global_store_b64 v[34:35], v[32:33], off
	s_or_b32 exec_lo, exec_lo, s0
	s_delay_alu instid0(SALU_CYCLE_1)
	s_mov_b32 s0, exec_lo
	v_cmpx_gt_u64_e64 s[8:9], v[10:11]
	s_cbranch_execz .LBB238_18
.LBB238_22:                             ;   in Loop: Header=BB238_9 Depth=1
	s_waitcnt vmcnt(0)
	v_cvt_f64_i32_e32 v[10:11], v7
	v_cvt_f64_u32_e32 v[32:33], v6
	s_delay_alu instid0(VALU_DEP_2) | instskip(NEXT) | instid1(VALU_DEP_1)
	v_ldexp_f64 v[10:11], v[10:11], 32
	v_add_f64 v[10:11], v[10:11], v[32:33]
	v_add_co_u32 v32, vcc_lo, v30, s4
	v_add_co_ci_u32_e32 v33, vcc_lo, s5, v31, vcc_lo
	global_store_b64 v[32:33], v[10:11], off
	s_or_b32 exec_lo, exec_lo, s0
	s_delay_alu instid0(SALU_CYCLE_1)
	s_mov_b32 s0, exec_lo
	v_cmpx_gt_u64_e64 s[8:9], v[12:13]
	s_cbranch_execz .LBB238_19
.LBB238_23:                             ;   in Loop: Header=BB238_9 Depth=1
	s_waitcnt vmcnt(0)
	v_cvt_f64_i32_e32 v[10:11], v5
	v_cvt_f64_u32_e32 v[12:13], v4
	s_delay_alu instid0(VALU_DEP_2) | instskip(NEXT) | instid1(VALU_DEP_1)
	v_ldexp_f64 v[10:11], v[10:11], 32
	v_add_f64 v[10:11], v[10:11], v[12:13]
	v_add_co_u32 v12, vcc_lo, v26, s4
	v_add_co_ci_u32_e32 v13, vcc_lo, s5, v27, vcc_lo
	global_store_b64 v[12:13], v[10:11], off
	s_or_b32 exec_lo, exec_lo, s0
	s_delay_alu instid0(SALU_CYCLE_1)
	s_mov_b32 s0, exec_lo
	v_cmpx_gt_u64_e64 s[8:9], v[14:15]
	s_cbranch_execz .LBB238_8
.LBB238_24:                             ;   in Loop: Header=BB238_9 Depth=1
	s_waitcnt vmcnt(0)
	v_cvt_f64_i32_e32 v[10:11], v3
	v_cvt_f64_u32_e32 v[12:13], v2
	s_delay_alu instid0(VALU_DEP_2) | instskip(NEXT) | instid1(VALU_DEP_1)
	v_ldexp_f64 v[10:11], v[10:11], 32
	v_add_f64 v[10:11], v[10:11], v[12:13]
	v_add_co_u32 v12, vcc_lo, v22, s4
	v_add_co_ci_u32_e32 v13, vcc_lo, s5, v23, vcc_lo
	global_store_b64 v[12:13], v[10:11], off
	s_branch .LBB238_8
.LBB238_25:
	s_nop 0
	s_sendmsg sendmsg(MSG_DEALLOC_VGPRS)
	s_endpgm
	.section	.rodata,"a",@progbits
	.p2align	6, 0x0
	.amdhsa_kernel _ZN2at6native12_GLOBAL__N_125multi_tensor_apply_kernelINS1_18TensorListMetadataILi2EEENS1_11CopyFunctorIdlLi2ELi1ELi1EEEJNS0_4CopyIdlEEEEEvT_T0_DpT1_
		.amdhsa_group_segment_fixed_size 0
		.amdhsa_private_segment_fixed_size 0
		.amdhsa_kernarg_size 3408
		.amdhsa_user_sgpr_count 15
		.amdhsa_user_sgpr_dispatch_ptr 0
		.amdhsa_user_sgpr_queue_ptr 0
		.amdhsa_user_sgpr_kernarg_segment_ptr 1
		.amdhsa_user_sgpr_dispatch_id 0
		.amdhsa_user_sgpr_private_segment_size 0
		.amdhsa_wavefront_size32 1
		.amdhsa_uses_dynamic_stack 0
		.amdhsa_enable_private_segment 0
		.amdhsa_system_sgpr_workgroup_id_x 1
		.amdhsa_system_sgpr_workgroup_id_y 0
		.amdhsa_system_sgpr_workgroup_id_z 0
		.amdhsa_system_sgpr_workgroup_info 0
		.amdhsa_system_vgpr_workitem_id 0
		.amdhsa_next_free_vgpr 36
		.amdhsa_next_free_sgpr 22
		.amdhsa_reserve_vcc 1
		.amdhsa_float_round_mode_32 0
		.amdhsa_float_round_mode_16_64 0
		.amdhsa_float_denorm_mode_32 3
		.amdhsa_float_denorm_mode_16_64 3
		.amdhsa_dx10_clamp 1
		.amdhsa_ieee_mode 1
		.amdhsa_fp16_overflow 0
		.amdhsa_workgroup_processor_mode 1
		.amdhsa_memory_ordered 1
		.amdhsa_forward_progress 0
		.amdhsa_shared_vgpr_count 0
		.amdhsa_exception_fp_ieee_invalid_op 0
		.amdhsa_exception_fp_denorm_src 0
		.amdhsa_exception_fp_ieee_div_zero 0
		.amdhsa_exception_fp_ieee_overflow 0
		.amdhsa_exception_fp_ieee_underflow 0
		.amdhsa_exception_fp_ieee_inexact 0
		.amdhsa_exception_int_div_zero 0
	.end_amdhsa_kernel
	.section	.text._ZN2at6native12_GLOBAL__N_125multi_tensor_apply_kernelINS1_18TensorListMetadataILi2EEENS1_11CopyFunctorIdlLi2ELi1ELi1EEEJNS0_4CopyIdlEEEEEvT_T0_DpT1_,"axG",@progbits,_ZN2at6native12_GLOBAL__N_125multi_tensor_apply_kernelINS1_18TensorListMetadataILi2EEENS1_11CopyFunctorIdlLi2ELi1ELi1EEEJNS0_4CopyIdlEEEEEvT_T0_DpT1_,comdat
.Lfunc_end238:
	.size	_ZN2at6native12_GLOBAL__N_125multi_tensor_apply_kernelINS1_18TensorListMetadataILi2EEENS1_11CopyFunctorIdlLi2ELi1ELi1EEEJNS0_4CopyIdlEEEEEvT_T0_DpT1_, .Lfunc_end238-_ZN2at6native12_GLOBAL__N_125multi_tensor_apply_kernelINS1_18TensorListMetadataILi2EEENS1_11CopyFunctorIdlLi2ELi1ELi1EEEJNS0_4CopyIdlEEEEEvT_T0_DpT1_
                                        ; -- End function
	.section	.AMDGPU.csdata,"",@progbits
; Kernel info:
; codeLenInByte = 1668
; NumSgprs: 24
; NumVgprs: 36
; ScratchSize: 0
; MemoryBound: 0
; FloatMode: 240
; IeeeMode: 1
; LDSByteSize: 0 bytes/workgroup (compile time only)
; SGPRBlocks: 2
; VGPRBlocks: 4
; NumSGPRsForWavesPerEU: 24
; NumVGPRsForWavesPerEU: 36
; Occupancy: 16
; WaveLimiterHint : 0
; COMPUTE_PGM_RSRC2:SCRATCH_EN: 0
; COMPUTE_PGM_RSRC2:USER_SGPR: 15
; COMPUTE_PGM_RSRC2:TRAP_HANDLER: 0
; COMPUTE_PGM_RSRC2:TGID_X_EN: 1
; COMPUTE_PGM_RSRC2:TGID_Y_EN: 0
; COMPUTE_PGM_RSRC2:TGID_Z_EN: 0
; COMPUTE_PGM_RSRC2:TIDIG_COMP_CNT: 0
	.section	.text._ZN2at6native12_GLOBAL__N_125multi_tensor_apply_kernelINS1_18TensorListMetadataILi2EEENS1_11CopyFunctorIdsLi2ELi1ELi1EEEJNS0_4CopyIdsEEEEEvT_T0_DpT1_,"axG",@progbits,_ZN2at6native12_GLOBAL__N_125multi_tensor_apply_kernelINS1_18TensorListMetadataILi2EEENS1_11CopyFunctorIdsLi2ELi1ELi1EEEJNS0_4CopyIdsEEEEEvT_T0_DpT1_,comdat
	.globl	_ZN2at6native12_GLOBAL__N_125multi_tensor_apply_kernelINS1_18TensorListMetadataILi2EEENS1_11CopyFunctorIdsLi2ELi1ELi1EEEJNS0_4CopyIdsEEEEEvT_T0_DpT1_ ; -- Begin function _ZN2at6native12_GLOBAL__N_125multi_tensor_apply_kernelINS1_18TensorListMetadataILi2EEENS1_11CopyFunctorIdsLi2ELi1ELi1EEEJNS0_4CopyIdsEEEEEvT_T0_DpT1_
	.p2align	8
	.type	_ZN2at6native12_GLOBAL__N_125multi_tensor_apply_kernelINS1_18TensorListMetadataILi2EEENS1_11CopyFunctorIdsLi2ELi1ELi1EEEJNS0_4CopyIdsEEEEEvT_T0_DpT1_,@function
_ZN2at6native12_GLOBAL__N_125multi_tensor_apply_kernelINS1_18TensorListMetadataILi2EEENS1_11CopyFunctorIdsLi2ELi1ELi1EEEJNS0_4CopyIdsEEEEEvT_T0_DpT1_: ; @_ZN2at6native12_GLOBAL__N_125multi_tensor_apply_kernelINS1_18TensorListMetadataILi2EEENS1_11CopyFunctorIdsLi2ELi1ELi1EEEJNS0_4CopyIdsEEEEEvT_T0_DpT1_
; %bb.0:
	v_mov_b32_e32 v1, s15
	s_add_u32 s2, s0, s15
	s_mul_hi_u32 s3, s15, 3
	s_mul_i32 s15, s15, 3
	s_addc_u32 s4, s1, 0
	global_load_u8 v1, v1, s[0:1] offset:1536
	s_add_u32 s2, s2, s15
	s_addc_u32 s3, s4, s3
	s_mov_b32 s15, 0
	s_load_b32 s8, s[2:3], 0x740
	s_waitcnt lgkmcnt(0)
	s_ashr_i32 s9, s8, 31
	s_delay_alu instid0(SALU_CYCLE_1) | instskip(SKIP_3) | instid1(VALU_DEP_1)
	s_lshl_b64 s[10:11], s[8:9], 17
	s_lshl_b64 s[16:17], s[8:9], 16
	s_waitcnt vmcnt(0)
	v_readfirstlane_b32 s5, v1
	s_lshl_b32 s4, s5, 3
	s_clause 0x2
	s_load_b64 s[2:3], s[0:1], s4 offset:0x0
	s_load_b64 s[6:7], s[0:1], s4 offset:0x200
	s_load_b64 s[4:5], s[0:1], s4 offset:0x400
	s_waitcnt lgkmcnt(0)
	s_add_u32 s12, s2, s10
	s_addc_u32 s13, s3, s11
	s_and_b32 s18, s6, 31
	s_and_b32 s19, s4, 3
	;; [unrolled: 1-line block ×3, first 2 shown]
	s_or_b32 s18, s19, s18
	s_mov_b32 s19, s15
	s_delay_alu instid0(SALU_CYCLE_1)
	s_or_b64 s[14:15], s[14:15], s[18:19]
	s_sub_u32 s4, s4, s16
	s_subb_u32 s5, s5, s17
	s_cmp_eq_u64 s[14:15], 0
	s_mov_b32 s14, -1
	s_cbranch_scc0 .LBB239_5
; %bb.1:
	v_dual_mov_b32 v2, 0 :: v_dual_lshlrev_b32 v1, 2, v0
	s_mov_b32 s14, exec_lo
	s_delay_alu instid0(VALU_DEP_1)
	v_cmpx_gt_i64_e64 s[4:5], v[1:2]
	s_cbranch_execz .LBB239_4
; %bb.2:
	s_load_b32 s15, s[0:1], 0xc5c
	v_lshlrev_b32_e32 v4, 5, v0
	v_lshlrev_b32_e32 v3, 3, v0
	s_waitcnt lgkmcnt(0)
	s_and_b32 s16, s15, 0xffff
	s_add_u32 s15, s2, s10
	s_addc_u32 s17, s3, s11
	s_lshl_b64 s[2:3], s[8:9], 19
	s_lshl_b32 s10, s16, 3
	s_lshl_b32 s11, s16, 2
	s_add_u32 s2, s6, s2
	s_addc_u32 s3, s7, s3
	v_add_co_u32 v5, s2, s2, v4
	s_delay_alu instid0(VALU_DEP_1) | instskip(SKIP_1) | instid1(VALU_DEP_3)
	v_add_co_ci_u32_e64 v6, null, s3, 0, s2
	v_add_co_u32 v3, s2, s15, v3
	v_add_co_u32 v5, vcc_lo, v5, 16
	v_add_lshl_u32 v1, v0, s16, 2
	v_add_co_ci_u32_e64 v4, null, s17, 0, s2
	v_add_co_ci_u32_e32 v6, vcc_lo, 0, v6, vcc_lo
	s_mov_b32 s15, 0
	s_lshl_b32 s16, s16, 5
	s_set_inst_prefetch_distance 0x1
	.p2align	6
.LBB239_3:                              ; =>This Inner Loop Header: Depth=1
	global_load_b64 v[7:8], v[3:4], off
	v_cmp_le_i64_e32 vcc_lo, s[4:5], v[1:2]
	v_cmp_lt_u64_e64 s2, 0xffff, v[1:2]
	v_add_co_u32 v3, s3, v3, s10
	s_delay_alu instid0(VALU_DEP_1) | instskip(SKIP_1) | instid1(VALU_DEP_4)
	v_add_co_ci_u32_e64 v4, s3, 0, v4, s3
	v_add_co_u32 v1, s3, v1, s11
	s_or_b32 s2, vcc_lo, s2
	v_add_co_ci_u32_e64 v2, s3, 0, v2, s3
	s_and_b32 s2, exec_lo, s2
	s_delay_alu instid0(SALU_CYCLE_1)
	s_or_b32 s15, s2, s15
	s_waitcnt vmcnt(0)
	v_bfe_i32 v9, v7, 0, 16
	v_ashrrev_i32_e32 v10, 16, v7
	v_bfe_i32 v11, v8, 0, 16
	v_ashrrev_i32_e32 v13, 16, v8
	s_delay_alu instid0(VALU_DEP_4) | instskip(NEXT) | instid1(VALU_DEP_4)
	v_cvt_f64_i32_e32 v[7:8], v9
	v_cvt_f64_i32_e32 v[9:10], v10
	s_delay_alu instid0(VALU_DEP_4) | instskip(NEXT) | instid1(VALU_DEP_4)
	v_cvt_f64_i32_e32 v[11:12], v11
	v_cvt_f64_i32_e32 v[13:14], v13
	s_clause 0x1
	global_store_b128 v[5:6], v[7:10], off offset:-16
	global_store_b128 v[5:6], v[11:14], off
	v_add_co_u32 v5, vcc_lo, v5, s16
	v_add_co_ci_u32_e32 v6, vcc_lo, 0, v6, vcc_lo
	s_and_not1_b32 exec_lo, exec_lo, s15
	s_cbranch_execnz .LBB239_3
.LBB239_4:
	s_set_inst_prefetch_distance 0x2
	s_or_b32 exec_lo, exec_lo, s14
	s_mov_b32 s14, 0
.LBB239_5:
	s_delay_alu instid0(SALU_CYCLE_1)
	s_and_not1_b32 vcc_lo, exec_lo, s14
	s_cbranch_vccnz .LBB239_25
; %bb.6:
	v_cmp_lt_i64_e64 s2, s[4:5], 1
	s_delay_alu instid0(VALU_DEP_1)
	s_and_b32 vcc_lo, exec_lo, s2
	s_cbranch_vccnz .LBB239_25
; %bb.7:
	s_load_b32 s0, s[0:1], 0xc5c
	v_cmp_gt_u64_e64 s1, 0x10000, s[4:5]
	v_dual_mov_b32 v2, 0 :: v_dual_lshlrev_b32 v5, 3, v0
	v_lshlrev_b32_e32 v1, 1, v0
                                        ; implicit-def: $vgpr9_vgpr10
	s_waitcnt lgkmcnt(0)
	s_and_b32 s0, s0, 0xffff
	s_delay_alu instid0(VALU_DEP_3)
	s_and_b32 s1, s1, exec_lo
	s_cselect_b32 s3, s5, 0
	s_cselect_b32 s2, s4, 0x10000
	s_lshl_b64 s[8:9], s[8:9], 19
	s_lshl_b32 s11, s0, 1
	s_lshl_b32 s1, s0, 2
	;; [unrolled: 1-line block ×3, first 2 shown]
	s_add_u32 s6, s6, s8
	s_addc_u32 s7, s7, s9
	v_add_co_u32 v5, s9, s6, v5
	s_delay_alu instid0(VALU_DEP_1) | instskip(SKIP_3) | instid1(VALU_DEP_2)
	v_add_co_ci_u32_e64 v6, null, s7, 0, s9
	v_add_co_u32 v20, s9, v0, s0
	s_mul_i32 s14, s0, 3
	v_mad_u64_u32 v[3:4], null, s0, 6, v[1:2]
	v_lshlrev_b32_e32 v7, 3, v20
	v_add_co_u32 v2, s8, s14, v0
	v_add_co_u32 v21, s14, s1, v1
	v_add_co_ci_u32_e64 v23, null, 0, 0, s9
	v_add_co_u32 v24, s9, s11, v0
	v_add_co_u32 v7, s6, s6, v7
	v_add_co_ci_u32_e64 v19, null, 0, 0, s8
	v_add_co_ci_u32_e64 v22, null, 0, 0, s14
	;; [unrolled: 1-line block ×3, first 2 shown]
	v_lshlrev_b32_e32 v26, 1, v20
	v_add_co_ci_u32_e64 v8, null, s7, 0, s6
	s_lshl_b32 s8, s0, 5
	s_mul_i32 s9, s0, 24
	s_lshl_b32 s11, s0, 4
	s_mov_b64 s[6:7], 0
	s_branch .LBB239_9
.LBB239_8:                              ;   in Loop: Header=BB239_9 Depth=1
	s_or_b32 exec_lo, exec_lo, s0
	s_add_u32 s6, s6, s1
	s_addc_u32 s7, s7, 0
	v_add_co_u32 v5, vcc_lo, v5, s8
	v_cmp_ge_i64_e64 s0, s[6:7], s[4:5]
	v_cmp_lt_u64_e64 s14, 0xffff, s[6:7]
	v_add_co_ci_u32_e32 v6, vcc_lo, 0, v6, vcc_lo
	v_add_co_u32 v7, vcc_lo, v7, s8
	v_add_co_ci_u32_e32 v8, vcc_lo, 0, v8, vcc_lo
	s_delay_alu instid0(VALU_DEP_4)
	s_or_b32 s0, s0, s14
	s_add_u32 s12, s12, s10
	s_addc_u32 s13, s13, 0
	s_and_b32 vcc_lo, exec_lo, s0
	s_cbranch_vccnz .LBB239_25
.LBB239_9:                              ; =>This Inner Loop Header: Depth=1
	v_add_co_u32 v11, s0, v0, s6
	s_delay_alu instid0(VALU_DEP_1) | instskip(NEXT) | instid1(VALU_DEP_1)
	v_add_co_ci_u32_e64 v12, null, 0, s7, s0
	v_cmp_gt_i64_e32 vcc_lo, s[4:5], v[11:12]
	v_cmp_gt_u64_e64 s0, 0x10000, v[11:12]
	s_delay_alu instid0(VALU_DEP_1) | instskip(NEXT) | instid1(SALU_CYCLE_1)
	s_and_b32 s14, vcc_lo, s0
	s_and_saveexec_b32 s0, s14
	s_cbranch_execz .LBB239_11
; %bb.10:                               ;   in Loop: Header=BB239_9 Depth=1
	v_add_co_u32 v13, s14, s12, v1
	s_delay_alu instid0(VALU_DEP_1)
	v_add_co_ci_u32_e64 v14, null, s13, 0, s14
	global_load_d16_b16 v9, v[13:14], off
.LBB239_11:                             ;   in Loop: Header=BB239_9 Depth=1
	s_or_b32 exec_lo, exec_lo, s0
	v_add_co_u32 v13, vcc_lo, v20, s6
	v_add_co_ci_u32_e32 v14, vcc_lo, s7, v23, vcc_lo
	s_delay_alu instid0(VALU_DEP_1) | instskip(SKIP_1) | instid1(VALU_DEP_1)
	v_cmp_gt_i64_e32 vcc_lo, s[4:5], v[13:14]
	v_cmp_gt_u64_e64 s0, 0x10000, v[13:14]
	s_and_b32 s14, vcc_lo, s0
	s_delay_alu instid0(SALU_CYCLE_1)
	s_and_saveexec_b32 s0, s14
	s_cbranch_execz .LBB239_13
; %bb.12:                               ;   in Loop: Header=BB239_9 Depth=1
	v_add_co_u32 v15, s14, s12, v26
	s_delay_alu instid0(VALU_DEP_1)
	v_add_co_ci_u32_e64 v16, null, s13, 0, s14
	global_load_d16_hi_b16 v9, v[15:16], off
.LBB239_13:                             ;   in Loop: Header=BB239_9 Depth=1
	s_or_b32 exec_lo, exec_lo, s0
	v_add_co_u32 v15, vcc_lo, v24, s6
	v_add_co_ci_u32_e32 v16, vcc_lo, s7, v25, vcc_lo
	s_delay_alu instid0(VALU_DEP_1) | instskip(SKIP_1) | instid1(VALU_DEP_1)
	v_cmp_gt_i64_e32 vcc_lo, s[4:5], v[15:16]
	v_cmp_gt_u64_e64 s0, 0x10000, v[15:16]
	s_and_b32 s14, vcc_lo, s0
	s_delay_alu instid0(SALU_CYCLE_1)
	s_and_saveexec_b32 s0, s14
	s_cbranch_execz .LBB239_15
; %bb.14:                               ;   in Loop: Header=BB239_9 Depth=1
	v_add_co_u32 v17, vcc_lo, s12, v21
	v_add_co_ci_u32_e32 v18, vcc_lo, s13, v22, vcc_lo
	global_load_d16_b16 v10, v[17:18], off
.LBB239_15:                             ;   in Loop: Header=BB239_9 Depth=1
	s_or_b32 exec_lo, exec_lo, s0
	v_add_co_u32 v17, vcc_lo, v2, s6
	v_add_co_ci_u32_e32 v18, vcc_lo, s7, v19, vcc_lo
	s_delay_alu instid0(VALU_DEP_1) | instskip(SKIP_1) | instid1(VALU_DEP_1)
	v_cmp_gt_i64_e32 vcc_lo, s[4:5], v[17:18]
	v_cmp_gt_u64_e64 s0, 0x10000, v[17:18]
	s_and_b32 s14, vcc_lo, s0
	s_delay_alu instid0(SALU_CYCLE_1)
	s_and_saveexec_b32 s0, s14
	s_cbranch_execnz .LBB239_20
; %bb.16:                               ;   in Loop: Header=BB239_9 Depth=1
	s_or_b32 exec_lo, exec_lo, s0
	s_delay_alu instid0(SALU_CYCLE_1)
	s_mov_b32 s0, exec_lo
	v_cmpx_gt_u64_e64 s[2:3], v[11:12]
	s_cbranch_execnz .LBB239_21
.LBB239_17:                             ;   in Loop: Header=BB239_9 Depth=1
	s_or_b32 exec_lo, exec_lo, s0
	s_delay_alu instid0(SALU_CYCLE_1)
	s_mov_b32 s0, exec_lo
	v_cmpx_gt_u64_e64 s[2:3], v[13:14]
	s_cbranch_execnz .LBB239_22
.LBB239_18:                             ;   in Loop: Header=BB239_9 Depth=1
	s_or_b32 exec_lo, exec_lo, s0
	s_delay_alu instid0(SALU_CYCLE_1)
	s_mov_b32 s0, exec_lo
	v_cmpx_gt_u64_e64 s[2:3], v[15:16]
	s_cbranch_execnz .LBB239_23
.LBB239_19:                             ;   in Loop: Header=BB239_9 Depth=1
	s_or_b32 exec_lo, exec_lo, s0
	s_delay_alu instid0(SALU_CYCLE_1)
	s_mov_b32 s0, exec_lo
	v_cmpx_gt_u64_e64 s[2:3], v[17:18]
	s_cbranch_execz .LBB239_8
	s_branch .LBB239_24
.LBB239_20:                             ;   in Loop: Header=BB239_9 Depth=1
	v_add_co_u32 v27, vcc_lo, s12, v3
	v_add_co_ci_u32_e32 v28, vcc_lo, s13, v4, vcc_lo
	global_load_d16_hi_b16 v10, v[27:28], off
	s_or_b32 exec_lo, exec_lo, s0
	s_delay_alu instid0(SALU_CYCLE_1)
	s_mov_b32 s0, exec_lo
	v_cmpx_gt_u64_e64 s[2:3], v[11:12]
	s_cbranch_execz .LBB239_17
.LBB239_21:                             ;   in Loop: Header=BB239_9 Depth=1
	s_waitcnt vmcnt(0)
	v_bfe_i32 v11, v9, 0, 16
	s_delay_alu instid0(VALU_DEP_1) | instskip(SKIP_2) | instid1(SALU_CYCLE_1)
	v_cvt_f64_i32_e32 v[11:12], v11
	global_store_b64 v[5:6], v[11:12], off
	s_or_b32 exec_lo, exec_lo, s0
	s_mov_b32 s0, exec_lo
	v_cmpx_gt_u64_e64 s[2:3], v[13:14]
	s_cbranch_execz .LBB239_18
.LBB239_22:                             ;   in Loop: Header=BB239_9 Depth=1
	s_waitcnt vmcnt(0)
	v_ashrrev_i32_e32 v11, 16, v9
	s_delay_alu instid0(VALU_DEP_1) | instskip(SKIP_2) | instid1(SALU_CYCLE_1)
	v_cvt_f64_i32_e32 v[11:12], v11
	global_store_b64 v[7:8], v[11:12], off
	s_or_b32 exec_lo, exec_lo, s0
	s_mov_b32 s0, exec_lo
	v_cmpx_gt_u64_e64 s[2:3], v[15:16]
	s_cbranch_execz .LBB239_19
.LBB239_23:                             ;   in Loop: Header=BB239_9 Depth=1
	s_waitcnt vmcnt(0)
	v_bfe_i32 v11, v10, 0, 16
	v_add_co_u32 v13, vcc_lo, v5, s11
	v_add_co_ci_u32_e32 v14, vcc_lo, 0, v6, vcc_lo
	s_delay_alu instid0(VALU_DEP_3) | instskip(SKIP_2) | instid1(SALU_CYCLE_1)
	v_cvt_f64_i32_e32 v[11:12], v11
	global_store_b64 v[13:14], v[11:12], off
	s_or_b32 exec_lo, exec_lo, s0
	s_mov_b32 s0, exec_lo
	v_cmpx_gt_u64_e64 s[2:3], v[17:18]
	s_cbranch_execz .LBB239_8
.LBB239_24:                             ;   in Loop: Header=BB239_9 Depth=1
	s_waitcnt vmcnt(0)
	v_ashrrev_i32_e32 v11, 16, v10
	v_add_co_u32 v13, vcc_lo, v5, s9
	v_add_co_ci_u32_e32 v14, vcc_lo, 0, v6, vcc_lo
	s_delay_alu instid0(VALU_DEP_3)
	v_cvt_f64_i32_e32 v[11:12], v11
	global_store_b64 v[13:14], v[11:12], off
	s_branch .LBB239_8
.LBB239_25:
	s_nop 0
	s_sendmsg sendmsg(MSG_DEALLOC_VGPRS)
	s_endpgm
	.section	.rodata,"a",@progbits
	.p2align	6, 0x0
	.amdhsa_kernel _ZN2at6native12_GLOBAL__N_125multi_tensor_apply_kernelINS1_18TensorListMetadataILi2EEENS1_11CopyFunctorIdsLi2ELi1ELi1EEEJNS0_4CopyIdsEEEEEvT_T0_DpT1_
		.amdhsa_group_segment_fixed_size 0
		.amdhsa_private_segment_fixed_size 0
		.amdhsa_kernarg_size 3408
		.amdhsa_user_sgpr_count 15
		.amdhsa_user_sgpr_dispatch_ptr 0
		.amdhsa_user_sgpr_queue_ptr 0
		.amdhsa_user_sgpr_kernarg_segment_ptr 1
		.amdhsa_user_sgpr_dispatch_id 0
		.amdhsa_user_sgpr_private_segment_size 0
		.amdhsa_wavefront_size32 1
		.amdhsa_uses_dynamic_stack 0
		.amdhsa_enable_private_segment 0
		.amdhsa_system_sgpr_workgroup_id_x 1
		.amdhsa_system_sgpr_workgroup_id_y 0
		.amdhsa_system_sgpr_workgroup_id_z 0
		.amdhsa_system_sgpr_workgroup_info 0
		.amdhsa_system_vgpr_workitem_id 0
		.amdhsa_next_free_vgpr 29
		.amdhsa_next_free_sgpr 20
		.amdhsa_reserve_vcc 1
		.amdhsa_float_round_mode_32 0
		.amdhsa_float_round_mode_16_64 0
		.amdhsa_float_denorm_mode_32 3
		.amdhsa_float_denorm_mode_16_64 3
		.amdhsa_dx10_clamp 1
		.amdhsa_ieee_mode 1
		.amdhsa_fp16_overflow 0
		.amdhsa_workgroup_processor_mode 1
		.amdhsa_memory_ordered 1
		.amdhsa_forward_progress 0
		.amdhsa_shared_vgpr_count 0
		.amdhsa_exception_fp_ieee_invalid_op 0
		.amdhsa_exception_fp_denorm_src 0
		.amdhsa_exception_fp_ieee_div_zero 0
		.amdhsa_exception_fp_ieee_overflow 0
		.amdhsa_exception_fp_ieee_underflow 0
		.amdhsa_exception_fp_ieee_inexact 0
		.amdhsa_exception_int_div_zero 0
	.end_amdhsa_kernel
	.section	.text._ZN2at6native12_GLOBAL__N_125multi_tensor_apply_kernelINS1_18TensorListMetadataILi2EEENS1_11CopyFunctorIdsLi2ELi1ELi1EEEJNS0_4CopyIdsEEEEEvT_T0_DpT1_,"axG",@progbits,_ZN2at6native12_GLOBAL__N_125multi_tensor_apply_kernelINS1_18TensorListMetadataILi2EEENS1_11CopyFunctorIdsLi2ELi1ELi1EEEJNS0_4CopyIdsEEEEEvT_T0_DpT1_,comdat
.Lfunc_end239:
	.size	_ZN2at6native12_GLOBAL__N_125multi_tensor_apply_kernelINS1_18TensorListMetadataILi2EEENS1_11CopyFunctorIdsLi2ELi1ELi1EEEJNS0_4CopyIdsEEEEEvT_T0_DpT1_, .Lfunc_end239-_ZN2at6native12_GLOBAL__N_125multi_tensor_apply_kernelINS1_18TensorListMetadataILi2EEENS1_11CopyFunctorIdsLi2ELi1ELi1EEEJNS0_4CopyIdsEEEEEvT_T0_DpT1_
                                        ; -- End function
	.section	.AMDGPU.csdata,"",@progbits
; Kernel info:
; codeLenInByte = 1472
; NumSgprs: 22
; NumVgprs: 29
; ScratchSize: 0
; MemoryBound: 0
; FloatMode: 240
; IeeeMode: 1
; LDSByteSize: 0 bytes/workgroup (compile time only)
; SGPRBlocks: 2
; VGPRBlocks: 3
; NumSGPRsForWavesPerEU: 22
; NumVGPRsForWavesPerEU: 29
; Occupancy: 16
; WaveLimiterHint : 0
; COMPUTE_PGM_RSRC2:SCRATCH_EN: 0
; COMPUTE_PGM_RSRC2:USER_SGPR: 15
; COMPUTE_PGM_RSRC2:TRAP_HANDLER: 0
; COMPUTE_PGM_RSRC2:TGID_X_EN: 1
; COMPUTE_PGM_RSRC2:TGID_Y_EN: 0
; COMPUTE_PGM_RSRC2:TGID_Z_EN: 0
; COMPUTE_PGM_RSRC2:TIDIG_COMP_CNT: 0
	.section	.text._ZN2at6native12_GLOBAL__N_125multi_tensor_apply_kernelINS1_18TensorListMetadataILi2EEENS1_11CopyFunctorIdiLi2ELi1ELi1EEEJNS0_4CopyIdiEEEEEvT_T0_DpT1_,"axG",@progbits,_ZN2at6native12_GLOBAL__N_125multi_tensor_apply_kernelINS1_18TensorListMetadataILi2EEENS1_11CopyFunctorIdiLi2ELi1ELi1EEEJNS0_4CopyIdiEEEEEvT_T0_DpT1_,comdat
	.globl	_ZN2at6native12_GLOBAL__N_125multi_tensor_apply_kernelINS1_18TensorListMetadataILi2EEENS1_11CopyFunctorIdiLi2ELi1ELi1EEEJNS0_4CopyIdiEEEEEvT_T0_DpT1_ ; -- Begin function _ZN2at6native12_GLOBAL__N_125multi_tensor_apply_kernelINS1_18TensorListMetadataILi2EEENS1_11CopyFunctorIdiLi2ELi1ELi1EEEJNS0_4CopyIdiEEEEEvT_T0_DpT1_
	.p2align	8
	.type	_ZN2at6native12_GLOBAL__N_125multi_tensor_apply_kernelINS1_18TensorListMetadataILi2EEENS1_11CopyFunctorIdiLi2ELi1ELi1EEEJNS0_4CopyIdiEEEEEvT_T0_DpT1_,@function
_ZN2at6native12_GLOBAL__N_125multi_tensor_apply_kernelINS1_18TensorListMetadataILi2EEENS1_11CopyFunctorIdiLi2ELi1ELi1EEEJNS0_4CopyIdiEEEEEvT_T0_DpT1_: ; @_ZN2at6native12_GLOBAL__N_125multi_tensor_apply_kernelINS1_18TensorListMetadataILi2EEENS1_11CopyFunctorIdiLi2ELi1ELi1EEEJNS0_4CopyIdiEEEEEvT_T0_DpT1_
; %bb.0:
	v_mov_b32_e32 v1, s15
	s_add_u32 s2, s0, s15
	s_mul_hi_u32 s3, s15, 3
	s_mul_i32 s15, s15, 3
	s_addc_u32 s4, s1, 0
	global_load_u8 v1, v1, s[0:1] offset:1536
	s_add_u32 s2, s2, s15
	s_addc_u32 s3, s4, s3
	s_mov_b32 s15, 0
	s_load_b32 s8, s[2:3], 0x740
	s_waitcnt lgkmcnt(0)
	s_ashr_i32 s9, s8, 31
	s_delay_alu instid0(SALU_CYCLE_1) | instskip(SKIP_3) | instid1(VALU_DEP_1)
	s_lshl_b64 s[10:11], s[8:9], 18
	s_lshl_b64 s[16:17], s[8:9], 16
	s_waitcnt vmcnt(0)
	v_readfirstlane_b32 s5, v1
	s_lshl_b32 s4, s5, 3
	s_clause 0x2
	s_load_b64 s[2:3], s[0:1], s4 offset:0x0
	s_load_b64 s[6:7], s[0:1], s4 offset:0x200
	;; [unrolled: 1-line block ×3, first 2 shown]
	s_waitcnt lgkmcnt(0)
	s_add_u32 s12, s2, s10
	s_addc_u32 s13, s3, s11
	s_and_b32 s18, s6, 31
	s_and_b32 s19, s4, 3
	;; [unrolled: 1-line block ×3, first 2 shown]
	s_or_b32 s18, s19, s18
	s_mov_b32 s19, s15
	s_delay_alu instid0(SALU_CYCLE_1)
	s_or_b64 s[14:15], s[14:15], s[18:19]
	s_sub_u32 s4, s4, s16
	s_subb_u32 s5, s5, s17
	s_cmp_eq_u64 s[14:15], 0
	s_mov_b32 s14, -1
	s_cbranch_scc0 .LBB240_5
; %bb.1:
	v_dual_mov_b32 v2, 0 :: v_dual_lshlrev_b32 v1, 2, v0
	s_mov_b32 s14, exec_lo
	s_delay_alu instid0(VALU_DEP_1)
	v_cmpx_gt_i64_e64 s[4:5], v[1:2]
	s_cbranch_execz .LBB240_4
; %bb.2:
	s_load_b32 s15, s[0:1], 0xc5c
	v_lshlrev_b32_e32 v4, 5, v0
	v_lshlrev_b32_e32 v3, 4, v0
	s_waitcnt lgkmcnt(0)
	s_and_b32 s16, s15, 0xffff
	s_delay_alu instid0(SALU_CYCLE_1)
	s_lshl_b32 s15, s16, 2
	s_add_u32 s17, s2, s10
	s_addc_u32 s11, s3, s11
	s_lshl_b64 s[2:3], s[8:9], 19
	s_lshl_b32 s10, s16, 4
	s_add_u32 s2, s6, s2
	s_addc_u32 s3, s7, s3
	v_add_co_u32 v5, s2, s2, v4
	s_delay_alu instid0(VALU_DEP_1) | instskip(SKIP_1) | instid1(VALU_DEP_3)
	v_add_co_ci_u32_e64 v6, null, s3, 0, s2
	v_add_co_u32 v3, s2, s17, v3
	v_add_co_u32 v5, vcc_lo, v5, 16
	v_add_lshl_u32 v1, v0, s16, 2
	v_add_co_ci_u32_e64 v4, null, s11, 0, s2
	v_add_co_ci_u32_e32 v6, vcc_lo, 0, v6, vcc_lo
	s_mov_b32 s11, 0
	s_lshl_b32 s16, s16, 5
	.p2align	6
.LBB240_3:                              ; =>This Inner Loop Header: Depth=1
	global_load_b128 v[7:10], v[3:4], off
	v_cmp_le_i64_e32 vcc_lo, s[4:5], v[1:2]
	v_cmp_lt_u64_e64 s2, 0xffff, v[1:2]
	v_add_co_u32 v1, s3, v1, s15
	s_delay_alu instid0(VALU_DEP_1) | instskip(SKIP_1) | instid1(VALU_DEP_4)
	v_add_co_ci_u32_e64 v2, s3, 0, v2, s3
	v_add_co_u32 v3, s3, v3, s10
	s_or_b32 s2, vcc_lo, s2
	v_add_co_ci_u32_e64 v4, s3, 0, v4, s3
	s_and_b32 s2, exec_lo, s2
	s_delay_alu instid0(SALU_CYCLE_1)
	s_or_b32 s11, s2, s11
	s_waitcnt vmcnt(0)
	v_cvt_f64_i32_e32 v[11:12], v7
	v_cvt_f64_i32_e32 v[13:14], v8
	;; [unrolled: 1-line block ×4, first 2 shown]
	s_clause 0x1
	global_store_b128 v[5:6], v[11:14], off offset:-16
	global_store_b128 v[5:6], v[7:10], off
	v_add_co_u32 v5, vcc_lo, v5, s16
	v_add_co_ci_u32_e32 v6, vcc_lo, 0, v6, vcc_lo
	s_and_not1_b32 exec_lo, exec_lo, s11
	s_cbranch_execnz .LBB240_3
.LBB240_4:
	s_or_b32 exec_lo, exec_lo, s14
	s_mov_b32 s14, 0
.LBB240_5:
	s_delay_alu instid0(SALU_CYCLE_1)
	s_and_not1_b32 vcc_lo, exec_lo, s14
	s_cbranch_vccnz .LBB240_25
; %bb.6:
	v_cmp_lt_i64_e64 s2, s[4:5], 1
	s_delay_alu instid0(VALU_DEP_1)
	s_and_b32 vcc_lo, exec_lo, s2
	s_cbranch_vccnz .LBB240_25
; %bb.7:
	s_load_b32 s0, s[0:1], 0xc5c
	v_cmp_gt_u64_e64 s1, 0x10000, s[4:5]
	v_dual_mov_b32 v2, 0 :: v_dual_lshlrev_b32 v5, 3, v0
	v_lshlrev_b32_e32 v1, 2, v0
                                        ; implicit-def: $vgpr25
                                        ; implicit-def: $vgpr26
                                        ; implicit-def: $vgpr27
                                        ; implicit-def: $vgpr28
	s_waitcnt lgkmcnt(0)
	s_and_b32 s0, s0, 0xffff
	s_delay_alu instid0(VALU_DEP_3)
	s_and_b32 s1, s1, exec_lo
	s_cselect_b32 s3, s5, 0
	s_cselect_b32 s2, s4, 0x10000
	s_lshl_b64 s[8:9], s[8:9], 19
	s_lshl_b32 s11, s0, 1
	s_lshl_b32 s1, s0, 2
	;; [unrolled: 1-line block ×3, first 2 shown]
	s_add_u32 s6, s6, s8
	s_addc_u32 s7, s7, s9
	v_add_co_u32 v5, s9, s6, v5
	s_delay_alu instid0(VALU_DEP_1) | instskip(SKIP_4) | instid1(VALU_DEP_3)
	v_add_co_ci_u32_e64 v6, null, s7, 0, s9
	v_add_co_u32 v18, s9, v0, s0
	s_mul_i32 s14, s0, 3
	v_mad_u64_u32 v[3:4], null, s0, 12, v[1:2]
	v_add_co_u32 v2, s8, s14, v0
	v_lshlrev_b32_e32 v7, 3, v18
	v_add_co_ci_u32_e64 v17, null, 0, 0, s8
	s_lshl_b32 s8, s0, 3
	v_add_co_ci_u32_e64 v21, null, 0, 0, s9
	v_add_co_u32 v19, s8, s8, v1
	s_delay_alu instid0(VALU_DEP_1)
	v_add_co_ci_u32_e64 v20, null, 0, 0, s8
	v_add_co_u32 v22, s8, s11, v0
	v_add_co_u32 v7, s6, s6, v7
	v_add_co_ci_u32_e64 v23, null, 0, 0, s8
	v_lshlrev_b32_e32 v24, 2, v18
	v_add_co_ci_u32_e64 v8, null, s7, 0, s6
	s_lshl_b32 s8, s0, 5
	s_mul_i32 s9, s0, 24
	s_mov_b64 s[6:7], 0
	s_branch .LBB240_9
.LBB240_8:                              ;   in Loop: Header=BB240_9 Depth=1
	s_or_b32 exec_lo, exec_lo, s0
	s_add_u32 s6, s6, s1
	s_addc_u32 s7, s7, 0
	v_add_co_u32 v5, vcc_lo, v5, s8
	v_cmp_ge_i64_e64 s0, s[6:7], s[4:5]
	v_cmp_lt_u64_e64 s11, 0xffff, s[6:7]
	v_add_co_ci_u32_e32 v6, vcc_lo, 0, v6, vcc_lo
	v_add_co_u32 v7, vcc_lo, v7, s8
	v_add_co_ci_u32_e32 v8, vcc_lo, 0, v8, vcc_lo
	s_delay_alu instid0(VALU_DEP_4)
	s_or_b32 s0, s0, s11
	s_add_u32 s12, s12, s10
	s_addc_u32 s13, s13, 0
	s_and_b32 vcc_lo, exec_lo, s0
	s_cbranch_vccnz .LBB240_25
.LBB240_9:                              ; =>This Inner Loop Header: Depth=1
	v_add_co_u32 v9, s0, v0, s6
	s_delay_alu instid0(VALU_DEP_1) | instskip(NEXT) | instid1(VALU_DEP_1)
	v_add_co_ci_u32_e64 v10, null, 0, s7, s0
	v_cmp_gt_i64_e32 vcc_lo, s[4:5], v[9:10]
	v_cmp_gt_u64_e64 s0, 0x10000, v[9:10]
	s_delay_alu instid0(VALU_DEP_1) | instskip(NEXT) | instid1(SALU_CYCLE_1)
	s_and_b32 s11, vcc_lo, s0
	s_and_saveexec_b32 s0, s11
	s_cbranch_execz .LBB240_11
; %bb.10:                               ;   in Loop: Header=BB240_9 Depth=1
	v_add_co_u32 v11, s11, s12, v1
	s_delay_alu instid0(VALU_DEP_1)
	v_add_co_ci_u32_e64 v12, null, s13, 0, s11
	global_load_b32 v28, v[11:12], off
.LBB240_11:                             ;   in Loop: Header=BB240_9 Depth=1
	s_or_b32 exec_lo, exec_lo, s0
	v_add_co_u32 v11, vcc_lo, v18, s6
	v_add_co_ci_u32_e32 v12, vcc_lo, s7, v21, vcc_lo
	s_delay_alu instid0(VALU_DEP_1) | instskip(SKIP_1) | instid1(VALU_DEP_1)
	v_cmp_gt_i64_e32 vcc_lo, s[4:5], v[11:12]
	v_cmp_gt_u64_e64 s0, 0x10000, v[11:12]
	s_and_b32 s11, vcc_lo, s0
	s_delay_alu instid0(SALU_CYCLE_1)
	s_and_saveexec_b32 s0, s11
	s_cbranch_execz .LBB240_13
; %bb.12:                               ;   in Loop: Header=BB240_9 Depth=1
	v_add_co_u32 v13, s11, s12, v24
	s_delay_alu instid0(VALU_DEP_1)
	v_add_co_ci_u32_e64 v14, null, s13, 0, s11
	global_load_b32 v27, v[13:14], off
.LBB240_13:                             ;   in Loop: Header=BB240_9 Depth=1
	s_or_b32 exec_lo, exec_lo, s0
	v_add_co_u32 v13, vcc_lo, v22, s6
	v_add_co_ci_u32_e32 v14, vcc_lo, s7, v23, vcc_lo
	s_delay_alu instid0(VALU_DEP_1) | instskip(SKIP_1) | instid1(VALU_DEP_1)
	v_cmp_gt_i64_e32 vcc_lo, s[4:5], v[13:14]
	v_cmp_gt_u64_e64 s0, 0x10000, v[13:14]
	s_and_b32 s11, vcc_lo, s0
	s_delay_alu instid0(SALU_CYCLE_1)
	s_and_saveexec_b32 s0, s11
	s_cbranch_execz .LBB240_15
; %bb.14:                               ;   in Loop: Header=BB240_9 Depth=1
	v_add_co_u32 v15, vcc_lo, s12, v19
	v_add_co_ci_u32_e32 v16, vcc_lo, s13, v20, vcc_lo
	global_load_b32 v26, v[15:16], off
.LBB240_15:                             ;   in Loop: Header=BB240_9 Depth=1
	s_or_b32 exec_lo, exec_lo, s0
	v_add_co_u32 v15, vcc_lo, v2, s6
	v_add_co_ci_u32_e32 v16, vcc_lo, s7, v17, vcc_lo
	s_delay_alu instid0(VALU_DEP_1) | instskip(SKIP_1) | instid1(VALU_DEP_1)
	v_cmp_gt_i64_e32 vcc_lo, s[4:5], v[15:16]
	v_cmp_gt_u64_e64 s0, 0x10000, v[15:16]
	s_and_b32 s11, vcc_lo, s0
	s_delay_alu instid0(SALU_CYCLE_1)
	s_and_saveexec_b32 s0, s11
	s_cbranch_execnz .LBB240_20
; %bb.16:                               ;   in Loop: Header=BB240_9 Depth=1
	s_or_b32 exec_lo, exec_lo, s0
	s_delay_alu instid0(SALU_CYCLE_1)
	s_mov_b32 s0, exec_lo
	v_cmpx_gt_u64_e64 s[2:3], v[9:10]
	s_cbranch_execnz .LBB240_21
.LBB240_17:                             ;   in Loop: Header=BB240_9 Depth=1
	s_or_b32 exec_lo, exec_lo, s0
	s_delay_alu instid0(SALU_CYCLE_1)
	s_mov_b32 s0, exec_lo
	v_cmpx_gt_u64_e64 s[2:3], v[11:12]
	s_cbranch_execnz .LBB240_22
.LBB240_18:                             ;   in Loop: Header=BB240_9 Depth=1
	s_or_b32 exec_lo, exec_lo, s0
	s_delay_alu instid0(SALU_CYCLE_1)
	s_mov_b32 s0, exec_lo
	v_cmpx_gt_u64_e64 s[2:3], v[13:14]
	s_cbranch_execnz .LBB240_23
.LBB240_19:                             ;   in Loop: Header=BB240_9 Depth=1
	s_or_b32 exec_lo, exec_lo, s0
	s_delay_alu instid0(SALU_CYCLE_1)
	s_mov_b32 s0, exec_lo
	v_cmpx_gt_u64_e64 s[2:3], v[15:16]
	s_cbranch_execz .LBB240_8
	s_branch .LBB240_24
.LBB240_20:                             ;   in Loop: Header=BB240_9 Depth=1
	v_add_co_u32 v29, vcc_lo, s12, v3
	v_add_co_ci_u32_e32 v30, vcc_lo, s13, v4, vcc_lo
	global_load_b32 v25, v[29:30], off
	s_or_b32 exec_lo, exec_lo, s0
	s_delay_alu instid0(SALU_CYCLE_1)
	s_mov_b32 s0, exec_lo
	v_cmpx_gt_u64_e64 s[2:3], v[9:10]
	s_cbranch_execz .LBB240_17
.LBB240_21:                             ;   in Loop: Header=BB240_9 Depth=1
	s_waitcnt vmcnt(0)
	v_cvt_f64_i32_e32 v[9:10], v28
	global_store_b64 v[5:6], v[9:10], off
	s_or_b32 exec_lo, exec_lo, s0
	s_delay_alu instid0(SALU_CYCLE_1)
	s_mov_b32 s0, exec_lo
	v_cmpx_gt_u64_e64 s[2:3], v[11:12]
	s_cbranch_execz .LBB240_18
.LBB240_22:                             ;   in Loop: Header=BB240_9 Depth=1
	s_waitcnt vmcnt(0)
	v_cvt_f64_i32_e32 v[9:10], v27
	global_store_b64 v[7:8], v[9:10], off
	s_or_b32 exec_lo, exec_lo, s0
	s_delay_alu instid0(SALU_CYCLE_1)
	s_mov_b32 s0, exec_lo
	v_cmpx_gt_u64_e64 s[2:3], v[13:14]
	s_cbranch_execz .LBB240_19
.LBB240_23:                             ;   in Loop: Header=BB240_9 Depth=1
	s_waitcnt vmcnt(0)
	v_cvt_f64_i32_e32 v[9:10], v26
	v_add_co_u32 v11, vcc_lo, v5, s10
	v_add_co_ci_u32_e32 v12, vcc_lo, 0, v6, vcc_lo
	global_store_b64 v[11:12], v[9:10], off
	s_or_b32 exec_lo, exec_lo, s0
	s_delay_alu instid0(SALU_CYCLE_1)
	s_mov_b32 s0, exec_lo
	v_cmpx_gt_u64_e64 s[2:3], v[15:16]
	s_cbranch_execz .LBB240_8
.LBB240_24:                             ;   in Loop: Header=BB240_9 Depth=1
	s_waitcnt vmcnt(0)
	v_cvt_f64_i32_e32 v[9:10], v25
	v_add_co_u32 v11, vcc_lo, v5, s9
	v_add_co_ci_u32_e32 v12, vcc_lo, 0, v6, vcc_lo
	global_store_b64 v[11:12], v[9:10], off
	s_branch .LBB240_8
.LBB240_25:
	s_nop 0
	s_sendmsg sendmsg(MSG_DEALLOC_VGPRS)
	s_endpgm
	.section	.rodata,"a",@progbits
	.p2align	6, 0x0
	.amdhsa_kernel _ZN2at6native12_GLOBAL__N_125multi_tensor_apply_kernelINS1_18TensorListMetadataILi2EEENS1_11CopyFunctorIdiLi2ELi1ELi1EEEJNS0_4CopyIdiEEEEEvT_T0_DpT1_
		.amdhsa_group_segment_fixed_size 0
		.amdhsa_private_segment_fixed_size 0
		.amdhsa_kernarg_size 3408
		.amdhsa_user_sgpr_count 15
		.amdhsa_user_sgpr_dispatch_ptr 0
		.amdhsa_user_sgpr_queue_ptr 0
		.amdhsa_user_sgpr_kernarg_segment_ptr 1
		.amdhsa_user_sgpr_dispatch_id 0
		.amdhsa_user_sgpr_private_segment_size 0
		.amdhsa_wavefront_size32 1
		.amdhsa_uses_dynamic_stack 0
		.amdhsa_enable_private_segment 0
		.amdhsa_system_sgpr_workgroup_id_x 1
		.amdhsa_system_sgpr_workgroup_id_y 0
		.amdhsa_system_sgpr_workgroup_id_z 0
		.amdhsa_system_sgpr_workgroup_info 0
		.amdhsa_system_vgpr_workitem_id 0
		.amdhsa_next_free_vgpr 31
		.amdhsa_next_free_sgpr 20
		.amdhsa_reserve_vcc 1
		.amdhsa_float_round_mode_32 0
		.amdhsa_float_round_mode_16_64 0
		.amdhsa_float_denorm_mode_32 3
		.amdhsa_float_denorm_mode_16_64 3
		.amdhsa_dx10_clamp 1
		.amdhsa_ieee_mode 1
		.amdhsa_fp16_overflow 0
		.amdhsa_workgroup_processor_mode 1
		.amdhsa_memory_ordered 1
		.amdhsa_forward_progress 0
		.amdhsa_shared_vgpr_count 0
		.amdhsa_exception_fp_ieee_invalid_op 0
		.amdhsa_exception_fp_denorm_src 0
		.amdhsa_exception_fp_ieee_div_zero 0
		.amdhsa_exception_fp_ieee_overflow 0
		.amdhsa_exception_fp_ieee_underflow 0
		.amdhsa_exception_fp_ieee_inexact 0
		.amdhsa_exception_int_div_zero 0
	.end_amdhsa_kernel
	.section	.text._ZN2at6native12_GLOBAL__N_125multi_tensor_apply_kernelINS1_18TensorListMetadataILi2EEENS1_11CopyFunctorIdiLi2ELi1ELi1EEEJNS0_4CopyIdiEEEEEvT_T0_DpT1_,"axG",@progbits,_ZN2at6native12_GLOBAL__N_125multi_tensor_apply_kernelINS1_18TensorListMetadataILi2EEENS1_11CopyFunctorIdiLi2ELi1ELi1EEEJNS0_4CopyIdiEEEEEvT_T0_DpT1_,comdat
.Lfunc_end240:
	.size	_ZN2at6native12_GLOBAL__N_125multi_tensor_apply_kernelINS1_18TensorListMetadataILi2EEENS1_11CopyFunctorIdiLi2ELi1ELi1EEEJNS0_4CopyIdiEEEEEvT_T0_DpT1_, .Lfunc_end240-_ZN2at6native12_GLOBAL__N_125multi_tensor_apply_kernelINS1_18TensorListMetadataILi2EEENS1_11CopyFunctorIdiLi2ELi1ELi1EEEJNS0_4CopyIdiEEEEEvT_T0_DpT1_
                                        ; -- End function
	.section	.AMDGPU.csdata,"",@progbits
; Kernel info:
; codeLenInByte = 1412
; NumSgprs: 22
; NumVgprs: 31
; ScratchSize: 0
; MemoryBound: 0
; FloatMode: 240
; IeeeMode: 1
; LDSByteSize: 0 bytes/workgroup (compile time only)
; SGPRBlocks: 2
; VGPRBlocks: 3
; NumSGPRsForWavesPerEU: 22
; NumVGPRsForWavesPerEU: 31
; Occupancy: 16
; WaveLimiterHint : 0
; COMPUTE_PGM_RSRC2:SCRATCH_EN: 0
; COMPUTE_PGM_RSRC2:USER_SGPR: 15
; COMPUTE_PGM_RSRC2:TRAP_HANDLER: 0
; COMPUTE_PGM_RSRC2:TGID_X_EN: 1
; COMPUTE_PGM_RSRC2:TGID_Y_EN: 0
; COMPUTE_PGM_RSRC2:TGID_Z_EN: 0
; COMPUTE_PGM_RSRC2:TIDIG_COMP_CNT: 0
	.section	.text._ZN2at6native12_GLOBAL__N_125multi_tensor_apply_kernelINS1_18TensorListMetadataILi2EEENS1_14UnaryOpFunctorIdLi2ELi1ELi1EEEJNS0_4CopyIddEEEEEvT_T0_DpT1_,"axG",@progbits,_ZN2at6native12_GLOBAL__N_125multi_tensor_apply_kernelINS1_18TensorListMetadataILi2EEENS1_14UnaryOpFunctorIdLi2ELi1ELi1EEEJNS0_4CopyIddEEEEEvT_T0_DpT1_,comdat
	.globl	_ZN2at6native12_GLOBAL__N_125multi_tensor_apply_kernelINS1_18TensorListMetadataILi2EEENS1_14UnaryOpFunctorIdLi2ELi1ELi1EEEJNS0_4CopyIddEEEEEvT_T0_DpT1_ ; -- Begin function _ZN2at6native12_GLOBAL__N_125multi_tensor_apply_kernelINS1_18TensorListMetadataILi2EEENS1_14UnaryOpFunctorIdLi2ELi1ELi1EEEJNS0_4CopyIddEEEEEvT_T0_DpT1_
	.p2align	8
	.type	_ZN2at6native12_GLOBAL__N_125multi_tensor_apply_kernelINS1_18TensorListMetadataILi2EEENS1_14UnaryOpFunctorIdLi2ELi1ELi1EEEJNS0_4CopyIddEEEEEvT_T0_DpT1_,@function
_ZN2at6native12_GLOBAL__N_125multi_tensor_apply_kernelINS1_18TensorListMetadataILi2EEENS1_14UnaryOpFunctorIdLi2ELi1ELi1EEEJNS0_4CopyIddEEEEEvT_T0_DpT1_: ; @_ZN2at6native12_GLOBAL__N_125multi_tensor_apply_kernelINS1_18TensorListMetadataILi2EEENS1_14UnaryOpFunctorIdLi2ELi1ELi1EEEJNS0_4CopyIddEEEEEvT_T0_DpT1_
; %bb.0:
	v_mov_b32_e32 v1, s15
	s_add_u32 s2, s0, s15
	s_mul_hi_u32 s3, s15, 3
	s_mul_i32 s15, s15, 3
	s_addc_u32 s4, s1, 0
	global_load_u8 v1, v1, s[0:1] offset:1536
	s_add_u32 s2, s2, s15
	s_addc_u32 s3, s4, s3
	s_mov_b32 s17, 0
	s_load_b32 s2, s[2:3], 0x740
	s_mov_b32 s19, s17
	s_mov_b32 s21, s17
	s_waitcnt vmcnt(0)
	v_readfirstlane_b32 s5, v1
	s_delay_alu instid0(VALU_DEP_1)
	s_lshl_b32 s3, s5, 3
	s_clause 0x2
	s_load_b64 s[10:11], s[0:1], s3 offset:0x0
	s_load_b64 s[12:13], s[0:1], s3 offset:0x200
	;; [unrolled: 1-line block ×3, first 2 shown]
	s_waitcnt lgkmcnt(0)
	s_ashr_i32 s3, s2, 31
	s_delay_alu instid0(SALU_CYCLE_1) | instskip(NEXT) | instid1(SALU_CYCLE_1)
	s_lshl_b64 s[4:5], s[2:3], 19
	s_add_u32 s8, s10, s4
	s_addc_u32 s9, s11, s5
	s_and_b32 s16, s8, 31
	s_add_u32 s14, s12, s4
	s_addc_u32 s15, s13, s5
	s_and_b32 s18, s6, 3
	s_and_b32 s20, s14, 31
	s_or_b64 s[16:17], s[16:17], s[18:19]
	s_lshl_b64 s[2:3], s[2:3], 16
	s_or_b64 s[16:17], s[20:21], s[16:17]
	s_sub_u32 s6, s6, s2
	s_subb_u32 s7, s7, s3
	s_cmp_eq_u64 s[16:17], 0
	s_mov_b32 s2, -1
	s_cbranch_scc0 .LBB241_5
; %bb.1:
	v_dual_mov_b32 v2, 0 :: v_dual_lshlrev_b32 v1, 2, v0
	s_mov_b32 s16, exec_lo
	s_delay_alu instid0(VALU_DEP_1)
	v_cmpx_gt_i64_e64 s[6:7], v[1:2]
	s_cbranch_execz .LBB241_4
; %bb.2:
	s_load_b32 s2, s[0:1], 0xc5c
	v_lshlrev_b32_e32 v3, 5, v0
	s_mov_b32 s17, 0
	s_waitcnt lgkmcnt(0)
	s_and_b32 s2, s2, 0xffff
	s_delay_alu instid0(SALU_CYCLE_1)
	v_add_lshl_u32 v1, v0, s2, 2
	s_lshl_b32 s18, s2, 2
	s_lshl_b32 s19, s2, 5
	s_set_inst_prefetch_distance 0x1
	.p2align	6
.LBB241_3:                              ; =>This Inner Loop Header: Depth=1
	v_add_co_u32 v8, s2, s8, v3
	s_delay_alu instid0(VALU_DEP_1)
	v_add_co_ci_u32_e64 v9, null, s9, 0, s2
	v_cmp_le_i64_e32 vcc_lo, s[6:7], v[1:2]
	v_cmp_lt_u64_e64 s2, 0xffff, v[1:2]
	v_add_co_u32 v12, s3, s14, v3
	s_clause 0x1
	global_load_b128 v[4:7], v[8:9], off
	global_load_b128 v[8:11], v[8:9], off offset:16
	v_add_co_ci_u32_e64 v13, null, s15, 0, s3
	s_or_b32 s2, vcc_lo, s2
	s_add_u32 s8, s8, s19
	v_add_co_u32 v1, s3, v1, s18
	s_addc_u32 s9, s9, 0
	s_add_u32 s14, s14, s19
	v_add_co_ci_u32_e64 v2, s3, 0, v2, s3
	s_addc_u32 s15, s15, 0
	s_and_b32 s2, exec_lo, s2
	s_waitcnt vmcnt(1)
	global_store_b128 v[12:13], v[4:7], off
	s_waitcnt vmcnt(0)
	global_store_b128 v[12:13], v[8:11], off offset:16
	s_or_b32 s17, s2, s17
	s_delay_alu instid0(SALU_CYCLE_1)
	s_and_not1_b32 exec_lo, exec_lo, s17
	s_cbranch_execnz .LBB241_3
.LBB241_4:
	s_set_inst_prefetch_distance 0x2
	s_or_b32 exec_lo, exec_lo, s16
	s_mov_b32 s2, 0
.LBB241_5:
	s_delay_alu instid0(SALU_CYCLE_1)
	s_and_not1_b32 vcc_lo, exec_lo, s2
	s_cbranch_vccnz .LBB241_25
; %bb.6:
	v_cmp_lt_i64_e64 s2, s[6:7], 1
	s_delay_alu instid0(VALU_DEP_1)
	s_and_b32 vcc_lo, exec_lo, s2
	s_cbranch_vccnz .LBB241_25
; %bb.7:
	s_load_b32 s0, s[0:1], 0xc5c
	v_dual_mov_b32 v2, 0 :: v_dual_lshlrev_b32 v1, 3, v0
	v_cmp_gt_u64_e64 s1, 0x10000, s[6:7]
	s_delay_alu instid0(VALU_DEP_2) | instskip(NEXT) | instid1(VALU_DEP_1)
	v_add_co_u32 v9, s2, s10, v1
	v_add_co_ci_u32_e64 v10, null, s11, 0, s2
	v_add_co_u32 v11, s2, s12, v1
	s_delay_alu instid0(VALU_DEP_1)
	v_add_co_ci_u32_e64 v12, null, s13, 0, s2
	s_waitcnt lgkmcnt(0)
	s_and_b32 s0, s0, 0xffff
	s_and_b32 s1, s1, exec_lo
	v_mad_u64_u32 v[3:4], null, s0, 24, v[1:2]
	s_cselect_b32 s9, s7, 0
	s_cselect_b32 s8, s6, 0x10000
	s_lshl_b32 s3, s0, 4
	s_mul_i32 s2, s0, 3
	v_add_co_u32 v1, s3, s3, v1
	s_delay_alu instid0(VALU_DEP_2) | instskip(NEXT) | instid1(VALU_DEP_3)
	v_add_co_u32 v13, vcc_lo, s10, v3
	v_add_co_ci_u32_e32 v14, vcc_lo, s11, v4, vcc_lo
	v_add_co_u32 v17, s2, s2, v0
	v_add_co_u32 v15, vcc_lo, s12, v3
	v_add_co_ci_u32_e64 v2, null, 0, 0, s3
	v_add_co_ci_u32_e64 v18, null, 0, 0, s2
	v_add_co_u32 v21, s2, v0, s0
	v_add_co_ci_u32_e32 v16, vcc_lo, s13, v4, vcc_lo
	v_add_co_u32 v19, vcc_lo, s10, v1
	v_add_co_ci_u32_e32 v20, vcc_lo, s11, v2, vcc_lo
	v_add_co_u32 v22, vcc_lo, s12, v1
	v_lshlrev_b32_e32 v1, 3, v21
	s_lshl_b32 s1, s0, 1
	v_add_co_ci_u32_e32 v23, vcc_lo, s13, v2, vcc_lo
	v_add_co_u32 v25, s1, s1, v0
	s_delay_alu instid0(VALU_DEP_1) | instskip(SKIP_1) | instid1(VALU_DEP_1)
	v_add_co_ci_u32_e64 v26, null, 0, 0, s1
	v_add_co_u32 v27, s1, s10, v1
	v_add_co_ci_u32_e64 v28, null, s11, 0, s1
	v_add_co_u32 v29, s1, s12, v1
	v_add_co_ci_u32_e64 v24, null, 0, 0, s2
	v_add_co_ci_u32_e64 v30, null, s13, 0, s1
	s_lshl_b32 s12, s0, 2
	s_lshl_b32 s13, s0, 5
	s_mov_b64 s[10:11], 0
	s_branch .LBB241_9
.LBB241_8:                              ;   in Loop: Header=BB241_9 Depth=1
	s_or_b32 exec_lo, exec_lo, s0
	v_add_co_u32 v9, vcc_lo, v9, s13
	v_add_co_ci_u32_e32 v10, vcc_lo, 0, v10, vcc_lo
	v_add_co_u32 v11, vcc_lo, v11, s13
	v_add_co_ci_u32_e32 v12, vcc_lo, 0, v12, vcc_lo
	;; [unrolled: 2-line block ×5, first 2 shown]
	s_add_u32 s10, s10, s12
	v_add_co_u32 v22, vcc_lo, v22, s13
	s_addc_u32 s11, s11, 0
	v_add_co_ci_u32_e32 v23, vcc_lo, 0, v23, vcc_lo
	v_cmp_ge_i64_e64 s0, s[10:11], s[6:7]
	v_cmp_lt_u64_e64 s1, 0xffff, s[10:11]
	v_add_co_u32 v27, vcc_lo, v27, s13
	v_add_co_ci_u32_e32 v28, vcc_lo, 0, v28, vcc_lo
	v_add_co_u32 v29, vcc_lo, v29, s13
	v_add_co_ci_u32_e32 v30, vcc_lo, 0, v30, vcc_lo
	s_or_b32 s0, s0, s1
	s_delay_alu instid0(SALU_CYCLE_1)
	s_and_b32 vcc_lo, exec_lo, s0
	s_cbranch_vccnz .LBB241_25
.LBB241_9:                              ; =>This Inner Loop Header: Depth=1
	s_waitcnt vmcnt(0)
	v_add_co_u32 v3, s0, v0, s10
	s_delay_alu instid0(VALU_DEP_1) | instskip(SKIP_2) | instid1(VALU_DEP_3)
	v_add_co_ci_u32_e64 v4, null, 0, s11, s0
	v_mov_b32_e32 v1, 0
	v_mov_b32_e32 v2, 0
	v_cmp_gt_u64_e32 vcc_lo, s[8:9], v[3:4]
	s_delay_alu instid0(VALU_DEP_2)
	v_dual_mov_b32 v4, v2 :: v_dual_mov_b32 v3, v1
	s_and_saveexec_b32 s1, vcc_lo
	s_cbranch_execz .LBB241_11
; %bb.10:                               ;   in Loop: Header=BB241_9 Depth=1
	v_add_co_u32 v3, s0, v9, s4
	s_delay_alu instid0(VALU_DEP_1)
	v_add_co_ci_u32_e64 v4, s0, s5, v10, s0
	global_load_b64 v[3:4], v[3:4], off
.LBB241_11:                             ;   in Loop: Header=BB241_9 Depth=1
	s_or_b32 exec_lo, exec_lo, s1
	v_add_co_u32 v5, s0, v21, s10
	s_delay_alu instid0(VALU_DEP_1) | instskip(NEXT) | instid1(VALU_DEP_1)
	v_add_co_ci_u32_e64 v6, s0, s11, v24, s0
	v_cmp_gt_u64_e64 s0, s[8:9], v[5:6]
	s_delay_alu instid0(VALU_DEP_1)
	s_and_saveexec_b32 s2, s0
	s_cbranch_execz .LBB241_13
; %bb.12:                               ;   in Loop: Header=BB241_9 Depth=1
	v_add_co_u32 v1, s1, v27, s4
	s_delay_alu instid0(VALU_DEP_1)
	v_add_co_ci_u32_e64 v2, s1, s5, v28, s1
	global_load_b64 v[1:2], v[1:2], off
.LBB241_13:                             ;   in Loop: Header=BB241_9 Depth=1
	s_or_b32 exec_lo, exec_lo, s2
	v_add_co_u32 v7, s1, v25, s10
	s_delay_alu instid0(VALU_DEP_1) | instskip(SKIP_2) | instid1(VALU_DEP_3)
	v_add_co_ci_u32_e64 v8, s1, s11, v26, s1
	v_mov_b32_e32 v5, 0
	v_mov_b32_e32 v6, 0
	v_cmp_gt_u64_e64 s1, s[8:9], v[7:8]
	s_delay_alu instid0(VALU_DEP_2) | instskip(NEXT) | instid1(VALU_DEP_2)
	v_dual_mov_b32 v8, v6 :: v_dual_mov_b32 v7, v5
	s_and_saveexec_b32 s3, s1
	s_cbranch_execz .LBB241_15
; %bb.14:                               ;   in Loop: Header=BB241_9 Depth=1
	v_add_co_u32 v7, s2, v19, s4
	s_delay_alu instid0(VALU_DEP_1)
	v_add_co_ci_u32_e64 v8, s2, s5, v20, s2
	global_load_b64 v[7:8], v[7:8], off
.LBB241_15:                             ;   in Loop: Header=BB241_9 Depth=1
	s_or_b32 exec_lo, exec_lo, s3
	v_add_co_u32 v31, s2, v17, s10
	s_delay_alu instid0(VALU_DEP_1) | instskip(NEXT) | instid1(VALU_DEP_1)
	v_add_co_ci_u32_e64 v32, s2, s11, v18, s2
	v_cmp_gt_u64_e64 s2, s[8:9], v[31:32]
	s_delay_alu instid0(VALU_DEP_1)
	s_and_saveexec_b32 s14, s2
	s_cbranch_execnz .LBB241_20
; %bb.16:                               ;   in Loop: Header=BB241_9 Depth=1
	s_or_b32 exec_lo, exec_lo, s14
	s_and_saveexec_b32 s3, vcc_lo
	s_cbranch_execnz .LBB241_21
.LBB241_17:                             ;   in Loop: Header=BB241_9 Depth=1
	s_or_b32 exec_lo, exec_lo, s3
	s_and_saveexec_b32 s3, s0
	s_cbranch_execnz .LBB241_22
.LBB241_18:                             ;   in Loop: Header=BB241_9 Depth=1
	s_or_b32 exec_lo, exec_lo, s3
	s_and_saveexec_b32 s0, s1
	s_cbranch_execnz .LBB241_23
.LBB241_19:                             ;   in Loop: Header=BB241_9 Depth=1
	s_or_b32 exec_lo, exec_lo, s0
	s_and_saveexec_b32 s0, s2
	s_cbranch_execz .LBB241_8
	s_branch .LBB241_24
.LBB241_20:                             ;   in Loop: Header=BB241_9 Depth=1
	v_add_co_u32 v5, s3, v13, s4
	s_delay_alu instid0(VALU_DEP_1)
	v_add_co_ci_u32_e64 v6, s3, s5, v14, s3
	global_load_b64 v[5:6], v[5:6], off
	s_or_b32 exec_lo, exec_lo, s14
	s_and_saveexec_b32 s3, vcc_lo
	s_cbranch_execz .LBB241_17
.LBB241_21:                             ;   in Loop: Header=BB241_9 Depth=1
	v_add_co_u32 v31, vcc_lo, v11, s4
	v_add_co_ci_u32_e32 v32, vcc_lo, s5, v12, vcc_lo
	s_waitcnt vmcnt(0)
	global_store_b64 v[31:32], v[3:4], off
	s_or_b32 exec_lo, exec_lo, s3
	s_and_saveexec_b32 s3, s0
	s_cbranch_execz .LBB241_18
.LBB241_22:                             ;   in Loop: Header=BB241_9 Depth=1
	s_waitcnt vmcnt(0)
	v_add_co_u32 v3, vcc_lo, v29, s4
	v_add_co_ci_u32_e32 v4, vcc_lo, s5, v30, vcc_lo
	global_store_b64 v[3:4], v[1:2], off
	s_or_b32 exec_lo, exec_lo, s3
	s_and_saveexec_b32 s0, s1
	s_cbranch_execz .LBB241_19
.LBB241_23:                             ;   in Loop: Header=BB241_9 Depth=1
	s_waitcnt vmcnt(0)
	v_add_co_u32 v1, vcc_lo, v22, s4
	v_add_co_ci_u32_e32 v2, vcc_lo, s5, v23, vcc_lo
	global_store_b64 v[1:2], v[7:8], off
	s_or_b32 exec_lo, exec_lo, s0
	s_and_saveexec_b32 s0, s2
	s_cbranch_execz .LBB241_8
.LBB241_24:                             ;   in Loop: Header=BB241_9 Depth=1
	s_waitcnt vmcnt(0)
	v_add_co_u32 v1, vcc_lo, v15, s4
	v_add_co_ci_u32_e32 v2, vcc_lo, s5, v16, vcc_lo
	global_store_b64 v[1:2], v[5:6], off
	s_branch .LBB241_8
.LBB241_25:
	s_nop 0
	s_sendmsg sendmsg(MSG_DEALLOC_VGPRS)
	s_endpgm
	.section	.rodata,"a",@progbits
	.p2align	6, 0x0
	.amdhsa_kernel _ZN2at6native12_GLOBAL__N_125multi_tensor_apply_kernelINS1_18TensorListMetadataILi2EEENS1_14UnaryOpFunctorIdLi2ELi1ELi1EEEJNS0_4CopyIddEEEEEvT_T0_DpT1_
		.amdhsa_group_segment_fixed_size 0
		.amdhsa_private_segment_fixed_size 0
		.amdhsa_kernarg_size 3408
		.amdhsa_user_sgpr_count 15
		.amdhsa_user_sgpr_dispatch_ptr 0
		.amdhsa_user_sgpr_queue_ptr 0
		.amdhsa_user_sgpr_kernarg_segment_ptr 1
		.amdhsa_user_sgpr_dispatch_id 0
		.amdhsa_user_sgpr_private_segment_size 0
		.amdhsa_wavefront_size32 1
		.amdhsa_uses_dynamic_stack 0
		.amdhsa_enable_private_segment 0
		.amdhsa_system_sgpr_workgroup_id_x 1
		.amdhsa_system_sgpr_workgroup_id_y 0
		.amdhsa_system_sgpr_workgroup_id_z 0
		.amdhsa_system_sgpr_workgroup_info 0
		.amdhsa_system_vgpr_workitem_id 0
		.amdhsa_next_free_vgpr 33
		.amdhsa_next_free_sgpr 22
		.amdhsa_reserve_vcc 1
		.amdhsa_float_round_mode_32 0
		.amdhsa_float_round_mode_16_64 0
		.amdhsa_float_denorm_mode_32 3
		.amdhsa_float_denorm_mode_16_64 3
		.amdhsa_dx10_clamp 1
		.amdhsa_ieee_mode 1
		.amdhsa_fp16_overflow 0
		.amdhsa_workgroup_processor_mode 1
		.amdhsa_memory_ordered 1
		.amdhsa_forward_progress 0
		.amdhsa_shared_vgpr_count 0
		.amdhsa_exception_fp_ieee_invalid_op 0
		.amdhsa_exception_fp_denorm_src 0
		.amdhsa_exception_fp_ieee_div_zero 0
		.amdhsa_exception_fp_ieee_overflow 0
		.amdhsa_exception_fp_ieee_underflow 0
		.amdhsa_exception_fp_ieee_inexact 0
		.amdhsa_exception_int_div_zero 0
	.end_amdhsa_kernel
	.section	.text._ZN2at6native12_GLOBAL__N_125multi_tensor_apply_kernelINS1_18TensorListMetadataILi2EEENS1_14UnaryOpFunctorIdLi2ELi1ELi1EEEJNS0_4CopyIddEEEEEvT_T0_DpT1_,"axG",@progbits,_ZN2at6native12_GLOBAL__N_125multi_tensor_apply_kernelINS1_18TensorListMetadataILi2EEENS1_14UnaryOpFunctorIdLi2ELi1ELi1EEEJNS0_4CopyIddEEEEEvT_T0_DpT1_,comdat
.Lfunc_end241:
	.size	_ZN2at6native12_GLOBAL__N_125multi_tensor_apply_kernelINS1_18TensorListMetadataILi2EEENS1_14UnaryOpFunctorIdLi2ELi1ELi1EEEJNS0_4CopyIddEEEEEvT_T0_DpT1_, .Lfunc_end241-_ZN2at6native12_GLOBAL__N_125multi_tensor_apply_kernelINS1_18TensorListMetadataILi2EEENS1_14UnaryOpFunctorIdLi2ELi1ELi1EEEJNS0_4CopyIddEEEEEvT_T0_DpT1_
                                        ; -- End function
	.section	.AMDGPU.csdata,"",@progbits
; Kernel info:
; codeLenInByte = 1412
; NumSgprs: 24
; NumVgprs: 33
; ScratchSize: 0
; MemoryBound: 0
; FloatMode: 240
; IeeeMode: 1
; LDSByteSize: 0 bytes/workgroup (compile time only)
; SGPRBlocks: 2
; VGPRBlocks: 4
; NumSGPRsForWavesPerEU: 24
; NumVGPRsForWavesPerEU: 33
; Occupancy: 16
; WaveLimiterHint : 0
; COMPUTE_PGM_RSRC2:SCRATCH_EN: 0
; COMPUTE_PGM_RSRC2:USER_SGPR: 15
; COMPUTE_PGM_RSRC2:TRAP_HANDLER: 0
; COMPUTE_PGM_RSRC2:TGID_X_EN: 1
; COMPUTE_PGM_RSRC2:TGID_Y_EN: 0
; COMPUTE_PGM_RSRC2:TGID_Z_EN: 0
; COMPUTE_PGM_RSRC2:TIDIG_COMP_CNT: 0
	.section	.text._ZN2at6native12_GLOBAL__N_125multi_tensor_apply_kernelINS1_18TensorListMetadataILi2EEENS1_11CopyFunctorIdfLi2ELi1ELi1EEEJNS0_4CopyIdfEEEEEvT_T0_DpT1_,"axG",@progbits,_ZN2at6native12_GLOBAL__N_125multi_tensor_apply_kernelINS1_18TensorListMetadataILi2EEENS1_11CopyFunctorIdfLi2ELi1ELi1EEEJNS0_4CopyIdfEEEEEvT_T0_DpT1_,comdat
	.globl	_ZN2at6native12_GLOBAL__N_125multi_tensor_apply_kernelINS1_18TensorListMetadataILi2EEENS1_11CopyFunctorIdfLi2ELi1ELi1EEEJNS0_4CopyIdfEEEEEvT_T0_DpT1_ ; -- Begin function _ZN2at6native12_GLOBAL__N_125multi_tensor_apply_kernelINS1_18TensorListMetadataILi2EEENS1_11CopyFunctorIdfLi2ELi1ELi1EEEJNS0_4CopyIdfEEEEEvT_T0_DpT1_
	.p2align	8
	.type	_ZN2at6native12_GLOBAL__N_125multi_tensor_apply_kernelINS1_18TensorListMetadataILi2EEENS1_11CopyFunctorIdfLi2ELi1ELi1EEEJNS0_4CopyIdfEEEEEvT_T0_DpT1_,@function
_ZN2at6native12_GLOBAL__N_125multi_tensor_apply_kernelINS1_18TensorListMetadataILi2EEENS1_11CopyFunctorIdfLi2ELi1ELi1EEEJNS0_4CopyIdfEEEEEvT_T0_DpT1_: ; @_ZN2at6native12_GLOBAL__N_125multi_tensor_apply_kernelINS1_18TensorListMetadataILi2EEENS1_11CopyFunctorIdfLi2ELi1ELi1EEEJNS0_4CopyIdfEEEEEvT_T0_DpT1_
; %bb.0:
	v_mov_b32_e32 v1, s15
	s_add_u32 s2, s0, s15
	s_mul_hi_u32 s3, s15, 3
	s_mul_i32 s15, s15, 3
	s_addc_u32 s4, s1, 0
	global_load_u8 v1, v1, s[0:1] offset:1536
	s_add_u32 s2, s2, s15
	s_addc_u32 s3, s4, s3
	s_mov_b32 s15, 0
	s_load_b32 s8, s[2:3], 0x740
	s_waitcnt lgkmcnt(0)
	s_ashr_i32 s9, s8, 31
	s_delay_alu instid0(SALU_CYCLE_1) | instskip(SKIP_3) | instid1(VALU_DEP_1)
	s_lshl_b64 s[10:11], s[8:9], 18
	s_lshl_b64 s[16:17], s[8:9], 16
	s_waitcnt vmcnt(0)
	v_readfirstlane_b32 s5, v1
	s_lshl_b32 s4, s5, 3
	s_clause 0x2
	s_load_b64 s[2:3], s[0:1], s4 offset:0x0
	s_load_b64 s[6:7], s[0:1], s4 offset:0x200
	;; [unrolled: 1-line block ×3, first 2 shown]
	s_waitcnt lgkmcnt(0)
	s_add_u32 s12, s2, s10
	s_addc_u32 s13, s3, s11
	s_and_b32 s18, s6, 31
	s_and_b32 s19, s4, 3
	;; [unrolled: 1-line block ×3, first 2 shown]
	s_or_b32 s18, s19, s18
	s_mov_b32 s19, s15
	s_delay_alu instid0(SALU_CYCLE_1)
	s_or_b64 s[14:15], s[14:15], s[18:19]
	s_sub_u32 s4, s4, s16
	s_subb_u32 s5, s5, s17
	s_cmp_eq_u64 s[14:15], 0
	s_mov_b32 s14, -1
	s_cbranch_scc0 .LBB242_5
; %bb.1:
	v_dual_mov_b32 v2, 0 :: v_dual_lshlrev_b32 v1, 2, v0
	s_mov_b32 s14, exec_lo
	s_delay_alu instid0(VALU_DEP_1)
	v_cmpx_gt_i64_e64 s[4:5], v[1:2]
	s_cbranch_execz .LBB242_4
; %bb.2:
	s_load_b32 s15, s[0:1], 0xc5c
	v_lshlrev_b32_e32 v4, 5, v0
	v_lshlrev_b32_e32 v3, 4, v0
	s_waitcnt lgkmcnt(0)
	s_and_b32 s16, s15, 0xffff
	s_delay_alu instid0(SALU_CYCLE_1)
	s_lshl_b32 s15, s16, 2
	s_add_u32 s17, s2, s10
	s_addc_u32 s11, s3, s11
	s_lshl_b64 s[2:3], s[8:9], 19
	s_lshl_b32 s10, s16, 4
	s_add_u32 s2, s6, s2
	s_addc_u32 s3, s7, s3
	v_add_co_u32 v5, s2, s2, v4
	s_delay_alu instid0(VALU_DEP_1) | instskip(SKIP_1) | instid1(VALU_DEP_3)
	v_add_co_ci_u32_e64 v6, null, s3, 0, s2
	v_add_co_u32 v3, s2, s17, v3
	v_add_co_u32 v5, vcc_lo, v5, 16
	v_add_lshl_u32 v1, v0, s16, 2
	v_add_co_ci_u32_e64 v4, null, s11, 0, s2
	v_add_co_ci_u32_e32 v6, vcc_lo, 0, v6, vcc_lo
	s_mov_b32 s11, 0
	s_lshl_b32 s16, s16, 5
	.p2align	6
.LBB242_3:                              ; =>This Inner Loop Header: Depth=1
	global_load_b128 v[7:10], v[3:4], off
	v_cmp_le_i64_e32 vcc_lo, s[4:5], v[1:2]
	v_cmp_lt_u64_e64 s2, 0xffff, v[1:2]
	v_add_co_u32 v1, s3, v1, s15
	s_delay_alu instid0(VALU_DEP_1) | instskip(SKIP_1) | instid1(VALU_DEP_4)
	v_add_co_ci_u32_e64 v2, s3, 0, v2, s3
	v_add_co_u32 v3, s3, v3, s10
	s_or_b32 s2, vcc_lo, s2
	v_add_co_ci_u32_e64 v4, s3, 0, v4, s3
	s_and_b32 s2, exec_lo, s2
	s_delay_alu instid0(SALU_CYCLE_1)
	s_or_b32 s11, s2, s11
	s_waitcnt vmcnt(0)
	v_cvt_f64_f32_e32 v[11:12], v7
	v_cvt_f64_f32_e32 v[13:14], v8
	;; [unrolled: 1-line block ×4, first 2 shown]
	s_clause 0x1
	global_store_b128 v[5:6], v[11:14], off offset:-16
	global_store_b128 v[5:6], v[7:10], off
	v_add_co_u32 v5, vcc_lo, v5, s16
	v_add_co_ci_u32_e32 v6, vcc_lo, 0, v6, vcc_lo
	s_and_not1_b32 exec_lo, exec_lo, s11
	s_cbranch_execnz .LBB242_3
.LBB242_4:
	s_or_b32 exec_lo, exec_lo, s14
	s_mov_b32 s14, 0
.LBB242_5:
	s_delay_alu instid0(SALU_CYCLE_1)
	s_and_not1_b32 vcc_lo, exec_lo, s14
	s_cbranch_vccnz .LBB242_25
; %bb.6:
	v_cmp_lt_i64_e64 s2, s[4:5], 1
	s_delay_alu instid0(VALU_DEP_1)
	s_and_b32 vcc_lo, exec_lo, s2
	s_cbranch_vccnz .LBB242_25
; %bb.7:
	s_load_b32 s0, s[0:1], 0xc5c
	v_cmp_gt_u64_e64 s1, 0x10000, s[4:5]
	v_dual_mov_b32 v2, 0 :: v_dual_lshlrev_b32 v5, 3, v0
	v_lshlrev_b32_e32 v1, 2, v0
                                        ; implicit-def: $vgpr25
                                        ; implicit-def: $vgpr26
                                        ; implicit-def: $vgpr27
                                        ; implicit-def: $vgpr28
	s_waitcnt lgkmcnt(0)
	s_and_b32 s0, s0, 0xffff
	s_delay_alu instid0(VALU_DEP_3)
	s_and_b32 s1, s1, exec_lo
	s_cselect_b32 s3, s5, 0
	s_cselect_b32 s2, s4, 0x10000
	s_lshl_b64 s[8:9], s[8:9], 19
	s_lshl_b32 s11, s0, 1
	s_lshl_b32 s1, s0, 2
	;; [unrolled: 1-line block ×3, first 2 shown]
	s_add_u32 s6, s6, s8
	s_addc_u32 s7, s7, s9
	v_add_co_u32 v5, s9, s6, v5
	s_delay_alu instid0(VALU_DEP_1) | instskip(SKIP_4) | instid1(VALU_DEP_3)
	v_add_co_ci_u32_e64 v6, null, s7, 0, s9
	v_add_co_u32 v18, s9, v0, s0
	s_mul_i32 s14, s0, 3
	v_mad_u64_u32 v[3:4], null, s0, 12, v[1:2]
	v_add_co_u32 v2, s8, s14, v0
	v_lshlrev_b32_e32 v7, 3, v18
	v_add_co_ci_u32_e64 v17, null, 0, 0, s8
	s_lshl_b32 s8, s0, 3
	v_add_co_ci_u32_e64 v21, null, 0, 0, s9
	v_add_co_u32 v19, s8, s8, v1
	s_delay_alu instid0(VALU_DEP_1)
	v_add_co_ci_u32_e64 v20, null, 0, 0, s8
	v_add_co_u32 v22, s8, s11, v0
	v_add_co_u32 v7, s6, s6, v7
	v_add_co_ci_u32_e64 v23, null, 0, 0, s8
	v_lshlrev_b32_e32 v24, 2, v18
	v_add_co_ci_u32_e64 v8, null, s7, 0, s6
	s_lshl_b32 s8, s0, 5
	s_mul_i32 s9, s0, 24
	s_mov_b64 s[6:7], 0
	s_branch .LBB242_9
.LBB242_8:                              ;   in Loop: Header=BB242_9 Depth=1
	s_or_b32 exec_lo, exec_lo, s0
	s_add_u32 s6, s6, s1
	s_addc_u32 s7, s7, 0
	v_add_co_u32 v5, vcc_lo, v5, s8
	v_cmp_ge_i64_e64 s0, s[6:7], s[4:5]
	v_cmp_lt_u64_e64 s11, 0xffff, s[6:7]
	v_add_co_ci_u32_e32 v6, vcc_lo, 0, v6, vcc_lo
	v_add_co_u32 v7, vcc_lo, v7, s8
	v_add_co_ci_u32_e32 v8, vcc_lo, 0, v8, vcc_lo
	s_delay_alu instid0(VALU_DEP_4)
	s_or_b32 s0, s0, s11
	s_add_u32 s12, s12, s10
	s_addc_u32 s13, s13, 0
	s_and_b32 vcc_lo, exec_lo, s0
	s_cbranch_vccnz .LBB242_25
.LBB242_9:                              ; =>This Inner Loop Header: Depth=1
	v_add_co_u32 v9, s0, v0, s6
	s_delay_alu instid0(VALU_DEP_1) | instskip(NEXT) | instid1(VALU_DEP_1)
	v_add_co_ci_u32_e64 v10, null, 0, s7, s0
	v_cmp_gt_i64_e32 vcc_lo, s[4:5], v[9:10]
	v_cmp_gt_u64_e64 s0, 0x10000, v[9:10]
	s_delay_alu instid0(VALU_DEP_1) | instskip(NEXT) | instid1(SALU_CYCLE_1)
	s_and_b32 s11, vcc_lo, s0
	s_and_saveexec_b32 s0, s11
	s_cbranch_execz .LBB242_11
; %bb.10:                               ;   in Loop: Header=BB242_9 Depth=1
	v_add_co_u32 v11, s11, s12, v1
	s_delay_alu instid0(VALU_DEP_1)
	v_add_co_ci_u32_e64 v12, null, s13, 0, s11
	global_load_b32 v28, v[11:12], off
.LBB242_11:                             ;   in Loop: Header=BB242_9 Depth=1
	s_or_b32 exec_lo, exec_lo, s0
	v_add_co_u32 v11, vcc_lo, v18, s6
	v_add_co_ci_u32_e32 v12, vcc_lo, s7, v21, vcc_lo
	s_delay_alu instid0(VALU_DEP_1) | instskip(SKIP_1) | instid1(VALU_DEP_1)
	v_cmp_gt_i64_e32 vcc_lo, s[4:5], v[11:12]
	v_cmp_gt_u64_e64 s0, 0x10000, v[11:12]
	s_and_b32 s11, vcc_lo, s0
	s_delay_alu instid0(SALU_CYCLE_1)
	s_and_saveexec_b32 s0, s11
	s_cbranch_execz .LBB242_13
; %bb.12:                               ;   in Loop: Header=BB242_9 Depth=1
	v_add_co_u32 v13, s11, s12, v24
	s_delay_alu instid0(VALU_DEP_1)
	v_add_co_ci_u32_e64 v14, null, s13, 0, s11
	global_load_b32 v27, v[13:14], off
.LBB242_13:                             ;   in Loop: Header=BB242_9 Depth=1
	s_or_b32 exec_lo, exec_lo, s0
	v_add_co_u32 v13, vcc_lo, v22, s6
	v_add_co_ci_u32_e32 v14, vcc_lo, s7, v23, vcc_lo
	s_delay_alu instid0(VALU_DEP_1) | instskip(SKIP_1) | instid1(VALU_DEP_1)
	v_cmp_gt_i64_e32 vcc_lo, s[4:5], v[13:14]
	v_cmp_gt_u64_e64 s0, 0x10000, v[13:14]
	s_and_b32 s11, vcc_lo, s0
	s_delay_alu instid0(SALU_CYCLE_1)
	s_and_saveexec_b32 s0, s11
	s_cbranch_execz .LBB242_15
; %bb.14:                               ;   in Loop: Header=BB242_9 Depth=1
	v_add_co_u32 v15, vcc_lo, s12, v19
	v_add_co_ci_u32_e32 v16, vcc_lo, s13, v20, vcc_lo
	global_load_b32 v26, v[15:16], off
.LBB242_15:                             ;   in Loop: Header=BB242_9 Depth=1
	s_or_b32 exec_lo, exec_lo, s0
	v_add_co_u32 v15, vcc_lo, v2, s6
	v_add_co_ci_u32_e32 v16, vcc_lo, s7, v17, vcc_lo
	s_delay_alu instid0(VALU_DEP_1) | instskip(SKIP_1) | instid1(VALU_DEP_1)
	v_cmp_gt_i64_e32 vcc_lo, s[4:5], v[15:16]
	v_cmp_gt_u64_e64 s0, 0x10000, v[15:16]
	s_and_b32 s11, vcc_lo, s0
	s_delay_alu instid0(SALU_CYCLE_1)
	s_and_saveexec_b32 s0, s11
	s_cbranch_execnz .LBB242_20
; %bb.16:                               ;   in Loop: Header=BB242_9 Depth=1
	s_or_b32 exec_lo, exec_lo, s0
	s_delay_alu instid0(SALU_CYCLE_1)
	s_mov_b32 s0, exec_lo
	v_cmpx_gt_u64_e64 s[2:3], v[9:10]
	s_cbranch_execnz .LBB242_21
.LBB242_17:                             ;   in Loop: Header=BB242_9 Depth=1
	s_or_b32 exec_lo, exec_lo, s0
	s_delay_alu instid0(SALU_CYCLE_1)
	s_mov_b32 s0, exec_lo
	v_cmpx_gt_u64_e64 s[2:3], v[11:12]
	s_cbranch_execnz .LBB242_22
.LBB242_18:                             ;   in Loop: Header=BB242_9 Depth=1
	s_or_b32 exec_lo, exec_lo, s0
	s_delay_alu instid0(SALU_CYCLE_1)
	s_mov_b32 s0, exec_lo
	v_cmpx_gt_u64_e64 s[2:3], v[13:14]
	s_cbranch_execnz .LBB242_23
.LBB242_19:                             ;   in Loop: Header=BB242_9 Depth=1
	s_or_b32 exec_lo, exec_lo, s0
	s_delay_alu instid0(SALU_CYCLE_1)
	s_mov_b32 s0, exec_lo
	v_cmpx_gt_u64_e64 s[2:3], v[15:16]
	s_cbranch_execz .LBB242_8
	s_branch .LBB242_24
.LBB242_20:                             ;   in Loop: Header=BB242_9 Depth=1
	v_add_co_u32 v29, vcc_lo, s12, v3
	v_add_co_ci_u32_e32 v30, vcc_lo, s13, v4, vcc_lo
	global_load_b32 v25, v[29:30], off
	s_or_b32 exec_lo, exec_lo, s0
	s_delay_alu instid0(SALU_CYCLE_1)
	s_mov_b32 s0, exec_lo
	v_cmpx_gt_u64_e64 s[2:3], v[9:10]
	s_cbranch_execz .LBB242_17
.LBB242_21:                             ;   in Loop: Header=BB242_9 Depth=1
	s_waitcnt vmcnt(0)
	v_cvt_f64_f32_e32 v[9:10], v28
	global_store_b64 v[5:6], v[9:10], off
	s_or_b32 exec_lo, exec_lo, s0
	s_delay_alu instid0(SALU_CYCLE_1)
	s_mov_b32 s0, exec_lo
	v_cmpx_gt_u64_e64 s[2:3], v[11:12]
	s_cbranch_execz .LBB242_18
.LBB242_22:                             ;   in Loop: Header=BB242_9 Depth=1
	s_waitcnt vmcnt(0)
	v_cvt_f64_f32_e32 v[9:10], v27
	global_store_b64 v[7:8], v[9:10], off
	s_or_b32 exec_lo, exec_lo, s0
	s_delay_alu instid0(SALU_CYCLE_1)
	s_mov_b32 s0, exec_lo
	v_cmpx_gt_u64_e64 s[2:3], v[13:14]
	s_cbranch_execz .LBB242_19
.LBB242_23:                             ;   in Loop: Header=BB242_9 Depth=1
	s_waitcnt vmcnt(0)
	v_cvt_f64_f32_e32 v[9:10], v26
	v_add_co_u32 v11, vcc_lo, v5, s10
	v_add_co_ci_u32_e32 v12, vcc_lo, 0, v6, vcc_lo
	global_store_b64 v[11:12], v[9:10], off
	s_or_b32 exec_lo, exec_lo, s0
	s_delay_alu instid0(SALU_CYCLE_1)
	s_mov_b32 s0, exec_lo
	v_cmpx_gt_u64_e64 s[2:3], v[15:16]
	s_cbranch_execz .LBB242_8
.LBB242_24:                             ;   in Loop: Header=BB242_9 Depth=1
	s_waitcnt vmcnt(0)
	v_cvt_f64_f32_e32 v[9:10], v25
	v_add_co_u32 v11, vcc_lo, v5, s9
	v_add_co_ci_u32_e32 v12, vcc_lo, 0, v6, vcc_lo
	global_store_b64 v[11:12], v[9:10], off
	s_branch .LBB242_8
.LBB242_25:
	s_nop 0
	s_sendmsg sendmsg(MSG_DEALLOC_VGPRS)
	s_endpgm
	.section	.rodata,"a",@progbits
	.p2align	6, 0x0
	.amdhsa_kernel _ZN2at6native12_GLOBAL__N_125multi_tensor_apply_kernelINS1_18TensorListMetadataILi2EEENS1_11CopyFunctorIdfLi2ELi1ELi1EEEJNS0_4CopyIdfEEEEEvT_T0_DpT1_
		.amdhsa_group_segment_fixed_size 0
		.amdhsa_private_segment_fixed_size 0
		.amdhsa_kernarg_size 3408
		.amdhsa_user_sgpr_count 15
		.amdhsa_user_sgpr_dispatch_ptr 0
		.amdhsa_user_sgpr_queue_ptr 0
		.amdhsa_user_sgpr_kernarg_segment_ptr 1
		.amdhsa_user_sgpr_dispatch_id 0
		.amdhsa_user_sgpr_private_segment_size 0
		.amdhsa_wavefront_size32 1
		.amdhsa_uses_dynamic_stack 0
		.amdhsa_enable_private_segment 0
		.amdhsa_system_sgpr_workgroup_id_x 1
		.amdhsa_system_sgpr_workgroup_id_y 0
		.amdhsa_system_sgpr_workgroup_id_z 0
		.amdhsa_system_sgpr_workgroup_info 0
		.amdhsa_system_vgpr_workitem_id 0
		.amdhsa_next_free_vgpr 31
		.amdhsa_next_free_sgpr 20
		.amdhsa_reserve_vcc 1
		.amdhsa_float_round_mode_32 0
		.amdhsa_float_round_mode_16_64 0
		.amdhsa_float_denorm_mode_32 3
		.amdhsa_float_denorm_mode_16_64 3
		.amdhsa_dx10_clamp 1
		.amdhsa_ieee_mode 1
		.amdhsa_fp16_overflow 0
		.amdhsa_workgroup_processor_mode 1
		.amdhsa_memory_ordered 1
		.amdhsa_forward_progress 0
		.amdhsa_shared_vgpr_count 0
		.amdhsa_exception_fp_ieee_invalid_op 0
		.amdhsa_exception_fp_denorm_src 0
		.amdhsa_exception_fp_ieee_div_zero 0
		.amdhsa_exception_fp_ieee_overflow 0
		.amdhsa_exception_fp_ieee_underflow 0
		.amdhsa_exception_fp_ieee_inexact 0
		.amdhsa_exception_int_div_zero 0
	.end_amdhsa_kernel
	.section	.text._ZN2at6native12_GLOBAL__N_125multi_tensor_apply_kernelINS1_18TensorListMetadataILi2EEENS1_11CopyFunctorIdfLi2ELi1ELi1EEEJNS0_4CopyIdfEEEEEvT_T0_DpT1_,"axG",@progbits,_ZN2at6native12_GLOBAL__N_125multi_tensor_apply_kernelINS1_18TensorListMetadataILi2EEENS1_11CopyFunctorIdfLi2ELi1ELi1EEEJNS0_4CopyIdfEEEEEvT_T0_DpT1_,comdat
.Lfunc_end242:
	.size	_ZN2at6native12_GLOBAL__N_125multi_tensor_apply_kernelINS1_18TensorListMetadataILi2EEENS1_11CopyFunctorIdfLi2ELi1ELi1EEEJNS0_4CopyIdfEEEEEvT_T0_DpT1_, .Lfunc_end242-_ZN2at6native12_GLOBAL__N_125multi_tensor_apply_kernelINS1_18TensorListMetadataILi2EEENS1_11CopyFunctorIdfLi2ELi1ELi1EEEJNS0_4CopyIdfEEEEEvT_T0_DpT1_
                                        ; -- End function
	.section	.AMDGPU.csdata,"",@progbits
; Kernel info:
; codeLenInByte = 1412
; NumSgprs: 22
; NumVgprs: 31
; ScratchSize: 0
; MemoryBound: 0
; FloatMode: 240
; IeeeMode: 1
; LDSByteSize: 0 bytes/workgroup (compile time only)
; SGPRBlocks: 2
; VGPRBlocks: 3
; NumSGPRsForWavesPerEU: 22
; NumVGPRsForWavesPerEU: 31
; Occupancy: 16
; WaveLimiterHint : 0
; COMPUTE_PGM_RSRC2:SCRATCH_EN: 0
; COMPUTE_PGM_RSRC2:USER_SGPR: 15
; COMPUTE_PGM_RSRC2:TRAP_HANDLER: 0
; COMPUTE_PGM_RSRC2:TGID_X_EN: 1
; COMPUTE_PGM_RSRC2:TGID_Y_EN: 0
; COMPUTE_PGM_RSRC2:TGID_Z_EN: 0
; COMPUTE_PGM_RSRC2:TIDIG_COMP_CNT: 0
	.section	.text._ZN2at6native12_GLOBAL__N_125multi_tensor_apply_kernelINS1_18TensorListMetadataILi2EEENS1_11CopyFunctorIdN3c107complexIdEELi2ELi1ELi1EEEJNS0_4CopyIdS8_EEEEEvT_T0_DpT1_,"axG",@progbits,_ZN2at6native12_GLOBAL__N_125multi_tensor_apply_kernelINS1_18TensorListMetadataILi2EEENS1_11CopyFunctorIdN3c107complexIdEELi2ELi1ELi1EEEJNS0_4CopyIdS8_EEEEEvT_T0_DpT1_,comdat
	.globl	_ZN2at6native12_GLOBAL__N_125multi_tensor_apply_kernelINS1_18TensorListMetadataILi2EEENS1_11CopyFunctorIdN3c107complexIdEELi2ELi1ELi1EEEJNS0_4CopyIdS8_EEEEEvT_T0_DpT1_ ; -- Begin function _ZN2at6native12_GLOBAL__N_125multi_tensor_apply_kernelINS1_18TensorListMetadataILi2EEENS1_11CopyFunctorIdN3c107complexIdEELi2ELi1ELi1EEEJNS0_4CopyIdS8_EEEEEvT_T0_DpT1_
	.p2align	8
	.type	_ZN2at6native12_GLOBAL__N_125multi_tensor_apply_kernelINS1_18TensorListMetadataILi2EEENS1_11CopyFunctorIdN3c107complexIdEELi2ELi1ELi1EEEJNS0_4CopyIdS8_EEEEEvT_T0_DpT1_,@function
_ZN2at6native12_GLOBAL__N_125multi_tensor_apply_kernelINS1_18TensorListMetadataILi2EEENS1_11CopyFunctorIdN3c107complexIdEELi2ELi1ELi1EEEJNS0_4CopyIdS8_EEEEEvT_T0_DpT1_: ; @_ZN2at6native12_GLOBAL__N_125multi_tensor_apply_kernelINS1_18TensorListMetadataILi2EEENS1_11CopyFunctorIdN3c107complexIdEELi2ELi1ELi1EEEJNS0_4CopyIdS8_EEEEEvT_T0_DpT1_
; %bb.0:
	v_mov_b32_e32 v1, s15
	s_add_u32 s2, s0, s15
	s_mul_hi_u32 s3, s15, 3
	s_mul_i32 s15, s15, 3
	s_addc_u32 s4, s1, 0
	global_load_u8 v1, v1, s[0:1] offset:1536
	s_add_u32 s2, s2, s15
	s_addc_u32 s3, s4, s3
	s_mov_b32 s15, 0
	s_load_b32 s8, s[2:3], 0x740
	s_waitcnt lgkmcnt(0)
	s_ashr_i32 s9, s8, 31
	s_delay_alu instid0(SALU_CYCLE_1) | instskip(SKIP_3) | instid1(VALU_DEP_1)
	s_lshl_b64 s[10:11], s[8:9], 20
	s_lshl_b64 s[16:17], s[8:9], 16
	s_waitcnt vmcnt(0)
	v_readfirstlane_b32 s5, v1
	s_lshl_b32 s4, s5, 3
	s_clause 0x2
	s_load_b64 s[2:3], s[0:1], s4 offset:0x0
	s_load_b64 s[6:7], s[0:1], s4 offset:0x200
	;; [unrolled: 1-line block ×3, first 2 shown]
	s_waitcnt lgkmcnt(0)
	s_add_u32 s12, s2, s10
	s_addc_u32 s13, s3, s11
	s_and_b32 s18, s6, 31
	s_and_b32 s19, s4, 3
	;; [unrolled: 1-line block ×3, first 2 shown]
	s_or_b32 s18, s19, s18
	s_mov_b32 s19, s15
	s_delay_alu instid0(SALU_CYCLE_1)
	s_or_b64 s[14:15], s[14:15], s[18:19]
	s_sub_u32 s4, s4, s16
	s_subb_u32 s5, s5, s17
	s_cmp_eq_u64 s[14:15], 0
	s_mov_b32 s14, -1
	s_cbranch_scc0 .LBB243_5
; %bb.1:
	v_dual_mov_b32 v2, 0 :: v_dual_lshlrev_b32 v1, 2, v0
	s_mov_b32 s14, exec_lo
	s_delay_alu instid0(VALU_DEP_1)
	v_cmpx_gt_i64_e64 s[4:5], v[1:2]
	s_cbranch_execz .LBB243_4
; %bb.2:
	s_load_b32 s15, s[0:1], 0xc5c
	v_lshlrev_b32_e32 v4, 5, v0
	v_lshlrev_b32_e32 v3, 6, v0
	s_waitcnt lgkmcnt(0)
	s_and_b32 s16, s15, 0xffff
	s_delay_alu instid0(SALU_CYCLE_1)
	s_lshl_b32 s15, s16, 2
	s_add_u32 s17, s2, s10
	s_addc_u32 s11, s3, s11
	s_lshl_b64 s[2:3], s[8:9], 19
	s_lshl_b32 s10, s16, 6
	s_add_u32 s2, s6, s2
	s_addc_u32 s3, s7, s3
	v_add_co_u32 v5, s2, s2, v4
	s_delay_alu instid0(VALU_DEP_1) | instskip(SKIP_1) | instid1(VALU_DEP_3)
	v_add_co_ci_u32_e64 v6, null, s3, 0, s2
	v_add_co_u32 v3, s2, s17, v3
	v_add_co_u32 v5, vcc_lo, v5, 16
	v_add_lshl_u32 v1, v0, s16, 2
	v_add_co_ci_u32_e64 v4, null, s11, 0, s2
	v_add_co_ci_u32_e32 v6, vcc_lo, 0, v6, vcc_lo
	s_mov_b32 s11, 0
	s_lshl_b32 s16, s16, 5
	.p2align	6
.LBB243_3:                              ; =>This Inner Loop Header: Depth=1
	s_clause 0x3
	global_load_b64 v[7:8], v[3:4], off
	global_load_b64 v[9:10], v[3:4], off offset:16
	global_load_b64 v[11:12], v[3:4], off offset:32
	;; [unrolled: 1-line block ×3, first 2 shown]
	v_cmp_le_i64_e32 vcc_lo, s[4:5], v[1:2]
	v_cmp_lt_u64_e64 s2, 0xffff, v[1:2]
	v_add_co_u32 v1, s3, v1, s15
	s_delay_alu instid0(VALU_DEP_1) | instskip(SKIP_1) | instid1(VALU_DEP_4)
	v_add_co_ci_u32_e64 v2, s3, 0, v2, s3
	v_add_co_u32 v3, s3, v3, s10
	s_or_b32 s2, vcc_lo, s2
	v_add_co_ci_u32_e64 v4, s3, 0, v4, s3
	s_and_b32 s2, exec_lo, s2
	s_waitcnt vmcnt(2)
	global_store_b128 v[5:6], v[7:10], off offset:-16
	s_waitcnt vmcnt(0)
	global_store_b128 v[5:6], v[11:14], off
	v_add_co_u32 v5, vcc_lo, v5, s16
	v_add_co_ci_u32_e32 v6, vcc_lo, 0, v6, vcc_lo
	s_or_b32 s11, s2, s11
	s_delay_alu instid0(SALU_CYCLE_1)
	s_and_not1_b32 exec_lo, exec_lo, s11
	s_cbranch_execnz .LBB243_3
.LBB243_4:
	s_or_b32 exec_lo, exec_lo, s14
	s_mov_b32 s14, 0
.LBB243_5:
	s_delay_alu instid0(SALU_CYCLE_1)
	s_and_not1_b32 vcc_lo, exec_lo, s14
	s_cbranch_vccnz .LBB243_25
; %bb.6:
	v_cmp_lt_i64_e64 s2, s[4:5], 1
	s_delay_alu instid0(VALU_DEP_1)
	s_and_b32 vcc_lo, exec_lo, s2
	s_cbranch_vccnz .LBB243_25
; %bb.7:
	s_load_b32 s0, s[0:1], 0xc5c
	v_cmp_gt_u64_e64 s1, 0x10000, s[4:5]
	v_lshlrev_b32_e32 v5, 3, v0
	v_mov_b32_e32 v9, 0
	v_mov_b32_e32 v10, 0
	v_dual_mov_b32 v2, 0 :: v_dual_lshlrev_b32 v1, 4, v0
	s_delay_alu instid0(VALU_DEP_2)
	v_dual_mov_b32 v12, v10 :: v_dual_mov_b32 v11, v9
	v_dual_mov_b32 v14, v10 :: v_dual_mov_b32 v13, v9
	;; [unrolled: 1-line block ×3, first 2 shown]
	s_waitcnt lgkmcnt(0)
	s_and_b32 s0, s0, 0xffff
	s_and_b32 s1, s1, exec_lo
	s_cselect_b32 s3, s5, 0
	s_cselect_b32 s2, s4, 0x10000
	s_lshl_b64 s[8:9], s[8:9], 19
	s_lshl_b32 s11, s0, 1
	s_lshl_b32 s1, s0, 2
	;; [unrolled: 1-line block ×3, first 2 shown]
	s_add_u32 s6, s6, s8
	s_addc_u32 s7, s7, s9
	v_add_co_u32 v5, s9, s6, v5
	s_delay_alu instid0(VALU_DEP_1) | instskip(SKIP_3) | instid1(VALU_DEP_2)
	v_add_co_ci_u32_e64 v6, null, s7, 0, s9
	v_add_co_u32 v26, s9, v0, s0
	s_mul_i32 s14, s0, 3
	v_mad_u64_u32 v[3:4], null, s0, 48, v[1:2]
	v_lshlrev_b32_e32 v7, 3, v26
	v_add_co_u32 v2, s8, s14, v0
	s_delay_alu instid0(VALU_DEP_1)
	v_add_co_ci_u32_e64 v25, null, 0, 0, s8
	s_lshl_b32 s8, s0, 5
	v_add_co_ci_u32_e64 v29, null, 0, 0, s9
	v_add_co_u32 v27, s14, s8, v1
	v_add_co_u32 v30, s9, s11, v0
	;; [unrolled: 1-line block ×3, first 2 shown]
	v_add_co_ci_u32_e64 v28, null, 0, 0, s14
	v_add_co_ci_u32_e64 v31, null, 0, 0, s9
	v_lshlrev_b32_e32 v32, 4, v26
	v_add_co_ci_u32_e64 v8, null, s7, 0, s6
	s_mul_i32 s9, s0, 24
	s_lshl_b32 s11, s0, 4
	s_mov_b64 s[6:7], 0
	s_branch .LBB243_9
.LBB243_8:                              ;   in Loop: Header=BB243_9 Depth=1
	s_or_b32 exec_lo, exec_lo, s0
	s_add_u32 s6, s6, s1
	s_addc_u32 s7, s7, 0
	v_add_co_u32 v5, vcc_lo, v5, s8
	v_cmp_ge_i64_e64 s0, s[6:7], s[4:5]
	v_cmp_lt_u64_e64 s14, 0xffff, s[6:7]
	v_add_co_ci_u32_e32 v6, vcc_lo, 0, v6, vcc_lo
	v_add_co_u32 v7, vcc_lo, v7, s8
	v_add_co_ci_u32_e32 v8, vcc_lo, 0, v8, vcc_lo
	s_delay_alu instid0(VALU_DEP_4)
	s_or_b32 s0, s0, s14
	s_add_u32 s12, s12, s10
	s_addc_u32 s13, s13, 0
	s_and_b32 vcc_lo, exec_lo, s0
	s_cbranch_vccnz .LBB243_25
.LBB243_9:                              ; =>This Inner Loop Header: Depth=1
	v_add_co_u32 v17, s0, v0, s6
	s_delay_alu instid0(VALU_DEP_1) | instskip(NEXT) | instid1(VALU_DEP_1)
	v_add_co_ci_u32_e64 v18, null, 0, s7, s0
	v_cmp_gt_i64_e32 vcc_lo, s[4:5], v[17:18]
	v_cmp_gt_u64_e64 s0, 0x10000, v[17:18]
	s_delay_alu instid0(VALU_DEP_1) | instskip(NEXT) | instid1(SALU_CYCLE_1)
	s_and_b32 s14, vcc_lo, s0
	s_and_saveexec_b32 s0, s14
	s_cbranch_execz .LBB243_11
; %bb.10:                               ;   in Loop: Header=BB243_9 Depth=1
	s_waitcnt vmcnt(0)
	v_add_co_u32 v15, s14, s12, v1
	s_delay_alu instid0(VALU_DEP_1)
	v_add_co_ci_u32_e64 v16, null, s13, 0, s14
	global_load_b64 v[15:16], v[15:16], off
.LBB243_11:                             ;   in Loop: Header=BB243_9 Depth=1
	s_or_b32 exec_lo, exec_lo, s0
	v_add_co_u32 v19, vcc_lo, v26, s6
	v_add_co_ci_u32_e32 v20, vcc_lo, s7, v29, vcc_lo
	s_delay_alu instid0(VALU_DEP_1) | instskip(SKIP_1) | instid1(VALU_DEP_1)
	v_cmp_gt_i64_e32 vcc_lo, s[4:5], v[19:20]
	v_cmp_gt_u64_e64 s0, 0x10000, v[19:20]
	s_and_b32 s14, vcc_lo, s0
	s_delay_alu instid0(SALU_CYCLE_1)
	s_and_saveexec_b32 s0, s14
	s_cbranch_execz .LBB243_13
; %bb.12:                               ;   in Loop: Header=BB243_9 Depth=1
	s_waitcnt vmcnt(0)
	v_add_co_u32 v13, s14, s12, v32
	s_delay_alu instid0(VALU_DEP_1)
	v_add_co_ci_u32_e64 v14, null, s13, 0, s14
	global_load_b64 v[13:14], v[13:14], off
.LBB243_13:                             ;   in Loop: Header=BB243_9 Depth=1
	s_or_b32 exec_lo, exec_lo, s0
	v_add_co_u32 v21, vcc_lo, v30, s6
	v_add_co_ci_u32_e32 v22, vcc_lo, s7, v31, vcc_lo
	s_delay_alu instid0(VALU_DEP_1) | instskip(SKIP_1) | instid1(VALU_DEP_1)
	v_cmp_gt_i64_e32 vcc_lo, s[4:5], v[21:22]
	v_cmp_gt_u64_e64 s0, 0x10000, v[21:22]
	s_and_b32 s14, vcc_lo, s0
	s_delay_alu instid0(SALU_CYCLE_1)
	s_and_saveexec_b32 s0, s14
	s_cbranch_execz .LBB243_15
; %bb.14:                               ;   in Loop: Header=BB243_9 Depth=1
	s_waitcnt vmcnt(0)
	v_add_co_u32 v11, vcc_lo, s12, v27
	v_add_co_ci_u32_e32 v12, vcc_lo, s13, v28, vcc_lo
	global_load_b64 v[11:12], v[11:12], off
.LBB243_15:                             ;   in Loop: Header=BB243_9 Depth=1
	s_or_b32 exec_lo, exec_lo, s0
	v_add_co_u32 v23, vcc_lo, v2, s6
	v_add_co_ci_u32_e32 v24, vcc_lo, s7, v25, vcc_lo
	s_delay_alu instid0(VALU_DEP_1) | instskip(SKIP_1) | instid1(VALU_DEP_1)
	v_cmp_gt_i64_e32 vcc_lo, s[4:5], v[23:24]
	v_cmp_gt_u64_e64 s0, 0x10000, v[23:24]
	s_and_b32 s14, vcc_lo, s0
	s_delay_alu instid0(SALU_CYCLE_1)
	s_and_saveexec_b32 s0, s14
	s_cbranch_execnz .LBB243_20
; %bb.16:                               ;   in Loop: Header=BB243_9 Depth=1
	s_or_b32 exec_lo, exec_lo, s0
	s_delay_alu instid0(SALU_CYCLE_1)
	s_mov_b32 s0, exec_lo
	v_cmpx_gt_u64_e64 s[2:3], v[17:18]
	s_cbranch_execnz .LBB243_21
.LBB243_17:                             ;   in Loop: Header=BB243_9 Depth=1
	s_or_b32 exec_lo, exec_lo, s0
	s_delay_alu instid0(SALU_CYCLE_1)
	s_mov_b32 s0, exec_lo
	v_cmpx_gt_u64_e64 s[2:3], v[19:20]
	s_cbranch_execnz .LBB243_22
.LBB243_18:                             ;   in Loop: Header=BB243_9 Depth=1
	s_or_b32 exec_lo, exec_lo, s0
	s_delay_alu instid0(SALU_CYCLE_1)
	s_mov_b32 s0, exec_lo
	v_cmpx_gt_u64_e64 s[2:3], v[21:22]
	s_cbranch_execnz .LBB243_23
.LBB243_19:                             ;   in Loop: Header=BB243_9 Depth=1
	s_or_b32 exec_lo, exec_lo, s0
	s_delay_alu instid0(SALU_CYCLE_1)
	s_mov_b32 s0, exec_lo
	v_cmpx_gt_u64_e64 s[2:3], v[23:24]
	s_cbranch_execz .LBB243_8
	s_branch .LBB243_24
.LBB243_20:                             ;   in Loop: Header=BB243_9 Depth=1
	s_waitcnt vmcnt(0)
	v_add_co_u32 v9, vcc_lo, s12, v3
	v_add_co_ci_u32_e32 v10, vcc_lo, s13, v4, vcc_lo
	global_load_b64 v[9:10], v[9:10], off
	s_or_b32 exec_lo, exec_lo, s0
	s_delay_alu instid0(SALU_CYCLE_1)
	s_mov_b32 s0, exec_lo
	v_cmpx_gt_u64_e64 s[2:3], v[17:18]
	s_cbranch_execz .LBB243_17
.LBB243_21:                             ;   in Loop: Header=BB243_9 Depth=1
	s_waitcnt vmcnt(0)
	global_store_b64 v[5:6], v[15:16], off
	s_or_b32 exec_lo, exec_lo, s0
	s_delay_alu instid0(SALU_CYCLE_1)
	s_mov_b32 s0, exec_lo
	v_cmpx_gt_u64_e64 s[2:3], v[19:20]
	s_cbranch_execz .LBB243_18
.LBB243_22:                             ;   in Loop: Header=BB243_9 Depth=1
	s_waitcnt vmcnt(0)
	global_store_b64 v[7:8], v[13:14], off
	s_or_b32 exec_lo, exec_lo, s0
	s_delay_alu instid0(SALU_CYCLE_1)
	s_mov_b32 s0, exec_lo
	v_cmpx_gt_u64_e64 s[2:3], v[21:22]
	s_cbranch_execz .LBB243_19
.LBB243_23:                             ;   in Loop: Header=BB243_9 Depth=1
	v_add_co_u32 v17, vcc_lo, v5, s11
	v_add_co_ci_u32_e32 v18, vcc_lo, 0, v6, vcc_lo
	s_waitcnt vmcnt(0)
	global_store_b64 v[17:18], v[11:12], off
	s_or_b32 exec_lo, exec_lo, s0
	s_delay_alu instid0(SALU_CYCLE_1)
	s_mov_b32 s0, exec_lo
	v_cmpx_gt_u64_e64 s[2:3], v[23:24]
	s_cbranch_execz .LBB243_8
.LBB243_24:                             ;   in Loop: Header=BB243_9 Depth=1
	v_add_co_u32 v17, vcc_lo, v5, s9
	v_add_co_ci_u32_e32 v18, vcc_lo, 0, v6, vcc_lo
	s_waitcnt vmcnt(0)
	global_store_b64 v[17:18], v[9:10], off
	s_branch .LBB243_8
.LBB243_25:
	s_nop 0
	s_sendmsg sendmsg(MSG_DEALLOC_VGPRS)
	s_endpgm
	.section	.rodata,"a",@progbits
	.p2align	6, 0x0
	.amdhsa_kernel _ZN2at6native12_GLOBAL__N_125multi_tensor_apply_kernelINS1_18TensorListMetadataILi2EEENS1_11CopyFunctorIdN3c107complexIdEELi2ELi1ELi1EEEJNS0_4CopyIdS8_EEEEEvT_T0_DpT1_
		.amdhsa_group_segment_fixed_size 0
		.amdhsa_private_segment_fixed_size 0
		.amdhsa_kernarg_size 3408
		.amdhsa_user_sgpr_count 15
		.amdhsa_user_sgpr_dispatch_ptr 0
		.amdhsa_user_sgpr_queue_ptr 0
		.amdhsa_user_sgpr_kernarg_segment_ptr 1
		.amdhsa_user_sgpr_dispatch_id 0
		.amdhsa_user_sgpr_private_segment_size 0
		.amdhsa_wavefront_size32 1
		.amdhsa_uses_dynamic_stack 0
		.amdhsa_enable_private_segment 0
		.amdhsa_system_sgpr_workgroup_id_x 1
		.amdhsa_system_sgpr_workgroup_id_y 0
		.amdhsa_system_sgpr_workgroup_id_z 0
		.amdhsa_system_sgpr_workgroup_info 0
		.amdhsa_system_vgpr_workitem_id 0
		.amdhsa_next_free_vgpr 33
		.amdhsa_next_free_sgpr 20
		.amdhsa_reserve_vcc 1
		.amdhsa_float_round_mode_32 0
		.amdhsa_float_round_mode_16_64 0
		.amdhsa_float_denorm_mode_32 3
		.amdhsa_float_denorm_mode_16_64 3
		.amdhsa_dx10_clamp 1
		.amdhsa_ieee_mode 1
		.amdhsa_fp16_overflow 0
		.amdhsa_workgroup_processor_mode 1
		.amdhsa_memory_ordered 1
		.amdhsa_forward_progress 0
		.amdhsa_shared_vgpr_count 0
		.amdhsa_exception_fp_ieee_invalid_op 0
		.amdhsa_exception_fp_denorm_src 0
		.amdhsa_exception_fp_ieee_div_zero 0
		.amdhsa_exception_fp_ieee_overflow 0
		.amdhsa_exception_fp_ieee_underflow 0
		.amdhsa_exception_fp_ieee_inexact 0
		.amdhsa_exception_int_div_zero 0
	.end_amdhsa_kernel
	.section	.text._ZN2at6native12_GLOBAL__N_125multi_tensor_apply_kernelINS1_18TensorListMetadataILi2EEENS1_11CopyFunctorIdN3c107complexIdEELi2ELi1ELi1EEEJNS0_4CopyIdS8_EEEEEvT_T0_DpT1_,"axG",@progbits,_ZN2at6native12_GLOBAL__N_125multi_tensor_apply_kernelINS1_18TensorListMetadataILi2EEENS1_11CopyFunctorIdN3c107complexIdEELi2ELi1ELi1EEEJNS0_4CopyIdS8_EEEEEvT_T0_DpT1_,comdat
.Lfunc_end243:
	.size	_ZN2at6native12_GLOBAL__N_125multi_tensor_apply_kernelINS1_18TensorListMetadataILi2EEENS1_11CopyFunctorIdN3c107complexIdEELi2ELi1ELi1EEEJNS0_4CopyIdS8_EEEEEvT_T0_DpT1_, .Lfunc_end243-_ZN2at6native12_GLOBAL__N_125multi_tensor_apply_kernelINS1_18TensorListMetadataILi2EEENS1_11CopyFunctorIdN3c107complexIdEELi2ELi1ELi1EEEJNS0_4CopyIdS8_EEEEEvT_T0_DpT1_
                                        ; -- End function
	.section	.AMDGPU.csdata,"",@progbits
; Kernel info:
; codeLenInByte = 1456
; NumSgprs: 22
; NumVgprs: 33
; ScratchSize: 0
; MemoryBound: 0
; FloatMode: 240
; IeeeMode: 1
; LDSByteSize: 0 bytes/workgroup (compile time only)
; SGPRBlocks: 2
; VGPRBlocks: 4
; NumSGPRsForWavesPerEU: 22
; NumVGPRsForWavesPerEU: 33
; Occupancy: 16
; WaveLimiterHint : 0
; COMPUTE_PGM_RSRC2:SCRATCH_EN: 0
; COMPUTE_PGM_RSRC2:USER_SGPR: 15
; COMPUTE_PGM_RSRC2:TRAP_HANDLER: 0
; COMPUTE_PGM_RSRC2:TGID_X_EN: 1
; COMPUTE_PGM_RSRC2:TGID_Y_EN: 0
; COMPUTE_PGM_RSRC2:TGID_Z_EN: 0
; COMPUTE_PGM_RSRC2:TIDIG_COMP_CNT: 0
	.section	.text._ZN2at6native12_GLOBAL__N_125multi_tensor_apply_kernelINS1_18TensorListMetadataILi2EEENS1_11CopyFunctorIdN3c107complexIfEELi2ELi1ELi1EEEJNS0_4CopyIdS8_EEEEEvT_T0_DpT1_,"axG",@progbits,_ZN2at6native12_GLOBAL__N_125multi_tensor_apply_kernelINS1_18TensorListMetadataILi2EEENS1_11CopyFunctorIdN3c107complexIfEELi2ELi1ELi1EEEJNS0_4CopyIdS8_EEEEEvT_T0_DpT1_,comdat
	.globl	_ZN2at6native12_GLOBAL__N_125multi_tensor_apply_kernelINS1_18TensorListMetadataILi2EEENS1_11CopyFunctorIdN3c107complexIfEELi2ELi1ELi1EEEJNS0_4CopyIdS8_EEEEEvT_T0_DpT1_ ; -- Begin function _ZN2at6native12_GLOBAL__N_125multi_tensor_apply_kernelINS1_18TensorListMetadataILi2EEENS1_11CopyFunctorIdN3c107complexIfEELi2ELi1ELi1EEEJNS0_4CopyIdS8_EEEEEvT_T0_DpT1_
	.p2align	8
	.type	_ZN2at6native12_GLOBAL__N_125multi_tensor_apply_kernelINS1_18TensorListMetadataILi2EEENS1_11CopyFunctorIdN3c107complexIfEELi2ELi1ELi1EEEJNS0_4CopyIdS8_EEEEEvT_T0_DpT1_,@function
_ZN2at6native12_GLOBAL__N_125multi_tensor_apply_kernelINS1_18TensorListMetadataILi2EEENS1_11CopyFunctorIdN3c107complexIfEELi2ELi1ELi1EEEJNS0_4CopyIdS8_EEEEEvT_T0_DpT1_: ; @_ZN2at6native12_GLOBAL__N_125multi_tensor_apply_kernelINS1_18TensorListMetadataILi2EEENS1_11CopyFunctorIdN3c107complexIfEELi2ELi1ELi1EEEJNS0_4CopyIdS8_EEEEEvT_T0_DpT1_
; %bb.0:
	v_mov_b32_e32 v1, s15
	s_add_u32 s2, s0, s15
	s_mul_hi_u32 s3, s15, 3
	s_mul_i32 s15, s15, 3
	s_addc_u32 s4, s1, 0
	global_load_u8 v1, v1, s[0:1] offset:1536
	s_add_u32 s2, s2, s15
	s_addc_u32 s3, s4, s3
	s_mov_b32 s17, 0
	s_load_b32 s2, s[2:3], 0x740
	s_mov_b32 s19, s17
	s_mov_b32 s21, s17
	s_waitcnt vmcnt(0)
	v_readfirstlane_b32 s5, v1
	s_delay_alu instid0(VALU_DEP_1)
	s_lshl_b32 s3, s5, 3
	s_clause 0x2
	s_load_b64 s[10:11], s[0:1], s3 offset:0x0
	s_load_b64 s[12:13], s[0:1], s3 offset:0x200
	;; [unrolled: 1-line block ×3, first 2 shown]
	s_waitcnt lgkmcnt(0)
	s_ashr_i32 s3, s2, 31
	s_delay_alu instid0(SALU_CYCLE_1)
	s_lshl_b64 s[4:5], s[2:3], 19
	s_lshl_b64 s[2:3], s[2:3], 16
	s_add_u32 s8, s10, s4
	s_addc_u32 s9, s11, s5
	s_add_u32 s14, s12, s4
	s_addc_u32 s15, s13, s5
	s_and_b32 s20, s6, 3
	s_and_b32 s18, s14, 31
	;; [unrolled: 1-line block ×3, first 2 shown]
	s_or_b64 s[18:19], s[18:19], s[20:21]
	s_delay_alu instid0(SALU_CYCLE_1)
	s_or_b64 s[16:17], s[16:17], s[18:19]
	s_sub_u32 s6, s6, s2
	s_subb_u32 s7, s7, s3
	s_cmp_eq_u64 s[16:17], 0
	s_mov_b32 s2, -1
	s_cbranch_scc0 .LBB244_5
; %bb.1:
	v_dual_mov_b32 v2, 0 :: v_dual_lshlrev_b32 v1, 2, v0
	s_mov_b32 s16, exec_lo
	s_delay_alu instid0(VALU_DEP_1)
	v_cmpx_gt_i64_e64 s[6:7], v[1:2]
	s_cbranch_execz .LBB244_4
; %bb.2:
	s_load_b32 s2, s[0:1], 0xc5c
	v_lshlrev_b32_e32 v3, 5, v0
	s_mov_b32 s17, 0
	s_waitcnt lgkmcnt(0)
	s_and_b32 s2, s2, 0xffff
	s_delay_alu instid0(SALU_CYCLE_1)
	v_add_lshl_u32 v1, v0, s2, 2
	s_lshl_b32 s18, s2, 2
	s_lshl_b32 s19, s2, 5
	s_set_inst_prefetch_distance 0x1
	.p2align	6
.LBB244_3:                              ; =>This Inner Loop Header: Depth=1
	v_add_co_u32 v4, s2, s8, v3
	s_delay_alu instid0(VALU_DEP_1)
	v_add_co_ci_u32_e64 v5, null, s9, 0, s2
	v_cmp_le_i64_e32 vcc_lo, s[6:7], v[1:2]
	v_cmp_lt_u64_e64 s2, 0xffff, v[1:2]
	v_add_co_u32 v12, s3, s14, v3
	s_clause 0x3
	global_load_b32 v6, v[4:5], off
	global_load_b32 v7, v[4:5], off offset:8
	global_load_b32 v8, v[4:5], off offset:16
	;; [unrolled: 1-line block ×3, first 2 shown]
	v_add_co_ci_u32_e64 v13, null, s15, 0, s3
	s_or_b32 s2, vcc_lo, s2
	s_add_u32 s8, s8, s19
	v_add_co_u32 v1, s3, v1, s18
	s_addc_u32 s9, s9, 0
	s_add_u32 s14, s14, s19
	v_add_co_ci_u32_e64 v2, s3, 0, v2, s3
	s_addc_u32 s15, s15, 0
	s_and_b32 s2, exec_lo, s2
	s_delay_alu instid0(SALU_CYCLE_1)
	s_or_b32 s17, s2, s17
	s_waitcnt vmcnt(3)
	v_cvt_f64_f32_e32 v[4:5], v6
	s_waitcnt vmcnt(2)
	v_cvt_f64_f32_e32 v[6:7], v7
	;; [unrolled: 2-line block ×4, first 2 shown]
	s_clause 0x1
	global_store_b128 v[12:13], v[4:7], off
	global_store_b128 v[12:13], v[8:11], off offset:16
	s_and_not1_b32 exec_lo, exec_lo, s17
	s_cbranch_execnz .LBB244_3
.LBB244_4:
	s_set_inst_prefetch_distance 0x2
	s_or_b32 exec_lo, exec_lo, s16
	s_mov_b32 s2, 0
.LBB244_5:
	s_delay_alu instid0(SALU_CYCLE_1)
	s_and_not1_b32 vcc_lo, exec_lo, s2
	s_cbranch_vccnz .LBB244_25
; %bb.6:
	v_cmp_lt_i64_e64 s2, s[6:7], 1
	s_delay_alu instid0(VALU_DEP_1)
	s_and_b32 vcc_lo, exec_lo, s2
	s_cbranch_vccnz .LBB244_25
; %bb.7:
	s_load_b32 s0, s[0:1], 0xc5c
	v_dual_mov_b32 v1, 0 :: v_dual_lshlrev_b32 v2, 3, v0
	v_cmp_gt_u64_e64 s2, 0x10000, s[6:7]
	s_mov_b32 s3, 0
	s_delay_alu instid0(VALU_DEP_2) | instskip(NEXT) | instid1(VALU_DEP_3)
	v_mov_b32_e32 v3, v1
	v_add_co_u32 v8, s1, s10, v2
	s_delay_alu instid0(VALU_DEP_1) | instskip(SKIP_1) | instid1(VALU_DEP_1)
	v_add_co_ci_u32_e64 v9, null, s11, 0, s1
	v_add_co_u32 v10, s1, s12, v2
	v_add_co_ci_u32_e64 v11, null, s13, 0, s1
	v_mov_b32_e32 v24, v1
	v_mov_b32_e32 v25, v1
	;; [unrolled: 1-line block ×4, first 2 shown]
	s_waitcnt lgkmcnt(0)
	s_and_b32 s1, s0, 0xffff
	s_and_b32 s0, s2, exec_lo
	v_mad_u64_u32 v[4:5], null, s1, 24, v[2:3]
	s_cselect_b32 s9, s7, 0
	s_cselect_b32 s8, s6, 0x10000
	s_lshl_b32 s0, s1, 4
	s_lshl_b32 s2, s1, 2
	v_add_co_u32 v2, s0, s0, v2
	s_delay_alu instid0(VALU_DEP_2) | instskip(NEXT) | instid1(VALU_DEP_3)
	v_add_co_u32 v12, vcc_lo, s10, v4
	v_add_co_ci_u32_e32 v13, vcc_lo, s11, v5, vcc_lo
	v_add_co_u32 v14, vcc_lo, s12, v4
	v_add_lshl_u32 v4, v0, s1, 3
	v_add_co_ci_u32_e64 v3, null, 0, 0, s0
	v_add_co_ci_u32_e32 v15, vcc_lo, s13, v5, vcc_lo
	v_add_co_u32 v16, vcc_lo, s10, v2
	s_delay_alu instid0(VALU_DEP_4) | instskip(NEXT) | instid1(VALU_DEP_4)
	v_add_co_u32 v20, s0, s10, v4
	v_add_co_ci_u32_e32 v17, vcc_lo, s11, v3, vcc_lo
	v_add_co_u32 v18, vcc_lo, s12, v2
	v_add_co_ci_u32_e64 v21, null, s11, 0, s0
	v_add_co_u32 v22, s0, s12, v4
	v_add_co_ci_u32_e32 v19, vcc_lo, s13, v3, vcc_lo
	v_add_co_ci_u32_e64 v23, null, s13, 0, s0
	s_lshl_b32 s14, s1, 1
	s_mul_i32 s15, s1, 3
	s_lshl_b32 s12, s1, 5
	s_mov_b64 s[10:11], s[2:3]
	s_branch .LBB244_9
.LBB244_8:                              ;   in Loop: Header=BB244_9 Depth=1
	s_or_b32 exec_lo, exec_lo, s0
	v_add_co_u32 v8, vcc_lo, v8, s12
	v_add_co_ci_u32_e32 v9, vcc_lo, 0, v9, vcc_lo
	v_add_co_u32 v10, vcc_lo, v10, s12
	v_add_co_ci_u32_e32 v11, vcc_lo, 0, v11, vcc_lo
	;; [unrolled: 2-line block ×7, first 2 shown]
	v_cmp_ge_i64_e64 s0, s[10:11], s[6:7]
	v_cmp_lt_u64_e64 s3, 0xffff, s[10:11]
	v_add_co_u32 v20, vcc_lo, v20, s12
	v_add_co_ci_u32_e32 v21, vcc_lo, 0, v21, vcc_lo
	v_add_co_u32 v22, vcc_lo, v22, s12
	v_add_co_ci_u32_e32 v23, vcc_lo, 0, v23, vcc_lo
	s_or_b32 s0, s0, s3
	s_add_u32 s10, s10, s2
	s_addc_u32 s11, s11, 0
	s_and_b32 vcc_lo, exec_lo, s0
	s_cbranch_vccnz .LBB244_25
.LBB244_9:                              ; =>This Inner Loop Header: Depth=1
	v_cmp_gt_i64_e32 vcc_lo, s[6:7], v[0:1]
	v_cmp_gt_u64_e64 s0, 0x10000, v[0:1]
	s_delay_alu instid0(VALU_DEP_1) | instskip(NEXT) | instid1(SALU_CYCLE_1)
	s_and_b32 s3, vcc_lo, s0
	s_and_saveexec_b32 s0, s3
	s_cbranch_execz .LBB244_11
; %bb.10:                               ;   in Loop: Header=BB244_9 Depth=1
	v_add_co_u32 v2, vcc_lo, v8, s4
	v_add_co_ci_u32_e32 v3, vcc_lo, s5, v9, vcc_lo
	global_load_b32 v27, v[2:3], off
.LBB244_11:                             ;   in Loop: Header=BB244_9 Depth=1
	s_or_b32 exec_lo, exec_lo, s0
	v_add_co_u32 v2, vcc_lo, s1, v0
	v_add_co_ci_u32_e32 v3, vcc_lo, 0, v1, vcc_lo
	s_delay_alu instid0(VALU_DEP_1) | instskip(SKIP_1) | instid1(VALU_DEP_1)
	v_cmp_gt_i64_e32 vcc_lo, s[6:7], v[2:3]
	v_cmp_gt_u64_e64 s0, 0x10000, v[2:3]
	s_and_b32 s3, vcc_lo, s0
	s_delay_alu instid0(SALU_CYCLE_1)
	s_and_saveexec_b32 s0, s3
	s_cbranch_execz .LBB244_13
; %bb.12:                               ;   in Loop: Header=BB244_9 Depth=1
	v_add_co_u32 v4, vcc_lo, v20, s4
	v_add_co_ci_u32_e32 v5, vcc_lo, s5, v21, vcc_lo
	global_load_b32 v26, v[4:5], off
.LBB244_13:                             ;   in Loop: Header=BB244_9 Depth=1
	s_or_b32 exec_lo, exec_lo, s0
	v_add_co_u32 v4, vcc_lo, s14, v0
	v_add_co_ci_u32_e32 v5, vcc_lo, 0, v1, vcc_lo
	s_delay_alu instid0(VALU_DEP_1) | instskip(SKIP_1) | instid1(VALU_DEP_1)
	v_cmp_gt_i64_e32 vcc_lo, s[6:7], v[4:5]
	v_cmp_gt_u64_e64 s0, 0x10000, v[4:5]
	s_and_b32 s3, vcc_lo, s0
	s_delay_alu instid0(SALU_CYCLE_1)
	;; [unrolled: 15-line block ×3, first 2 shown]
	s_and_saveexec_b32 s0, s3
	s_cbranch_execnz .LBB244_20
; %bb.16:                               ;   in Loop: Header=BB244_9 Depth=1
	s_or_b32 exec_lo, exec_lo, s0
	s_delay_alu instid0(SALU_CYCLE_1)
	s_mov_b32 s0, exec_lo
	v_cmpx_gt_u64_e64 s[8:9], v[0:1]
	s_cbranch_execnz .LBB244_21
.LBB244_17:                             ;   in Loop: Header=BB244_9 Depth=1
	s_or_b32 exec_lo, exec_lo, s0
	s_delay_alu instid0(SALU_CYCLE_1)
	s_mov_b32 s0, exec_lo
	v_cmpx_gt_u64_e64 s[8:9], v[2:3]
	s_cbranch_execnz .LBB244_22
.LBB244_18:                             ;   in Loop: Header=BB244_9 Depth=1
	s_or_b32 exec_lo, exec_lo, s0
	s_delay_alu instid0(SALU_CYCLE_1)
	s_mov_b32 s0, exec_lo
	v_cmpx_gt_u64_e64 s[8:9], v[4:5]
	s_cbranch_execnz .LBB244_23
.LBB244_19:                             ;   in Loop: Header=BB244_9 Depth=1
	s_or_b32 exec_lo, exec_lo, s0
	s_delay_alu instid0(SALU_CYCLE_1)
	s_mov_b32 s0, exec_lo
	v_cmpx_gt_u64_e64 s[8:9], v[6:7]
	s_cbranch_execz .LBB244_8
	s_branch .LBB244_24
.LBB244_20:                             ;   in Loop: Header=BB244_9 Depth=1
	v_add_co_u32 v28, vcc_lo, v12, s4
	v_add_co_ci_u32_e32 v29, vcc_lo, s5, v13, vcc_lo
	global_load_b32 v24, v[28:29], off
	s_or_b32 exec_lo, exec_lo, s0
	s_delay_alu instid0(SALU_CYCLE_1)
	s_mov_b32 s0, exec_lo
	v_cmpx_gt_u64_e64 s[8:9], v[0:1]
	s_cbranch_execz .LBB244_17
.LBB244_21:                             ;   in Loop: Header=BB244_9 Depth=1
	s_waitcnt vmcnt(0)
	v_cvt_f64_f32_e32 v[28:29], v27
	v_add_co_u32 v30, vcc_lo, v10, s4
	v_add_co_ci_u32_e32 v31, vcc_lo, s5, v11, vcc_lo
	global_store_b64 v[30:31], v[28:29], off
	s_or_b32 exec_lo, exec_lo, s0
	s_delay_alu instid0(SALU_CYCLE_1)
	s_mov_b32 s0, exec_lo
	v_cmpx_gt_u64_e64 s[8:9], v[2:3]
	s_cbranch_execz .LBB244_18
.LBB244_22:                             ;   in Loop: Header=BB244_9 Depth=1
	s_waitcnt vmcnt(0)
	v_cvt_f64_f32_e32 v[2:3], v26
	v_add_co_u32 v28, vcc_lo, v22, s4
	v_add_co_ci_u32_e32 v29, vcc_lo, s5, v23, vcc_lo
	global_store_b64 v[28:29], v[2:3], off
	s_or_b32 exec_lo, exec_lo, s0
	s_delay_alu instid0(SALU_CYCLE_1)
	s_mov_b32 s0, exec_lo
	v_cmpx_gt_u64_e64 s[8:9], v[4:5]
	s_cbranch_execz .LBB244_19
.LBB244_23:                             ;   in Loop: Header=BB244_9 Depth=1
	s_waitcnt vmcnt(0)
	v_cvt_f64_f32_e32 v[2:3], v25
	v_add_co_u32 v4, vcc_lo, v18, s4
	v_add_co_ci_u32_e32 v5, vcc_lo, s5, v19, vcc_lo
	global_store_b64 v[4:5], v[2:3], off
	s_or_b32 exec_lo, exec_lo, s0
	s_delay_alu instid0(SALU_CYCLE_1)
	s_mov_b32 s0, exec_lo
	v_cmpx_gt_u64_e64 s[8:9], v[6:7]
	s_cbranch_execz .LBB244_8
.LBB244_24:                             ;   in Loop: Header=BB244_9 Depth=1
	s_waitcnt vmcnt(0)
	v_cvt_f64_f32_e32 v[2:3], v24
	v_add_co_u32 v4, vcc_lo, v14, s4
	v_add_co_ci_u32_e32 v5, vcc_lo, s5, v15, vcc_lo
	global_store_b64 v[4:5], v[2:3], off
	s_branch .LBB244_8
.LBB244_25:
	s_nop 0
	s_sendmsg sendmsg(MSG_DEALLOC_VGPRS)
	s_endpgm
	.section	.rodata,"a",@progbits
	.p2align	6, 0x0
	.amdhsa_kernel _ZN2at6native12_GLOBAL__N_125multi_tensor_apply_kernelINS1_18TensorListMetadataILi2EEENS1_11CopyFunctorIdN3c107complexIfEELi2ELi1ELi1EEEJNS0_4CopyIdS8_EEEEEvT_T0_DpT1_
		.amdhsa_group_segment_fixed_size 0
		.amdhsa_private_segment_fixed_size 0
		.amdhsa_kernarg_size 3408
		.amdhsa_user_sgpr_count 15
		.amdhsa_user_sgpr_dispatch_ptr 0
		.amdhsa_user_sgpr_queue_ptr 0
		.amdhsa_user_sgpr_kernarg_segment_ptr 1
		.amdhsa_user_sgpr_dispatch_id 0
		.amdhsa_user_sgpr_private_segment_size 0
		.amdhsa_wavefront_size32 1
		.amdhsa_uses_dynamic_stack 0
		.amdhsa_enable_private_segment 0
		.amdhsa_system_sgpr_workgroup_id_x 1
		.amdhsa_system_sgpr_workgroup_id_y 0
		.amdhsa_system_sgpr_workgroup_id_z 0
		.amdhsa_system_sgpr_workgroup_info 0
		.amdhsa_system_vgpr_workitem_id 0
		.amdhsa_next_free_vgpr 32
		.amdhsa_next_free_sgpr 22
		.amdhsa_reserve_vcc 1
		.amdhsa_float_round_mode_32 0
		.amdhsa_float_round_mode_16_64 0
		.amdhsa_float_denorm_mode_32 3
		.amdhsa_float_denorm_mode_16_64 3
		.amdhsa_dx10_clamp 1
		.amdhsa_ieee_mode 1
		.amdhsa_fp16_overflow 0
		.amdhsa_workgroup_processor_mode 1
		.amdhsa_memory_ordered 1
		.amdhsa_forward_progress 0
		.amdhsa_shared_vgpr_count 0
		.amdhsa_exception_fp_ieee_invalid_op 0
		.amdhsa_exception_fp_denorm_src 0
		.amdhsa_exception_fp_ieee_div_zero 0
		.amdhsa_exception_fp_ieee_overflow 0
		.amdhsa_exception_fp_ieee_underflow 0
		.amdhsa_exception_fp_ieee_inexact 0
		.amdhsa_exception_int_div_zero 0
	.end_amdhsa_kernel
	.section	.text._ZN2at6native12_GLOBAL__N_125multi_tensor_apply_kernelINS1_18TensorListMetadataILi2EEENS1_11CopyFunctorIdN3c107complexIfEELi2ELi1ELi1EEEJNS0_4CopyIdS8_EEEEEvT_T0_DpT1_,"axG",@progbits,_ZN2at6native12_GLOBAL__N_125multi_tensor_apply_kernelINS1_18TensorListMetadataILi2EEENS1_11CopyFunctorIdN3c107complexIfEELi2ELi1ELi1EEEJNS0_4CopyIdS8_EEEEEvT_T0_DpT1_,comdat
.Lfunc_end244:
	.size	_ZN2at6native12_GLOBAL__N_125multi_tensor_apply_kernelINS1_18TensorListMetadataILi2EEENS1_11CopyFunctorIdN3c107complexIfEELi2ELi1ELi1EEEJNS0_4CopyIdS8_EEEEEvT_T0_DpT1_, .Lfunc_end244-_ZN2at6native12_GLOBAL__N_125multi_tensor_apply_kernelINS1_18TensorListMetadataILi2EEENS1_11CopyFunctorIdN3c107complexIfEELi2ELi1ELi1EEEJNS0_4CopyIdS8_EEEEEvT_T0_DpT1_
                                        ; -- End function
	.section	.AMDGPU.csdata,"",@progbits
; Kernel info:
; codeLenInByte = 1512
; NumSgprs: 24
; NumVgprs: 32
; ScratchSize: 0
; MemoryBound: 0
; FloatMode: 240
; IeeeMode: 1
; LDSByteSize: 0 bytes/workgroup (compile time only)
; SGPRBlocks: 2
; VGPRBlocks: 3
; NumSGPRsForWavesPerEU: 24
; NumVGPRsForWavesPerEU: 32
; Occupancy: 16
; WaveLimiterHint : 0
; COMPUTE_PGM_RSRC2:SCRATCH_EN: 0
; COMPUTE_PGM_RSRC2:USER_SGPR: 15
; COMPUTE_PGM_RSRC2:TRAP_HANDLER: 0
; COMPUTE_PGM_RSRC2:TGID_X_EN: 1
; COMPUTE_PGM_RSRC2:TGID_Y_EN: 0
; COMPUTE_PGM_RSRC2:TGID_Z_EN: 0
; COMPUTE_PGM_RSRC2:TIDIG_COMP_CNT: 0
	.section	.text._ZN2at6native12_GLOBAL__N_125multi_tensor_apply_kernelINS1_18TensorListMetadataILi2EEENS1_11CopyFunctorIdN3c104HalfELi2ELi1ELi1EEEJNS0_4CopyIdS7_EEEEEvT_T0_DpT1_,"axG",@progbits,_ZN2at6native12_GLOBAL__N_125multi_tensor_apply_kernelINS1_18TensorListMetadataILi2EEENS1_11CopyFunctorIdN3c104HalfELi2ELi1ELi1EEEJNS0_4CopyIdS7_EEEEEvT_T0_DpT1_,comdat
	.globl	_ZN2at6native12_GLOBAL__N_125multi_tensor_apply_kernelINS1_18TensorListMetadataILi2EEENS1_11CopyFunctorIdN3c104HalfELi2ELi1ELi1EEEJNS0_4CopyIdS7_EEEEEvT_T0_DpT1_ ; -- Begin function _ZN2at6native12_GLOBAL__N_125multi_tensor_apply_kernelINS1_18TensorListMetadataILi2EEENS1_11CopyFunctorIdN3c104HalfELi2ELi1ELi1EEEJNS0_4CopyIdS7_EEEEEvT_T0_DpT1_
	.p2align	8
	.type	_ZN2at6native12_GLOBAL__N_125multi_tensor_apply_kernelINS1_18TensorListMetadataILi2EEENS1_11CopyFunctorIdN3c104HalfELi2ELi1ELi1EEEJNS0_4CopyIdS7_EEEEEvT_T0_DpT1_,@function
_ZN2at6native12_GLOBAL__N_125multi_tensor_apply_kernelINS1_18TensorListMetadataILi2EEENS1_11CopyFunctorIdN3c104HalfELi2ELi1ELi1EEEJNS0_4CopyIdS7_EEEEEvT_T0_DpT1_: ; @_ZN2at6native12_GLOBAL__N_125multi_tensor_apply_kernelINS1_18TensorListMetadataILi2EEENS1_11CopyFunctorIdN3c104HalfELi2ELi1ELi1EEEJNS0_4CopyIdS7_EEEEEvT_T0_DpT1_
; %bb.0:
	v_mov_b32_e32 v1, s15
	s_add_u32 s2, s0, s15
	s_mul_hi_u32 s3, s15, 3
	s_mul_i32 s15, s15, 3
	s_addc_u32 s4, s1, 0
	global_load_u8 v1, v1, s[0:1] offset:1536
	s_add_u32 s2, s2, s15
	s_addc_u32 s3, s4, s3
	s_mov_b32 s15, 0
	s_load_b32 s8, s[2:3], 0x740
	s_waitcnt lgkmcnt(0)
	s_ashr_i32 s9, s8, 31
	s_delay_alu instid0(SALU_CYCLE_1) | instskip(SKIP_3) | instid1(VALU_DEP_1)
	s_lshl_b64 s[10:11], s[8:9], 17
	s_lshl_b64 s[16:17], s[8:9], 16
	s_waitcnt vmcnt(0)
	v_readfirstlane_b32 s5, v1
	s_lshl_b32 s4, s5, 3
	s_clause 0x2
	s_load_b64 s[2:3], s[0:1], s4 offset:0x0
	s_load_b64 s[6:7], s[0:1], s4 offset:0x200
	;; [unrolled: 1-line block ×3, first 2 shown]
	s_waitcnt lgkmcnt(0)
	s_add_u32 s12, s2, s10
	s_addc_u32 s13, s3, s11
	s_and_b32 s18, s6, 31
	s_and_b32 s19, s4, 3
	;; [unrolled: 1-line block ×3, first 2 shown]
	s_or_b32 s18, s19, s18
	s_mov_b32 s19, s15
	s_delay_alu instid0(SALU_CYCLE_1)
	s_or_b64 s[14:15], s[14:15], s[18:19]
	s_sub_u32 s4, s4, s16
	s_subb_u32 s5, s5, s17
	s_cmp_eq_u64 s[14:15], 0
	s_mov_b32 s14, -1
	s_cbranch_scc0 .LBB245_5
; %bb.1:
	v_dual_mov_b32 v2, 0 :: v_dual_lshlrev_b32 v1, 2, v0
	s_mov_b32 s14, exec_lo
	s_delay_alu instid0(VALU_DEP_1)
	v_cmpx_gt_i64_e64 s[4:5], v[1:2]
	s_cbranch_execz .LBB245_4
; %bb.2:
	s_load_b32 s15, s[0:1], 0xc5c
	v_lshlrev_b32_e32 v4, 5, v0
	v_lshlrev_b32_e32 v3, 3, v0
	s_waitcnt lgkmcnt(0)
	s_and_b32 s16, s15, 0xffff
	s_delay_alu instid0(SALU_CYCLE_1)
	s_lshl_b32 s15, s16, 2
	s_add_u32 s17, s2, s10
	s_addc_u32 s11, s3, s11
	s_lshl_b64 s[2:3], s[8:9], 19
	s_lshl_b32 s10, s16, 3
	s_add_u32 s2, s6, s2
	s_addc_u32 s3, s7, s3
	v_add_co_u32 v5, s2, s2, v4
	s_delay_alu instid0(VALU_DEP_1) | instskip(SKIP_1) | instid1(VALU_DEP_3)
	v_add_co_ci_u32_e64 v6, null, s3, 0, s2
	v_add_co_u32 v3, s2, s17, v3
	v_add_co_u32 v5, vcc_lo, v5, 16
	v_add_lshl_u32 v1, v0, s16, 2
	v_add_co_ci_u32_e64 v4, null, s11, 0, s2
	v_add_co_ci_u32_e32 v6, vcc_lo, 0, v6, vcc_lo
	s_mov_b32 s11, 0
	s_lshl_b32 s16, s16, 5
	s_set_inst_prefetch_distance 0x1
	.p2align	6
.LBB245_3:                              ; =>This Inner Loop Header: Depth=1
	global_load_b64 v[7:8], v[3:4], off
	v_cmp_le_i64_e32 vcc_lo, s[4:5], v[1:2]
	v_cmp_lt_u64_e64 s2, 0xffff, v[1:2]
	v_add_co_u32 v1, s3, v1, s15
	s_delay_alu instid0(VALU_DEP_1) | instskip(SKIP_1) | instid1(VALU_DEP_4)
	v_add_co_ci_u32_e64 v2, s3, 0, v2, s3
	v_add_co_u32 v3, s3, v3, s10
	s_or_b32 s2, vcc_lo, s2
	v_add_co_ci_u32_e64 v4, s3, 0, v4, s3
	s_and_b32 s2, exec_lo, s2
	s_delay_alu instid0(SALU_CYCLE_1)
	s_or_b32 s11, s2, s11
	s_waitcnt vmcnt(0)
	v_lshrrev_b32_e32 v9, 16, v7
	v_lshrrev_b32_e32 v10, 16, v8
	v_cvt_f32_f16_e32 v7, v7
	v_cvt_f32_f16_e32 v11, v8
	s_delay_alu instid0(VALU_DEP_4) | instskip(NEXT) | instid1(VALU_DEP_4)
	v_cvt_f32_f16_e32 v9, v9
	v_cvt_f32_f16_e32 v13, v10
	s_delay_alu instid0(VALU_DEP_4) | instskip(NEXT) | instid1(VALU_DEP_4)
	v_cvt_f64_f32_e32 v[7:8], v7
	v_cvt_f64_f32_e32 v[11:12], v11
	s_delay_alu instid0(VALU_DEP_4) | instskip(NEXT) | instid1(VALU_DEP_4)
	v_cvt_f64_f32_e32 v[9:10], v9
	v_cvt_f64_f32_e32 v[13:14], v13
	s_clause 0x1
	global_store_b128 v[5:6], v[7:10], off offset:-16
	global_store_b128 v[5:6], v[11:14], off
	v_add_co_u32 v5, vcc_lo, v5, s16
	v_add_co_ci_u32_e32 v6, vcc_lo, 0, v6, vcc_lo
	s_and_not1_b32 exec_lo, exec_lo, s11
	s_cbranch_execnz .LBB245_3
.LBB245_4:
	s_set_inst_prefetch_distance 0x2
	s_or_b32 exec_lo, exec_lo, s14
	s_mov_b32 s14, 0
.LBB245_5:
	s_delay_alu instid0(SALU_CYCLE_1)
	s_and_not1_b32 vcc_lo, exec_lo, s14
	s_cbranch_vccnz .LBB245_25
; %bb.6:
	v_cmp_lt_i64_e64 s2, s[4:5], 1
	s_delay_alu instid0(VALU_DEP_1)
	s_and_b32 vcc_lo, exec_lo, s2
	s_cbranch_vccnz .LBB245_25
; %bb.7:
	s_load_b32 s0, s[0:1], 0xc5c
	v_cmp_gt_u64_e64 s1, 0x10000, s[4:5]
	v_dual_mov_b32 v2, 0 :: v_dual_lshlrev_b32 v5, 3, v0
	v_lshlrev_b32_e32 v1, 1, v0
                                        ; implicit-def: $vgpr25
                                        ; implicit-def: $vgpr26
                                        ; implicit-def: $vgpr27
                                        ; implicit-def: $vgpr28
	s_waitcnt lgkmcnt(0)
	s_and_b32 s0, s0, 0xffff
	s_delay_alu instid0(VALU_DEP_3)
	s_and_b32 s1, s1, exec_lo
	s_cselect_b32 s3, s5, 0
	s_cselect_b32 s2, s4, 0x10000
	s_lshl_b64 s[8:9], s[8:9], 19
	s_lshl_b32 s11, s0, 1
	s_lshl_b32 s1, s0, 2
	;; [unrolled: 1-line block ×3, first 2 shown]
	s_add_u32 s6, s6, s8
	s_addc_u32 s7, s7, s9
	v_add_co_u32 v5, s9, s6, v5
	s_delay_alu instid0(VALU_DEP_1) | instskip(SKIP_3) | instid1(VALU_DEP_2)
	v_add_co_ci_u32_e64 v6, null, s7, 0, s9
	v_add_co_u32 v18, s9, v0, s0
	s_mul_i32 s14, s0, 3
	v_mad_u64_u32 v[3:4], null, s0, 6, v[1:2]
	v_lshlrev_b32_e32 v7, 3, v18
	v_add_co_u32 v2, s8, s14, v0
	v_add_co_u32 v19, s14, s1, v1
	v_add_co_ci_u32_e64 v21, null, 0, 0, s9
	v_add_co_u32 v22, s9, s11, v0
	v_add_co_u32 v7, s6, s6, v7
	v_add_co_ci_u32_e64 v17, null, 0, 0, s8
	v_add_co_ci_u32_e64 v20, null, 0, 0, s14
	;; [unrolled: 1-line block ×3, first 2 shown]
	v_lshlrev_b32_e32 v24, 1, v18
	v_add_co_ci_u32_e64 v8, null, s7, 0, s6
	s_lshl_b32 s8, s0, 5
	s_mul_i32 s9, s0, 24
	s_lshl_b32 s11, s0, 4
	s_mov_b64 s[6:7], 0
	s_branch .LBB245_9
.LBB245_8:                              ;   in Loop: Header=BB245_9 Depth=1
	s_or_b32 exec_lo, exec_lo, s0
	s_add_u32 s6, s6, s1
	s_addc_u32 s7, s7, 0
	v_add_co_u32 v5, vcc_lo, v5, s8
	v_cmp_ge_i64_e64 s0, s[6:7], s[4:5]
	v_cmp_lt_u64_e64 s14, 0xffff, s[6:7]
	v_add_co_ci_u32_e32 v6, vcc_lo, 0, v6, vcc_lo
	v_add_co_u32 v7, vcc_lo, v7, s8
	v_add_co_ci_u32_e32 v8, vcc_lo, 0, v8, vcc_lo
	s_delay_alu instid0(VALU_DEP_4)
	s_or_b32 s0, s0, s14
	s_add_u32 s12, s12, s10
	s_addc_u32 s13, s13, 0
	s_and_b32 vcc_lo, exec_lo, s0
	s_cbranch_vccnz .LBB245_25
.LBB245_9:                              ; =>This Inner Loop Header: Depth=1
	v_add_co_u32 v9, s0, v0, s6
	s_delay_alu instid0(VALU_DEP_1) | instskip(NEXT) | instid1(VALU_DEP_1)
	v_add_co_ci_u32_e64 v10, null, 0, s7, s0
	v_cmp_gt_i64_e32 vcc_lo, s[4:5], v[9:10]
	v_cmp_gt_u64_e64 s0, 0x10000, v[9:10]
	s_delay_alu instid0(VALU_DEP_1) | instskip(NEXT) | instid1(SALU_CYCLE_1)
	s_and_b32 s14, vcc_lo, s0
	s_and_saveexec_b32 s0, s14
	s_cbranch_execz .LBB245_11
; %bb.10:                               ;   in Loop: Header=BB245_9 Depth=1
	v_add_co_u32 v11, s14, s12, v1
	s_delay_alu instid0(VALU_DEP_1)
	v_add_co_ci_u32_e64 v12, null, s13, 0, s14
	global_load_u16 v28, v[11:12], off
.LBB245_11:                             ;   in Loop: Header=BB245_9 Depth=1
	s_or_b32 exec_lo, exec_lo, s0
	v_add_co_u32 v11, vcc_lo, v18, s6
	v_add_co_ci_u32_e32 v12, vcc_lo, s7, v21, vcc_lo
	s_delay_alu instid0(VALU_DEP_1) | instskip(SKIP_1) | instid1(VALU_DEP_1)
	v_cmp_gt_i64_e32 vcc_lo, s[4:5], v[11:12]
	v_cmp_gt_u64_e64 s0, 0x10000, v[11:12]
	s_and_b32 s14, vcc_lo, s0
	s_delay_alu instid0(SALU_CYCLE_1)
	s_and_saveexec_b32 s0, s14
	s_cbranch_execz .LBB245_13
; %bb.12:                               ;   in Loop: Header=BB245_9 Depth=1
	v_add_co_u32 v13, s14, s12, v24
	s_delay_alu instid0(VALU_DEP_1)
	v_add_co_ci_u32_e64 v14, null, s13, 0, s14
	global_load_u16 v27, v[13:14], off
.LBB245_13:                             ;   in Loop: Header=BB245_9 Depth=1
	s_or_b32 exec_lo, exec_lo, s0
	v_add_co_u32 v13, vcc_lo, v22, s6
	v_add_co_ci_u32_e32 v14, vcc_lo, s7, v23, vcc_lo
	s_delay_alu instid0(VALU_DEP_1) | instskip(SKIP_1) | instid1(VALU_DEP_1)
	v_cmp_gt_i64_e32 vcc_lo, s[4:5], v[13:14]
	v_cmp_gt_u64_e64 s0, 0x10000, v[13:14]
	s_and_b32 s14, vcc_lo, s0
	s_delay_alu instid0(SALU_CYCLE_1)
	s_and_saveexec_b32 s0, s14
	s_cbranch_execz .LBB245_15
; %bb.14:                               ;   in Loop: Header=BB245_9 Depth=1
	v_add_co_u32 v15, vcc_lo, s12, v19
	v_add_co_ci_u32_e32 v16, vcc_lo, s13, v20, vcc_lo
	global_load_u16 v26, v[15:16], off
.LBB245_15:                             ;   in Loop: Header=BB245_9 Depth=1
	s_or_b32 exec_lo, exec_lo, s0
	v_add_co_u32 v15, vcc_lo, v2, s6
	v_add_co_ci_u32_e32 v16, vcc_lo, s7, v17, vcc_lo
	s_delay_alu instid0(VALU_DEP_1) | instskip(SKIP_1) | instid1(VALU_DEP_1)
	v_cmp_gt_i64_e32 vcc_lo, s[4:5], v[15:16]
	v_cmp_gt_u64_e64 s0, 0x10000, v[15:16]
	s_and_b32 s14, vcc_lo, s0
	s_delay_alu instid0(SALU_CYCLE_1)
	s_and_saveexec_b32 s0, s14
	s_cbranch_execnz .LBB245_20
; %bb.16:                               ;   in Loop: Header=BB245_9 Depth=1
	s_or_b32 exec_lo, exec_lo, s0
	s_delay_alu instid0(SALU_CYCLE_1)
	s_mov_b32 s0, exec_lo
	v_cmpx_gt_u64_e64 s[2:3], v[9:10]
	s_cbranch_execnz .LBB245_21
.LBB245_17:                             ;   in Loop: Header=BB245_9 Depth=1
	s_or_b32 exec_lo, exec_lo, s0
	s_delay_alu instid0(SALU_CYCLE_1)
	s_mov_b32 s0, exec_lo
	v_cmpx_gt_u64_e64 s[2:3], v[11:12]
	s_cbranch_execnz .LBB245_22
.LBB245_18:                             ;   in Loop: Header=BB245_9 Depth=1
	s_or_b32 exec_lo, exec_lo, s0
	s_delay_alu instid0(SALU_CYCLE_1)
	s_mov_b32 s0, exec_lo
	v_cmpx_gt_u64_e64 s[2:3], v[13:14]
	s_cbranch_execnz .LBB245_23
.LBB245_19:                             ;   in Loop: Header=BB245_9 Depth=1
	s_or_b32 exec_lo, exec_lo, s0
	s_delay_alu instid0(SALU_CYCLE_1)
	s_mov_b32 s0, exec_lo
	v_cmpx_gt_u64_e64 s[2:3], v[15:16]
	s_cbranch_execz .LBB245_8
	s_branch .LBB245_24
.LBB245_20:                             ;   in Loop: Header=BB245_9 Depth=1
	v_add_co_u32 v29, vcc_lo, s12, v3
	v_add_co_ci_u32_e32 v30, vcc_lo, s13, v4, vcc_lo
	global_load_u16 v25, v[29:30], off
	s_or_b32 exec_lo, exec_lo, s0
	s_delay_alu instid0(SALU_CYCLE_1)
	s_mov_b32 s0, exec_lo
	v_cmpx_gt_u64_e64 s[2:3], v[9:10]
	s_cbranch_execz .LBB245_17
.LBB245_21:                             ;   in Loop: Header=BB245_9 Depth=1
	s_waitcnt vmcnt(0)
	v_cvt_f32_f16_e32 v9, v28
	s_delay_alu instid0(VALU_DEP_1) | instskip(SKIP_2) | instid1(SALU_CYCLE_1)
	v_cvt_f64_f32_e32 v[9:10], v9
	global_store_b64 v[5:6], v[9:10], off
	s_or_b32 exec_lo, exec_lo, s0
	s_mov_b32 s0, exec_lo
	v_cmpx_gt_u64_e64 s[2:3], v[11:12]
	s_cbranch_execz .LBB245_18
.LBB245_22:                             ;   in Loop: Header=BB245_9 Depth=1
	s_waitcnt vmcnt(0)
	v_cvt_f32_f16_e32 v9, v27
	s_delay_alu instid0(VALU_DEP_1) | instskip(SKIP_2) | instid1(SALU_CYCLE_1)
	v_cvt_f64_f32_e32 v[9:10], v9
	global_store_b64 v[7:8], v[9:10], off
	s_or_b32 exec_lo, exec_lo, s0
	s_mov_b32 s0, exec_lo
	v_cmpx_gt_u64_e64 s[2:3], v[13:14]
	s_cbranch_execz .LBB245_19
.LBB245_23:                             ;   in Loop: Header=BB245_9 Depth=1
	s_waitcnt vmcnt(0)
	v_cvt_f32_f16_e32 v9, v26
	v_add_co_u32 v11, vcc_lo, v5, s11
	v_add_co_ci_u32_e32 v12, vcc_lo, 0, v6, vcc_lo
	s_delay_alu instid0(VALU_DEP_3) | instskip(SKIP_2) | instid1(SALU_CYCLE_1)
	v_cvt_f64_f32_e32 v[9:10], v9
	global_store_b64 v[11:12], v[9:10], off
	s_or_b32 exec_lo, exec_lo, s0
	s_mov_b32 s0, exec_lo
	v_cmpx_gt_u64_e64 s[2:3], v[15:16]
	s_cbranch_execz .LBB245_8
.LBB245_24:                             ;   in Loop: Header=BB245_9 Depth=1
	s_waitcnt vmcnt(0)
	v_cvt_f32_f16_e32 v9, v25
	v_add_co_u32 v11, vcc_lo, v5, s9
	v_add_co_ci_u32_e32 v12, vcc_lo, 0, v6, vcc_lo
	s_delay_alu instid0(VALU_DEP_3)
	v_cvt_f64_f32_e32 v[9:10], v9
	global_store_b64 v[11:12], v[9:10], off
	s_branch .LBB245_8
.LBB245_25:
	s_nop 0
	s_sendmsg sendmsg(MSG_DEALLOC_VGPRS)
	s_endpgm
	.section	.rodata,"a",@progbits
	.p2align	6, 0x0
	.amdhsa_kernel _ZN2at6native12_GLOBAL__N_125multi_tensor_apply_kernelINS1_18TensorListMetadataILi2EEENS1_11CopyFunctorIdN3c104HalfELi2ELi1ELi1EEEJNS0_4CopyIdS7_EEEEEvT_T0_DpT1_
		.amdhsa_group_segment_fixed_size 0
		.amdhsa_private_segment_fixed_size 0
		.amdhsa_kernarg_size 3408
		.amdhsa_user_sgpr_count 15
		.amdhsa_user_sgpr_dispatch_ptr 0
		.amdhsa_user_sgpr_queue_ptr 0
		.amdhsa_user_sgpr_kernarg_segment_ptr 1
		.amdhsa_user_sgpr_dispatch_id 0
		.amdhsa_user_sgpr_private_segment_size 0
		.amdhsa_wavefront_size32 1
		.amdhsa_uses_dynamic_stack 0
		.amdhsa_enable_private_segment 0
		.amdhsa_system_sgpr_workgroup_id_x 1
		.amdhsa_system_sgpr_workgroup_id_y 0
		.amdhsa_system_sgpr_workgroup_id_z 0
		.amdhsa_system_sgpr_workgroup_info 0
		.amdhsa_system_vgpr_workitem_id 0
		.amdhsa_next_free_vgpr 31
		.amdhsa_next_free_sgpr 20
		.amdhsa_reserve_vcc 1
		.amdhsa_float_round_mode_32 0
		.amdhsa_float_round_mode_16_64 0
		.amdhsa_float_denorm_mode_32 3
		.amdhsa_float_denorm_mode_16_64 3
		.amdhsa_dx10_clamp 1
		.amdhsa_ieee_mode 1
		.amdhsa_fp16_overflow 0
		.amdhsa_workgroup_processor_mode 1
		.amdhsa_memory_ordered 1
		.amdhsa_forward_progress 0
		.amdhsa_shared_vgpr_count 0
		.amdhsa_exception_fp_ieee_invalid_op 0
		.amdhsa_exception_fp_denorm_src 0
		.amdhsa_exception_fp_ieee_div_zero 0
		.amdhsa_exception_fp_ieee_overflow 0
		.amdhsa_exception_fp_ieee_underflow 0
		.amdhsa_exception_fp_ieee_inexact 0
		.amdhsa_exception_int_div_zero 0
	.end_amdhsa_kernel
	.section	.text._ZN2at6native12_GLOBAL__N_125multi_tensor_apply_kernelINS1_18TensorListMetadataILi2EEENS1_11CopyFunctorIdN3c104HalfELi2ELi1ELi1EEEJNS0_4CopyIdS7_EEEEEvT_T0_DpT1_,"axG",@progbits,_ZN2at6native12_GLOBAL__N_125multi_tensor_apply_kernelINS1_18TensorListMetadataILi2EEENS1_11CopyFunctorIdN3c104HalfELi2ELi1ELi1EEEJNS0_4CopyIdS7_EEEEEvT_T0_DpT1_,comdat
.Lfunc_end245:
	.size	_ZN2at6native12_GLOBAL__N_125multi_tensor_apply_kernelINS1_18TensorListMetadataILi2EEENS1_11CopyFunctorIdN3c104HalfELi2ELi1ELi1EEEJNS0_4CopyIdS7_EEEEEvT_T0_DpT1_, .Lfunc_end245-_ZN2at6native12_GLOBAL__N_125multi_tensor_apply_kernelINS1_18TensorListMetadataILi2EEENS1_11CopyFunctorIdN3c104HalfELi2ELi1ELi1EEEJNS0_4CopyIdS7_EEEEEvT_T0_DpT1_
                                        ; -- End function
	.section	.AMDGPU.csdata,"",@progbits
; Kernel info:
; codeLenInByte = 1472
; NumSgprs: 22
; NumVgprs: 31
; ScratchSize: 0
; MemoryBound: 0
; FloatMode: 240
; IeeeMode: 1
; LDSByteSize: 0 bytes/workgroup (compile time only)
; SGPRBlocks: 2
; VGPRBlocks: 3
; NumSGPRsForWavesPerEU: 22
; NumVGPRsForWavesPerEU: 31
; Occupancy: 16
; WaveLimiterHint : 0
; COMPUTE_PGM_RSRC2:SCRATCH_EN: 0
; COMPUTE_PGM_RSRC2:USER_SGPR: 15
; COMPUTE_PGM_RSRC2:TRAP_HANDLER: 0
; COMPUTE_PGM_RSRC2:TGID_X_EN: 1
; COMPUTE_PGM_RSRC2:TGID_Y_EN: 0
; COMPUTE_PGM_RSRC2:TGID_Z_EN: 0
; COMPUTE_PGM_RSRC2:TIDIG_COMP_CNT: 0
	.section	.text._ZN2at6native12_GLOBAL__N_125multi_tensor_apply_kernelINS1_18TensorListMetadataILi2EEENS1_11CopyFunctorIdN3c108BFloat16ELi2ELi1ELi1EEEJNS0_4CopyIdS7_EEEEEvT_T0_DpT1_,"axG",@progbits,_ZN2at6native12_GLOBAL__N_125multi_tensor_apply_kernelINS1_18TensorListMetadataILi2EEENS1_11CopyFunctorIdN3c108BFloat16ELi2ELi1ELi1EEEJNS0_4CopyIdS7_EEEEEvT_T0_DpT1_,comdat
	.globl	_ZN2at6native12_GLOBAL__N_125multi_tensor_apply_kernelINS1_18TensorListMetadataILi2EEENS1_11CopyFunctorIdN3c108BFloat16ELi2ELi1ELi1EEEJNS0_4CopyIdS7_EEEEEvT_T0_DpT1_ ; -- Begin function _ZN2at6native12_GLOBAL__N_125multi_tensor_apply_kernelINS1_18TensorListMetadataILi2EEENS1_11CopyFunctorIdN3c108BFloat16ELi2ELi1ELi1EEEJNS0_4CopyIdS7_EEEEEvT_T0_DpT1_
	.p2align	8
	.type	_ZN2at6native12_GLOBAL__N_125multi_tensor_apply_kernelINS1_18TensorListMetadataILi2EEENS1_11CopyFunctorIdN3c108BFloat16ELi2ELi1ELi1EEEJNS0_4CopyIdS7_EEEEEvT_T0_DpT1_,@function
_ZN2at6native12_GLOBAL__N_125multi_tensor_apply_kernelINS1_18TensorListMetadataILi2EEENS1_11CopyFunctorIdN3c108BFloat16ELi2ELi1ELi1EEEJNS0_4CopyIdS7_EEEEEvT_T0_DpT1_: ; @_ZN2at6native12_GLOBAL__N_125multi_tensor_apply_kernelINS1_18TensorListMetadataILi2EEENS1_11CopyFunctorIdN3c108BFloat16ELi2ELi1ELi1EEEJNS0_4CopyIdS7_EEEEEvT_T0_DpT1_
; %bb.0:
	v_mov_b32_e32 v1, s15
	s_add_u32 s2, s0, s15
	s_mul_hi_u32 s3, s15, 3
	s_mul_i32 s15, s15, 3
	s_addc_u32 s4, s1, 0
	global_load_u8 v1, v1, s[0:1] offset:1536
	s_add_u32 s2, s2, s15
	s_addc_u32 s3, s4, s3
	s_mov_b32 s15, 0
	s_load_b32 s8, s[2:3], 0x740
	s_waitcnt lgkmcnt(0)
	s_ashr_i32 s9, s8, 31
	s_delay_alu instid0(SALU_CYCLE_1) | instskip(SKIP_3) | instid1(VALU_DEP_1)
	s_lshl_b64 s[10:11], s[8:9], 17
	s_lshl_b64 s[16:17], s[8:9], 16
	s_waitcnt vmcnt(0)
	v_readfirstlane_b32 s5, v1
	s_lshl_b32 s4, s5, 3
	s_clause 0x2
	s_load_b64 s[2:3], s[0:1], s4 offset:0x0
	s_load_b64 s[6:7], s[0:1], s4 offset:0x200
	;; [unrolled: 1-line block ×3, first 2 shown]
	s_waitcnt lgkmcnt(0)
	s_add_u32 s12, s2, s10
	s_addc_u32 s13, s3, s11
	s_and_b32 s18, s6, 31
	s_and_b32 s19, s4, 3
	;; [unrolled: 1-line block ×3, first 2 shown]
	s_or_b32 s18, s19, s18
	s_mov_b32 s19, s15
	s_delay_alu instid0(SALU_CYCLE_1)
	s_or_b64 s[14:15], s[14:15], s[18:19]
	s_sub_u32 s4, s4, s16
	s_subb_u32 s5, s5, s17
	s_cmp_eq_u64 s[14:15], 0
	s_mov_b32 s14, -1
	s_cbranch_scc0 .LBB246_5
; %bb.1:
	v_dual_mov_b32 v2, 0 :: v_dual_lshlrev_b32 v1, 2, v0
	s_mov_b32 s14, exec_lo
	s_delay_alu instid0(VALU_DEP_1)
	v_cmpx_gt_i64_e64 s[4:5], v[1:2]
	s_cbranch_execz .LBB246_4
; %bb.2:
	s_load_b32 s15, s[0:1], 0xc5c
	v_lshlrev_b32_e32 v4, 5, v0
	v_lshlrev_b32_e32 v3, 3, v0
	s_waitcnt lgkmcnt(0)
	s_and_b32 s16, s15, 0xffff
	s_add_u32 s15, s2, s10
	s_addc_u32 s17, s3, s11
	s_lshl_b64 s[2:3], s[8:9], 19
	s_lshl_b32 s10, s16, 3
	s_lshl_b32 s11, s16, 2
	s_add_u32 s2, s6, s2
	s_addc_u32 s3, s7, s3
	v_add_co_u32 v5, s2, s2, v4
	s_delay_alu instid0(VALU_DEP_1) | instskip(SKIP_1) | instid1(VALU_DEP_3)
	v_add_co_ci_u32_e64 v6, null, s3, 0, s2
	v_add_co_u32 v3, s2, s15, v3
	v_add_co_u32 v5, vcc_lo, v5, 16
	v_add_lshl_u32 v1, v0, s16, 2
	v_add_co_ci_u32_e64 v4, null, s17, 0, s2
	v_add_co_ci_u32_e32 v6, vcc_lo, 0, v6, vcc_lo
	s_mov_b32 s15, 0
	s_lshl_b32 s16, s16, 5
	s_set_inst_prefetch_distance 0x1
	.p2align	6
.LBB246_3:                              ; =>This Inner Loop Header: Depth=1
	global_load_b64 v[7:8], v[3:4], off
	v_cmp_le_i64_e32 vcc_lo, s[4:5], v[1:2]
	v_cmp_lt_u64_e64 s2, 0xffff, v[1:2]
	v_add_co_u32 v3, s3, v3, s10
	s_delay_alu instid0(VALU_DEP_1) | instskip(SKIP_1) | instid1(VALU_DEP_4)
	v_add_co_ci_u32_e64 v4, s3, 0, v4, s3
	v_add_co_u32 v1, s3, v1, s11
	s_or_b32 s2, vcc_lo, s2
	v_add_co_ci_u32_e64 v2, s3, 0, v2, s3
	s_and_b32 s2, exec_lo, s2
	s_delay_alu instid0(SALU_CYCLE_1)
	s_or_b32 s15, s2, s15
	s_waitcnt vmcnt(0)
	v_alignbit_b32 v9, v8, v7, 16
	v_lshlrev_b32_e32 v10, 16, v7
	v_and_b32_e32 v11, 0xffff0000, v7
	v_and_b32_e32 v12, 0xffff0000, v8
	s_delay_alu instid0(VALU_DEP_4) | instskip(NEXT) | instid1(VALU_DEP_4)
	v_and_b32_e32 v15, 0xffff0000, v9
	v_cvt_f64_f32_e32 v[7:8], v10
	s_delay_alu instid0(VALU_DEP_4) | instskip(NEXT) | instid1(VALU_DEP_4)
	v_cvt_f64_f32_e32 v[9:10], v11
	v_cvt_f64_f32_e32 v[13:14], v12
	s_delay_alu instid0(VALU_DEP_4)
	v_cvt_f64_f32_e32 v[11:12], v15
	s_clause 0x1
	global_store_b128 v[5:6], v[7:10], off offset:-16
	global_store_b128 v[5:6], v[11:14], off
	v_add_co_u32 v5, vcc_lo, v5, s16
	v_add_co_ci_u32_e32 v6, vcc_lo, 0, v6, vcc_lo
	s_and_not1_b32 exec_lo, exec_lo, s15
	s_cbranch_execnz .LBB246_3
.LBB246_4:
	s_set_inst_prefetch_distance 0x2
	s_or_b32 exec_lo, exec_lo, s14
	s_mov_b32 s14, 0
.LBB246_5:
	s_delay_alu instid0(SALU_CYCLE_1)
	s_and_not1_b32 vcc_lo, exec_lo, s14
	s_cbranch_vccnz .LBB246_25
; %bb.6:
	v_cmp_lt_i64_e64 s2, s[4:5], 1
	s_delay_alu instid0(VALU_DEP_1)
	s_and_b32 vcc_lo, exec_lo, s2
	s_cbranch_vccnz .LBB246_25
; %bb.7:
	s_load_b32 s0, s[0:1], 0xc5c
	v_cmp_gt_u64_e64 s1, 0x10000, s[4:5]
	v_dual_mov_b32 v2, 0 :: v_dual_lshlrev_b32 v5, 3, v0
	v_lshlrev_b32_e32 v1, 1, v0
                                        ; implicit-def: $vgpr25
                                        ; implicit-def: $vgpr26
                                        ; implicit-def: $vgpr27
                                        ; implicit-def: $vgpr28
	s_waitcnt lgkmcnt(0)
	s_and_b32 s0, s0, 0xffff
	s_delay_alu instid0(VALU_DEP_3)
	s_and_b32 s1, s1, exec_lo
	s_cselect_b32 s3, s5, 0
	s_cselect_b32 s2, s4, 0x10000
	s_lshl_b64 s[8:9], s[8:9], 19
	s_lshl_b32 s11, s0, 1
	s_lshl_b32 s1, s0, 2
	;; [unrolled: 1-line block ×3, first 2 shown]
	s_add_u32 s6, s6, s8
	s_addc_u32 s7, s7, s9
	v_add_co_u32 v5, s9, s6, v5
	s_delay_alu instid0(VALU_DEP_1) | instskip(SKIP_3) | instid1(VALU_DEP_2)
	v_add_co_ci_u32_e64 v6, null, s7, 0, s9
	v_add_co_u32 v18, s9, v0, s0
	s_mul_i32 s14, s0, 3
	v_mad_u64_u32 v[3:4], null, s0, 6, v[1:2]
	v_lshlrev_b32_e32 v7, 3, v18
	v_add_co_u32 v2, s8, s14, v0
	v_add_co_u32 v19, s14, s1, v1
	v_add_co_ci_u32_e64 v21, null, 0, 0, s9
	v_add_co_u32 v22, s9, s11, v0
	v_add_co_u32 v7, s6, s6, v7
	v_add_co_ci_u32_e64 v17, null, 0, 0, s8
	v_add_co_ci_u32_e64 v20, null, 0, 0, s14
	;; [unrolled: 1-line block ×3, first 2 shown]
	v_lshlrev_b32_e32 v24, 1, v18
	v_add_co_ci_u32_e64 v8, null, s7, 0, s6
	s_lshl_b32 s8, s0, 5
	s_mul_i32 s9, s0, 24
	s_lshl_b32 s11, s0, 4
	s_mov_b64 s[6:7], 0
	s_branch .LBB246_9
.LBB246_8:                              ;   in Loop: Header=BB246_9 Depth=1
	s_or_b32 exec_lo, exec_lo, s0
	s_add_u32 s6, s6, s1
	s_addc_u32 s7, s7, 0
	v_add_co_u32 v5, vcc_lo, v5, s8
	v_cmp_ge_i64_e64 s0, s[6:7], s[4:5]
	v_cmp_lt_u64_e64 s14, 0xffff, s[6:7]
	v_add_co_ci_u32_e32 v6, vcc_lo, 0, v6, vcc_lo
	v_add_co_u32 v7, vcc_lo, v7, s8
	v_add_co_ci_u32_e32 v8, vcc_lo, 0, v8, vcc_lo
	s_delay_alu instid0(VALU_DEP_4)
	s_or_b32 s0, s0, s14
	s_add_u32 s12, s12, s10
	s_addc_u32 s13, s13, 0
	s_and_b32 vcc_lo, exec_lo, s0
	s_cbranch_vccnz .LBB246_25
.LBB246_9:                              ; =>This Inner Loop Header: Depth=1
	v_add_co_u32 v9, s0, v0, s6
	s_delay_alu instid0(VALU_DEP_1) | instskip(NEXT) | instid1(VALU_DEP_1)
	v_add_co_ci_u32_e64 v10, null, 0, s7, s0
	v_cmp_gt_i64_e32 vcc_lo, s[4:5], v[9:10]
	v_cmp_gt_u64_e64 s0, 0x10000, v[9:10]
	s_delay_alu instid0(VALU_DEP_1) | instskip(NEXT) | instid1(SALU_CYCLE_1)
	s_and_b32 s14, vcc_lo, s0
	s_and_saveexec_b32 s0, s14
	s_cbranch_execz .LBB246_11
; %bb.10:                               ;   in Loop: Header=BB246_9 Depth=1
	v_add_co_u32 v11, s14, s12, v1
	s_delay_alu instid0(VALU_DEP_1)
	v_add_co_ci_u32_e64 v12, null, s13, 0, s14
	global_load_u16 v28, v[11:12], off
.LBB246_11:                             ;   in Loop: Header=BB246_9 Depth=1
	s_or_b32 exec_lo, exec_lo, s0
	v_add_co_u32 v11, vcc_lo, v18, s6
	v_add_co_ci_u32_e32 v12, vcc_lo, s7, v21, vcc_lo
	s_delay_alu instid0(VALU_DEP_1) | instskip(SKIP_1) | instid1(VALU_DEP_1)
	v_cmp_gt_i64_e32 vcc_lo, s[4:5], v[11:12]
	v_cmp_gt_u64_e64 s0, 0x10000, v[11:12]
	s_and_b32 s14, vcc_lo, s0
	s_delay_alu instid0(SALU_CYCLE_1)
	s_and_saveexec_b32 s0, s14
	s_cbranch_execz .LBB246_13
; %bb.12:                               ;   in Loop: Header=BB246_9 Depth=1
	v_add_co_u32 v13, s14, s12, v24
	s_delay_alu instid0(VALU_DEP_1)
	v_add_co_ci_u32_e64 v14, null, s13, 0, s14
	global_load_u16 v27, v[13:14], off
.LBB246_13:                             ;   in Loop: Header=BB246_9 Depth=1
	s_or_b32 exec_lo, exec_lo, s0
	v_add_co_u32 v13, vcc_lo, v22, s6
	v_add_co_ci_u32_e32 v14, vcc_lo, s7, v23, vcc_lo
	s_delay_alu instid0(VALU_DEP_1) | instskip(SKIP_1) | instid1(VALU_DEP_1)
	v_cmp_gt_i64_e32 vcc_lo, s[4:5], v[13:14]
	v_cmp_gt_u64_e64 s0, 0x10000, v[13:14]
	s_and_b32 s14, vcc_lo, s0
	s_delay_alu instid0(SALU_CYCLE_1)
	s_and_saveexec_b32 s0, s14
	s_cbranch_execz .LBB246_15
; %bb.14:                               ;   in Loop: Header=BB246_9 Depth=1
	v_add_co_u32 v15, vcc_lo, s12, v19
	v_add_co_ci_u32_e32 v16, vcc_lo, s13, v20, vcc_lo
	global_load_u16 v26, v[15:16], off
.LBB246_15:                             ;   in Loop: Header=BB246_9 Depth=1
	s_or_b32 exec_lo, exec_lo, s0
	v_add_co_u32 v15, vcc_lo, v2, s6
	v_add_co_ci_u32_e32 v16, vcc_lo, s7, v17, vcc_lo
	s_delay_alu instid0(VALU_DEP_1) | instskip(SKIP_1) | instid1(VALU_DEP_1)
	v_cmp_gt_i64_e32 vcc_lo, s[4:5], v[15:16]
	v_cmp_gt_u64_e64 s0, 0x10000, v[15:16]
	s_and_b32 s14, vcc_lo, s0
	s_delay_alu instid0(SALU_CYCLE_1)
	s_and_saveexec_b32 s0, s14
	s_cbranch_execnz .LBB246_20
; %bb.16:                               ;   in Loop: Header=BB246_9 Depth=1
	s_or_b32 exec_lo, exec_lo, s0
	s_delay_alu instid0(SALU_CYCLE_1)
	s_mov_b32 s0, exec_lo
	v_cmpx_gt_u64_e64 s[2:3], v[9:10]
	s_cbranch_execnz .LBB246_21
.LBB246_17:                             ;   in Loop: Header=BB246_9 Depth=1
	s_or_b32 exec_lo, exec_lo, s0
	s_delay_alu instid0(SALU_CYCLE_1)
	s_mov_b32 s0, exec_lo
	v_cmpx_gt_u64_e64 s[2:3], v[11:12]
	s_cbranch_execnz .LBB246_22
.LBB246_18:                             ;   in Loop: Header=BB246_9 Depth=1
	s_or_b32 exec_lo, exec_lo, s0
	s_delay_alu instid0(SALU_CYCLE_1)
	s_mov_b32 s0, exec_lo
	v_cmpx_gt_u64_e64 s[2:3], v[13:14]
	s_cbranch_execnz .LBB246_23
.LBB246_19:                             ;   in Loop: Header=BB246_9 Depth=1
	s_or_b32 exec_lo, exec_lo, s0
	s_delay_alu instid0(SALU_CYCLE_1)
	s_mov_b32 s0, exec_lo
	v_cmpx_gt_u64_e64 s[2:3], v[15:16]
	s_cbranch_execz .LBB246_8
	s_branch .LBB246_24
.LBB246_20:                             ;   in Loop: Header=BB246_9 Depth=1
	v_add_co_u32 v29, vcc_lo, s12, v3
	v_add_co_ci_u32_e32 v30, vcc_lo, s13, v4, vcc_lo
	global_load_u16 v25, v[29:30], off
	s_or_b32 exec_lo, exec_lo, s0
	s_delay_alu instid0(SALU_CYCLE_1)
	s_mov_b32 s0, exec_lo
	v_cmpx_gt_u64_e64 s[2:3], v[9:10]
	s_cbranch_execz .LBB246_17
.LBB246_21:                             ;   in Loop: Header=BB246_9 Depth=1
	s_waitcnt vmcnt(0)
	v_lshlrev_b32_e32 v9, 16, v28
	s_delay_alu instid0(VALU_DEP_1) | instskip(SKIP_2) | instid1(SALU_CYCLE_1)
	v_cvt_f64_f32_e32 v[9:10], v9
	global_store_b64 v[5:6], v[9:10], off
	s_or_b32 exec_lo, exec_lo, s0
	s_mov_b32 s0, exec_lo
	v_cmpx_gt_u64_e64 s[2:3], v[11:12]
	s_cbranch_execz .LBB246_18
.LBB246_22:                             ;   in Loop: Header=BB246_9 Depth=1
	s_waitcnt vmcnt(0)
	v_lshlrev_b32_e32 v9, 16, v27
	s_delay_alu instid0(VALU_DEP_1) | instskip(SKIP_2) | instid1(SALU_CYCLE_1)
	v_cvt_f64_f32_e32 v[9:10], v9
	global_store_b64 v[7:8], v[9:10], off
	s_or_b32 exec_lo, exec_lo, s0
	s_mov_b32 s0, exec_lo
	v_cmpx_gt_u64_e64 s[2:3], v[13:14]
	s_cbranch_execz .LBB246_19
.LBB246_23:                             ;   in Loop: Header=BB246_9 Depth=1
	s_waitcnt vmcnt(0)
	v_lshlrev_b32_e32 v9, 16, v26
	v_add_co_u32 v11, vcc_lo, v5, s11
	v_add_co_ci_u32_e32 v12, vcc_lo, 0, v6, vcc_lo
	s_delay_alu instid0(VALU_DEP_3) | instskip(SKIP_2) | instid1(SALU_CYCLE_1)
	v_cvt_f64_f32_e32 v[9:10], v9
	global_store_b64 v[11:12], v[9:10], off
	s_or_b32 exec_lo, exec_lo, s0
	s_mov_b32 s0, exec_lo
	v_cmpx_gt_u64_e64 s[2:3], v[15:16]
	s_cbranch_execz .LBB246_8
.LBB246_24:                             ;   in Loop: Header=BB246_9 Depth=1
	s_waitcnt vmcnt(0)
	v_lshlrev_b32_e32 v9, 16, v25
	v_add_co_u32 v11, vcc_lo, v5, s9
	v_add_co_ci_u32_e32 v12, vcc_lo, 0, v6, vcc_lo
	s_delay_alu instid0(VALU_DEP_3)
	v_cvt_f64_f32_e32 v[9:10], v9
	global_store_b64 v[11:12], v[9:10], off
	s_branch .LBB246_8
.LBB246_25:
	s_nop 0
	s_sendmsg sendmsg(MSG_DEALLOC_VGPRS)
	s_endpgm
	.section	.rodata,"a",@progbits
	.p2align	6, 0x0
	.amdhsa_kernel _ZN2at6native12_GLOBAL__N_125multi_tensor_apply_kernelINS1_18TensorListMetadataILi2EEENS1_11CopyFunctorIdN3c108BFloat16ELi2ELi1ELi1EEEJNS0_4CopyIdS7_EEEEEvT_T0_DpT1_
		.amdhsa_group_segment_fixed_size 0
		.amdhsa_private_segment_fixed_size 0
		.amdhsa_kernarg_size 3408
		.amdhsa_user_sgpr_count 15
		.amdhsa_user_sgpr_dispatch_ptr 0
		.amdhsa_user_sgpr_queue_ptr 0
		.amdhsa_user_sgpr_kernarg_segment_ptr 1
		.amdhsa_user_sgpr_dispatch_id 0
		.amdhsa_user_sgpr_private_segment_size 0
		.amdhsa_wavefront_size32 1
		.amdhsa_uses_dynamic_stack 0
		.amdhsa_enable_private_segment 0
		.amdhsa_system_sgpr_workgroup_id_x 1
		.amdhsa_system_sgpr_workgroup_id_y 0
		.amdhsa_system_sgpr_workgroup_id_z 0
		.amdhsa_system_sgpr_workgroup_info 0
		.amdhsa_system_vgpr_workitem_id 0
		.amdhsa_next_free_vgpr 31
		.amdhsa_next_free_sgpr 20
		.amdhsa_reserve_vcc 1
		.amdhsa_float_round_mode_32 0
		.amdhsa_float_round_mode_16_64 0
		.amdhsa_float_denorm_mode_32 3
		.amdhsa_float_denorm_mode_16_64 3
		.amdhsa_dx10_clamp 1
		.amdhsa_ieee_mode 1
		.amdhsa_fp16_overflow 0
		.amdhsa_workgroup_processor_mode 1
		.amdhsa_memory_ordered 1
		.amdhsa_forward_progress 0
		.amdhsa_shared_vgpr_count 0
		.amdhsa_exception_fp_ieee_invalid_op 0
		.amdhsa_exception_fp_denorm_src 0
		.amdhsa_exception_fp_ieee_div_zero 0
		.amdhsa_exception_fp_ieee_overflow 0
		.amdhsa_exception_fp_ieee_underflow 0
		.amdhsa_exception_fp_ieee_inexact 0
		.amdhsa_exception_int_div_zero 0
	.end_amdhsa_kernel
	.section	.text._ZN2at6native12_GLOBAL__N_125multi_tensor_apply_kernelINS1_18TensorListMetadataILi2EEENS1_11CopyFunctorIdN3c108BFloat16ELi2ELi1ELi1EEEJNS0_4CopyIdS7_EEEEEvT_T0_DpT1_,"axG",@progbits,_ZN2at6native12_GLOBAL__N_125multi_tensor_apply_kernelINS1_18TensorListMetadataILi2EEENS1_11CopyFunctorIdN3c108BFloat16ELi2ELi1ELi1EEEJNS0_4CopyIdS7_EEEEEvT_T0_DpT1_,comdat
.Lfunc_end246:
	.size	_ZN2at6native12_GLOBAL__N_125multi_tensor_apply_kernelINS1_18TensorListMetadataILi2EEENS1_11CopyFunctorIdN3c108BFloat16ELi2ELi1ELi1EEEJNS0_4CopyIdS7_EEEEEvT_T0_DpT1_, .Lfunc_end246-_ZN2at6native12_GLOBAL__N_125multi_tensor_apply_kernelINS1_18TensorListMetadataILi2EEENS1_11CopyFunctorIdN3c108BFloat16ELi2ELi1ELi1EEEJNS0_4CopyIdS7_EEEEEvT_T0_DpT1_
                                        ; -- End function
	.section	.AMDGPU.csdata,"",@progbits
; Kernel info:
; codeLenInByte = 1480
; NumSgprs: 22
; NumVgprs: 31
; ScratchSize: 0
; MemoryBound: 0
; FloatMode: 240
; IeeeMode: 1
; LDSByteSize: 0 bytes/workgroup (compile time only)
; SGPRBlocks: 2
; VGPRBlocks: 3
; NumSGPRsForWavesPerEU: 22
; NumVGPRsForWavesPerEU: 31
; Occupancy: 16
; WaveLimiterHint : 0
; COMPUTE_PGM_RSRC2:SCRATCH_EN: 0
; COMPUTE_PGM_RSRC2:USER_SGPR: 15
; COMPUTE_PGM_RSRC2:TRAP_HANDLER: 0
; COMPUTE_PGM_RSRC2:TGID_X_EN: 1
; COMPUTE_PGM_RSRC2:TGID_Y_EN: 0
; COMPUTE_PGM_RSRC2:TGID_Z_EN: 0
; COMPUTE_PGM_RSRC2:TIDIG_COMP_CNT: 0
	.section	.text._ZN2at6native12_GLOBAL__N_125multi_tensor_apply_kernelINS1_18TensorListMetadataILi2EEENS1_11CopyFunctorIdbLi2ELi1ELi1EEEJNS0_4CopyIdbEEEEEvT_T0_DpT1_,"axG",@progbits,_ZN2at6native12_GLOBAL__N_125multi_tensor_apply_kernelINS1_18TensorListMetadataILi2EEENS1_11CopyFunctorIdbLi2ELi1ELi1EEEJNS0_4CopyIdbEEEEEvT_T0_DpT1_,comdat
	.globl	_ZN2at6native12_GLOBAL__N_125multi_tensor_apply_kernelINS1_18TensorListMetadataILi2EEENS1_11CopyFunctorIdbLi2ELi1ELi1EEEJNS0_4CopyIdbEEEEEvT_T0_DpT1_ ; -- Begin function _ZN2at6native12_GLOBAL__N_125multi_tensor_apply_kernelINS1_18TensorListMetadataILi2EEENS1_11CopyFunctorIdbLi2ELi1ELi1EEEJNS0_4CopyIdbEEEEEvT_T0_DpT1_
	.p2align	8
	.type	_ZN2at6native12_GLOBAL__N_125multi_tensor_apply_kernelINS1_18TensorListMetadataILi2EEENS1_11CopyFunctorIdbLi2ELi1ELi1EEEJNS0_4CopyIdbEEEEEvT_T0_DpT1_,@function
_ZN2at6native12_GLOBAL__N_125multi_tensor_apply_kernelINS1_18TensorListMetadataILi2EEENS1_11CopyFunctorIdbLi2ELi1ELi1EEEJNS0_4CopyIdbEEEEEvT_T0_DpT1_: ; @_ZN2at6native12_GLOBAL__N_125multi_tensor_apply_kernelINS1_18TensorListMetadataILi2EEENS1_11CopyFunctorIdbLi2ELi1ELi1EEEJNS0_4CopyIdbEEEEEvT_T0_DpT1_
; %bb.0:
	v_mov_b32_e32 v1, s15
	s_add_u32 s2, s0, s15
	s_mul_hi_u32 s3, s15, 3
	s_mul_i32 s15, s15, 3
	s_addc_u32 s4, s1, 0
	global_load_u8 v1, v1, s[0:1] offset:1536
	s_add_u32 s2, s2, s15
	s_addc_u32 s3, s4, s3
	s_mov_b32 s17, 0
	s_load_b32 s12, s[2:3], 0x740
	s_mov_b32 s19, s17
	s_waitcnt lgkmcnt(0)
	s_ashr_i32 s13, s12, 31
	s_delay_alu instid0(SALU_CYCLE_1) | instskip(SKIP_2) | instid1(VALU_DEP_1)
	s_lshl_b64 s[10:11], s[12:13], 16
	s_waitcnt vmcnt(0)
	v_readfirstlane_b32 s5, v1
	s_lshl_b32 s2, s5, 3
	s_clause 0x2
	s_load_b64 s[8:9], s[0:1], s2 offset:0x0
	s_load_b64 s[14:15], s[0:1], s2 offset:0x200
	;; [unrolled: 1-line block ×3, first 2 shown]
	s_waitcnt lgkmcnt(0)
	s_add_u32 s3, s8, s10
	s_addc_u32 s6, s9, s11
	s_and_b32 s2, s14, 31
	s_and_b32 s7, s4, 3
	;; [unrolled: 1-line block ×3, first 2 shown]
	s_or_b32 s18, s7, s2
	s_mov_b32 s2, -1
	s_or_b64 s[16:17], s[16:17], s[18:19]
	s_sub_u32 s4, s4, s10
	s_subb_u32 s5, s5, s11
	s_cmp_eq_u64 s[16:17], 0
	s_cbranch_scc0 .LBB247_5
; %bb.1:
	v_dual_mov_b32 v2, 0 :: v_dual_lshlrev_b32 v1, 2, v0
	s_mov_b32 s7, exec_lo
	s_delay_alu instid0(VALU_DEP_1)
	v_cmpx_gt_i64_e64 s[4:5], v[1:2]
	s_cbranch_execz .LBB247_4
; %bb.2:
	s_load_b32 s2, s[0:1], 0xc5c
	v_lshlrev_b32_e32 v3, 5, v0
	s_lshl_b64 s[18:19], s[12:13], 19
	s_waitcnt lgkmcnt(0)
	s_and_b32 s2, s2, 0xffff
	s_delay_alu instid0(SALU_CYCLE_1) | instskip(SKIP_3) | instid1(VALU_DEP_1)
	s_lshl_b32 s16, s2, 2
	s_add_u32 s17, s14, s18
	s_addc_u32 s18, s15, s19
	v_add_co_u32 v3, s17, s17, v3
	v_add_co_ci_u32_e64 v4, null, s18, 0, s17
	s_mov_b32 s17, 0
	s_lshl_b32 s18, s2, 5
	s_set_inst_prefetch_distance 0x1
	.p2align	6
.LBB247_3:                              ; =>This Inner Loop Header: Depth=1
	v_add_co_u32 v5, vcc_lo, s3, v1
	v_add_co_ci_u32_e32 v6, vcc_lo, s6, v2, vcc_lo
	global_load_b32 v5, v[5:6], off
	s_waitcnt vmcnt(0)
	v_and_b32_e32 v7, 1, v5
	v_and_b32_e32 v8, 0x10000, v5
	v_lshrrev_b16 v6, 8, v5
	v_and_b32_e32 v5, 0x1000000, v5
	s_delay_alu instid0(VALU_DEP_4) | instskip(NEXT) | instid1(VALU_DEP_3)
	v_cmp_eq_u32_e32 vcc_lo, 1, v7
	v_and_b32_e32 v6, 1, v6
	v_cndmask_b32_e64 v7, 0, 1, vcc_lo
	v_cmp_ne_u32_e32 vcc_lo, 0, v8
	v_cndmask_b32_e64 v8, 0, 1, vcc_lo
	v_cmp_ne_u32_e32 vcc_lo, 0, v5
	s_delay_alu instid0(VALU_DEP_2) | instskip(SKIP_3) | instid1(VALU_DEP_3)
	v_cvt_f64_u32_e32 v[9:10], v8
	v_cndmask_b32_e64 v11, 0, 1, vcc_lo
	v_cmp_eq_u32_e32 vcc_lo, 1, v6
	v_cvt_f64_u32_e32 v[5:6], v7
	v_cvt_f64_u32_e32 v[11:12], v11
	v_cndmask_b32_e64 v13, 0, 1, vcc_lo
	v_add_co_u32 v1, vcc_lo, s16, v1
	v_add_co_ci_u32_e32 v2, vcc_lo, 0, v2, vcc_lo
	s_delay_alu instid0(VALU_DEP_3)
	v_cvt_f64_u32_e32 v[7:8], v13
	s_clause 0x1
	global_store_b128 v[3:4], v[5:8], off
	global_store_b128 v[3:4], v[9:12], off offset:16
	v_cmp_le_i64_e32 vcc_lo, s[4:5], v[1:2]
	v_cmp_lt_u64_e64 s2, 0xffff, v[1:2]
	s_delay_alu instid0(VALU_DEP_1) | instskip(SKIP_3) | instid1(SALU_CYCLE_1)
	s_or_b32 s2, vcc_lo, s2
	v_add_co_u32 v3, vcc_lo, v3, s18
	v_add_co_ci_u32_e32 v4, vcc_lo, 0, v4, vcc_lo
	s_and_b32 s2, exec_lo, s2
	s_or_b32 s17, s2, s17
	s_delay_alu instid0(SALU_CYCLE_1)
	s_and_not1_b32 exec_lo, exec_lo, s17
	s_cbranch_execnz .LBB247_3
.LBB247_4:
	s_set_inst_prefetch_distance 0x2
	s_or_b32 exec_lo, exec_lo, s7
	s_mov_b32 s2, 0
.LBB247_5:
	s_delay_alu instid0(SALU_CYCLE_1)
	s_and_not1_b32 vcc_lo, exec_lo, s2
	s_cbranch_vccnz .LBB247_25
; %bb.6:
	v_cmp_lt_i64_e64 s2, s[4:5], 1
	s_delay_alu instid0(VALU_DEP_1)
	s_and_b32 vcc_lo, exec_lo, s2
	s_cbranch_vccnz .LBB247_25
; %bb.7:
	s_load_b32 s0, s[0:1], 0xc5c
	v_cmp_gt_u64_e64 s1, 0x10000, s[4:5]
	v_add_co_u32 v3, s2, s10, v0
	s_delay_alu instid0(VALU_DEP_1) | instskip(SKIP_1) | instid1(VALU_DEP_3)
	v_add_co_ci_u32_e64 v4, null, s11, 0, s2
	v_lshlrev_b32_e32 v1, 3, v0
	v_add_co_u32 v13, vcc_lo, s8, v3
	s_delay_alu instid0(VALU_DEP_3)
	v_add_co_ci_u32_e32 v14, vcc_lo, s9, v4, vcc_lo
                                        ; implicit-def: $vgpr27
                                        ; implicit-def: $vgpr28
                                        ; implicit-def: $vgpr29
                                        ; implicit-def: $vgpr30
	s_waitcnt lgkmcnt(0)
	s_and_b32 s2, s0, 0xffff
	s_and_b32 s0, s1, exec_lo
	s_cselect_b32 s7, s5, 0
	s_cselect_b32 s6, s4, 0x10000
	s_lshl_b64 s[0:1], s[12:13], 19
	s_lshl_b32 s3, s2, 1
	s_lshl_b32 s12, s2, 2
	s_add_u32 s0, s14, s0
	s_mul_i32 s16, s2, 3
	s_addc_u32 s1, s15, s1
	s_lshl_b32 s13, s2, 5
	v_add_co_u32 v1, s15, s0, v1
	s_add_u32 s14, s10, s16
	v_add_co_ci_u32_e64 v2, null, s1, 0, s15
	s_addc_u32 s15, s11, 0
	s_add_u32 s14, s8, s14
	s_addc_u32 s15, s9, s15
	s_add_u32 s10, s10, s3
	v_add_co_u32 v21, s3, s3, v0
	s_delay_alu instid0(VALU_DEP_1)
	v_add_co_ci_u32_e64 v22, null, 0, 0, s3
	v_add_co_u32 v23, s3, v0, s2
	s_addc_u32 s11, s11, 0
	s_add_u32 s10, s8, s10
	s_addc_u32 s11, s9, s11
	v_add_co_u32 v19, s10, s10, v0
	v_lshlrev_b32_e32 v5, 3, v23
	v_add_co_ci_u32_e64 v20, null, s11, 0, s10
	s_lshl_b32 s10, s2, 4
	v_add_co_u32 v15, s14, s14, v0
	s_add_u32 s8, s8, s2
	v_add_co_ci_u32_e64 v16, null, s15, 0, s14
	v_add_co_u32 v17, s14, s16, v0
	s_addc_u32 s9, s9, 0
	v_add_co_u32 v25, vcc_lo, s8, v3
	v_add_co_u32 v3, s0, s0, v5
	v_add_co_ci_u32_e64 v18, null, 0, 0, s14
	v_add_co_ci_u32_e64 v24, null, 0, 0, s3
	v_add_co_ci_u32_e32 v26, vcc_lo, s9, v4, vcc_lo
	v_add_co_ci_u32_e64 v4, null, s1, 0, s0
	s_mul_i32 s11, s2, 24
	s_mov_b64 s[8:9], 0
	s_branch .LBB247_9
.LBB247_8:                              ;   in Loop: Header=BB247_9 Depth=1
	s_or_b32 exec_lo, exec_lo, s1
	s_add_u32 s8, s8, s12
	s_addc_u32 s9, s9, 0
	v_add_co_u32 v1, vcc_lo, v1, s13
	v_cmp_ge_i64_e64 s0, s[8:9], s[4:5]
	v_cmp_lt_u64_e64 s1, 0xffff, s[8:9]
	v_add_co_ci_u32_e32 v2, vcc_lo, 0, v2, vcc_lo
	v_add_co_u32 v3, vcc_lo, v3, s13
	v_add_co_ci_u32_e32 v4, vcc_lo, 0, v4, vcc_lo
	s_delay_alu instid0(VALU_DEP_4) | instskip(NEXT) | instid1(SALU_CYCLE_1)
	s_or_b32 s0, s0, s1
	s_and_b32 vcc_lo, exec_lo, s0
	s_cbranch_vccnz .LBB247_25
.LBB247_9:                              ; =>This Inner Loop Header: Depth=1
	v_add_co_u32 v5, s0, v0, s8
	s_delay_alu instid0(VALU_DEP_1) | instskip(NEXT) | instid1(VALU_DEP_1)
	v_add_co_ci_u32_e64 v6, null, 0, s9, s0
	v_cmp_gt_i64_e32 vcc_lo, s[4:5], v[5:6]
	v_cmp_gt_u64_e64 s0, 0x10000, v[5:6]
	s_delay_alu instid0(VALU_DEP_1) | instskip(NEXT) | instid1(SALU_CYCLE_1)
	s_and_b32 s1, vcc_lo, s0
	s_and_saveexec_b32 s0, s1
	s_cbranch_execz .LBB247_11
; %bb.10:                               ;   in Loop: Header=BB247_9 Depth=1
	v_add_co_u32 v7, vcc_lo, v13, s8
	v_add_co_ci_u32_e32 v8, vcc_lo, s9, v14, vcc_lo
	global_load_u8 v27, v[7:8], off
.LBB247_11:                             ;   in Loop: Header=BB247_9 Depth=1
	s_or_b32 exec_lo, exec_lo, s0
	v_add_co_u32 v7, vcc_lo, v23, s8
	v_add_co_ci_u32_e32 v8, vcc_lo, s9, v24, vcc_lo
	s_delay_alu instid0(VALU_DEP_1) | instskip(SKIP_1) | instid1(VALU_DEP_1)
	v_cmp_gt_i64_e32 vcc_lo, s[4:5], v[7:8]
	v_cmp_gt_u64_e64 s0, 0x10000, v[7:8]
	s_and_b32 s1, vcc_lo, s0
	s_delay_alu instid0(SALU_CYCLE_1)
	s_and_saveexec_b32 s0, s1
	s_cbranch_execz .LBB247_13
; %bb.12:                               ;   in Loop: Header=BB247_9 Depth=1
	v_add_co_u32 v9, vcc_lo, v25, s8
	v_add_co_ci_u32_e32 v10, vcc_lo, s9, v26, vcc_lo
	global_load_u8 v28, v[9:10], off
.LBB247_13:                             ;   in Loop: Header=BB247_9 Depth=1
	s_or_b32 exec_lo, exec_lo, s0
	v_add_co_u32 v9, vcc_lo, v21, s8
	v_add_co_ci_u32_e32 v10, vcc_lo, s9, v22, vcc_lo
	s_delay_alu instid0(VALU_DEP_1) | instskip(SKIP_1) | instid1(VALU_DEP_1)
	v_cmp_gt_i64_e32 vcc_lo, s[4:5], v[9:10]
	v_cmp_gt_u64_e64 s0, 0x10000, v[9:10]
	s_and_b32 s1, vcc_lo, s0
	s_delay_alu instid0(SALU_CYCLE_1)
	;; [unrolled: 15-line block ×3, first 2 shown]
	s_and_saveexec_b32 s0, s1
	s_cbranch_execz .LBB247_17
; %bb.16:                               ;   in Loop: Header=BB247_9 Depth=1
	v_add_co_u32 v30, vcc_lo, v15, s8
	v_add_co_ci_u32_e32 v31, vcc_lo, s9, v16, vcc_lo
	global_load_u8 v30, v[30:31], off
.LBB247_17:                             ;   in Loop: Header=BB247_9 Depth=1
	s_or_b32 exec_lo, exec_lo, s0
	s_waitcnt vmcnt(0)
	v_and_b32_e32 v31, 1, v27
	v_and_b32_e32 v32, 1, v28
	;; [unrolled: 1-line block ×4, first 2 shown]
	s_mov_b32 s14, exec_lo
	v_cmp_eq_u32_e64 s2, 1, v31
	v_cmp_eq_u32_e64 s1, 1, v32
	;; [unrolled: 1-line block ×3, first 2 shown]
	v_cmp_eq_u32_e32 vcc_lo, 1, v34
	v_cmpx_gt_u64_e64 s[6:7], v[5:6]
	s_cbranch_execnz .LBB247_21
; %bb.18:                               ;   in Loop: Header=BB247_9 Depth=1
	s_or_b32 exec_lo, exec_lo, s14
	s_delay_alu instid0(SALU_CYCLE_1)
	s_mov_b32 s3, exec_lo
	v_cmpx_gt_u64_e64 s[6:7], v[7:8]
	s_cbranch_execnz .LBB247_22
.LBB247_19:                             ;   in Loop: Header=BB247_9 Depth=1
	s_or_b32 exec_lo, exec_lo, s3
	s_delay_alu instid0(SALU_CYCLE_1)
	s_mov_b32 s2, exec_lo
	v_cmpx_gt_u64_e64 s[6:7], v[9:10]
	s_cbranch_execnz .LBB247_23
.LBB247_20:                             ;   in Loop: Header=BB247_9 Depth=1
	s_or_b32 exec_lo, exec_lo, s2
	s_delay_alu instid0(SALU_CYCLE_1)
	s_mov_b32 s1, exec_lo
	v_cmpx_gt_u64_e64 s[6:7], v[11:12]
	s_cbranch_execz .LBB247_8
	s_branch .LBB247_24
.LBB247_21:                             ;   in Loop: Header=BB247_9 Depth=1
	v_cndmask_b32_e64 v5, 0, 1, s2
	s_delay_alu instid0(VALU_DEP_1) | instskip(SKIP_2) | instid1(SALU_CYCLE_1)
	v_cvt_f64_u32_e32 v[5:6], v5
	global_store_b64 v[1:2], v[5:6], off
	s_or_b32 exec_lo, exec_lo, s14
	s_mov_b32 s3, exec_lo
	v_cmpx_gt_u64_e64 s[6:7], v[7:8]
	s_cbranch_execz .LBB247_19
.LBB247_22:                             ;   in Loop: Header=BB247_9 Depth=1
	v_cndmask_b32_e64 v5, 0, 1, s1
	s_delay_alu instid0(VALU_DEP_1) | instskip(SKIP_2) | instid1(SALU_CYCLE_1)
	v_cvt_f64_u32_e32 v[5:6], v5
	global_store_b64 v[3:4], v[5:6], off
	s_or_b32 exec_lo, exec_lo, s3
	s_mov_b32 s2, exec_lo
	v_cmpx_gt_u64_e64 s[6:7], v[9:10]
	s_cbranch_execz .LBB247_20
.LBB247_23:                             ;   in Loop: Header=BB247_9 Depth=1
	v_cndmask_b32_e64 v5, 0, 1, s0
	v_add_co_u32 v7, s0, v1, s10
	s_delay_alu instid0(VALU_DEP_1) | instskip(NEXT) | instid1(VALU_DEP_3)
	v_add_co_ci_u32_e64 v8, s0, 0, v2, s0
	v_cvt_f64_u32_e32 v[5:6], v5
	global_store_b64 v[7:8], v[5:6], off
	s_or_b32 exec_lo, exec_lo, s2
	s_delay_alu instid0(SALU_CYCLE_1)
	s_mov_b32 s1, exec_lo
	v_cmpx_gt_u64_e64 s[6:7], v[11:12]
	s_cbranch_execz .LBB247_8
.LBB247_24:                             ;   in Loop: Header=BB247_9 Depth=1
	v_cndmask_b32_e64 v5, 0, 1, vcc_lo
	v_add_co_u32 v7, vcc_lo, v1, s11
	v_add_co_ci_u32_e32 v8, vcc_lo, 0, v2, vcc_lo
	s_delay_alu instid0(VALU_DEP_3)
	v_cvt_f64_u32_e32 v[5:6], v5
	global_store_b64 v[7:8], v[5:6], off
	s_branch .LBB247_8
.LBB247_25:
	s_nop 0
	s_sendmsg sendmsg(MSG_DEALLOC_VGPRS)
	s_endpgm
	.section	.rodata,"a",@progbits
	.p2align	6, 0x0
	.amdhsa_kernel _ZN2at6native12_GLOBAL__N_125multi_tensor_apply_kernelINS1_18TensorListMetadataILi2EEENS1_11CopyFunctorIdbLi2ELi1ELi1EEEJNS0_4CopyIdbEEEEEvT_T0_DpT1_
		.amdhsa_group_segment_fixed_size 0
		.amdhsa_private_segment_fixed_size 0
		.amdhsa_kernarg_size 3408
		.amdhsa_user_sgpr_count 15
		.amdhsa_user_sgpr_dispatch_ptr 0
		.amdhsa_user_sgpr_queue_ptr 0
		.amdhsa_user_sgpr_kernarg_segment_ptr 1
		.amdhsa_user_sgpr_dispatch_id 0
		.amdhsa_user_sgpr_private_segment_size 0
		.amdhsa_wavefront_size32 1
		.amdhsa_uses_dynamic_stack 0
		.amdhsa_enable_private_segment 0
		.amdhsa_system_sgpr_workgroup_id_x 1
		.amdhsa_system_sgpr_workgroup_id_y 0
		.amdhsa_system_sgpr_workgroup_id_z 0
		.amdhsa_system_sgpr_workgroup_info 0
		.amdhsa_system_vgpr_workitem_id 0
		.amdhsa_next_free_vgpr 35
		.amdhsa_next_free_sgpr 20
		.amdhsa_reserve_vcc 1
		.amdhsa_float_round_mode_32 0
		.amdhsa_float_round_mode_16_64 0
		.amdhsa_float_denorm_mode_32 3
		.amdhsa_float_denorm_mode_16_64 3
		.amdhsa_dx10_clamp 1
		.amdhsa_ieee_mode 1
		.amdhsa_fp16_overflow 0
		.amdhsa_workgroup_processor_mode 1
		.amdhsa_memory_ordered 1
		.amdhsa_forward_progress 0
		.amdhsa_shared_vgpr_count 0
		.amdhsa_exception_fp_ieee_invalid_op 0
		.amdhsa_exception_fp_denorm_src 0
		.amdhsa_exception_fp_ieee_div_zero 0
		.amdhsa_exception_fp_ieee_overflow 0
		.amdhsa_exception_fp_ieee_underflow 0
		.amdhsa_exception_fp_ieee_inexact 0
		.amdhsa_exception_int_div_zero 0
	.end_amdhsa_kernel
	.section	.text._ZN2at6native12_GLOBAL__N_125multi_tensor_apply_kernelINS1_18TensorListMetadataILi2EEENS1_11CopyFunctorIdbLi2ELi1ELi1EEEJNS0_4CopyIdbEEEEEvT_T0_DpT1_,"axG",@progbits,_ZN2at6native12_GLOBAL__N_125multi_tensor_apply_kernelINS1_18TensorListMetadataILi2EEENS1_11CopyFunctorIdbLi2ELi1ELi1EEEJNS0_4CopyIdbEEEEEvT_T0_DpT1_,comdat
.Lfunc_end247:
	.size	_ZN2at6native12_GLOBAL__N_125multi_tensor_apply_kernelINS1_18TensorListMetadataILi2EEENS1_11CopyFunctorIdbLi2ELi1ELi1EEEJNS0_4CopyIdbEEEEEvT_T0_DpT1_, .Lfunc_end247-_ZN2at6native12_GLOBAL__N_125multi_tensor_apply_kernelINS1_18TensorListMetadataILi2EEENS1_11CopyFunctorIdbLi2ELi1ELi1EEEJNS0_4CopyIdbEEEEEvT_T0_DpT1_
                                        ; -- End function
	.section	.AMDGPU.csdata,"",@progbits
; Kernel info:
; codeLenInByte = 1536
; NumSgprs: 22
; NumVgprs: 35
; ScratchSize: 0
; MemoryBound: 0
; FloatMode: 240
; IeeeMode: 1
; LDSByteSize: 0 bytes/workgroup (compile time only)
; SGPRBlocks: 2
; VGPRBlocks: 4
; NumSGPRsForWavesPerEU: 22
; NumVGPRsForWavesPerEU: 35
; Occupancy: 16
; WaveLimiterHint : 0
; COMPUTE_PGM_RSRC2:SCRATCH_EN: 0
; COMPUTE_PGM_RSRC2:USER_SGPR: 15
; COMPUTE_PGM_RSRC2:TRAP_HANDLER: 0
; COMPUTE_PGM_RSRC2:TGID_X_EN: 1
; COMPUTE_PGM_RSRC2:TGID_Y_EN: 0
; COMPUTE_PGM_RSRC2:TGID_Z_EN: 0
; COMPUTE_PGM_RSRC2:TIDIG_COMP_CNT: 0
	.section	.text._ZN2at6native12_GLOBAL__N_125multi_tensor_apply_kernelINS1_18TensorListMetadataILi2EEENS1_11CopyFunctorIdN3c1013Float8_e4m3fnELi2ELi1ELi1EEEJNS0_4CopyIdS7_EEEEEvT_T0_DpT1_,"axG",@progbits,_ZN2at6native12_GLOBAL__N_125multi_tensor_apply_kernelINS1_18TensorListMetadataILi2EEENS1_11CopyFunctorIdN3c1013Float8_e4m3fnELi2ELi1ELi1EEEJNS0_4CopyIdS7_EEEEEvT_T0_DpT1_,comdat
	.globl	_ZN2at6native12_GLOBAL__N_125multi_tensor_apply_kernelINS1_18TensorListMetadataILi2EEENS1_11CopyFunctorIdN3c1013Float8_e4m3fnELi2ELi1ELi1EEEJNS0_4CopyIdS7_EEEEEvT_T0_DpT1_ ; -- Begin function _ZN2at6native12_GLOBAL__N_125multi_tensor_apply_kernelINS1_18TensorListMetadataILi2EEENS1_11CopyFunctorIdN3c1013Float8_e4m3fnELi2ELi1ELi1EEEJNS0_4CopyIdS7_EEEEEvT_T0_DpT1_
	.p2align	8
	.type	_ZN2at6native12_GLOBAL__N_125multi_tensor_apply_kernelINS1_18TensorListMetadataILi2EEENS1_11CopyFunctorIdN3c1013Float8_e4m3fnELi2ELi1ELi1EEEJNS0_4CopyIdS7_EEEEEvT_T0_DpT1_,@function
_ZN2at6native12_GLOBAL__N_125multi_tensor_apply_kernelINS1_18TensorListMetadataILi2EEENS1_11CopyFunctorIdN3c1013Float8_e4m3fnELi2ELi1ELi1EEEJNS0_4CopyIdS7_EEEEEvT_T0_DpT1_: ; @_ZN2at6native12_GLOBAL__N_125multi_tensor_apply_kernelINS1_18TensorListMetadataILi2EEENS1_11CopyFunctorIdN3c1013Float8_e4m3fnELi2ELi1ELi1EEEJNS0_4CopyIdS7_EEEEEvT_T0_DpT1_
; %bb.0:
	v_mov_b32_e32 v1, s15
	s_add_u32 s2, s0, s15
	s_mul_hi_u32 s3, s15, 3
	s_mul_i32 s15, s15, 3
	s_addc_u32 s4, s1, 0
	global_load_u8 v1, v1, s[0:1] offset:1536
	s_add_u32 s2, s2, s15
	s_addc_u32 s3, s4, s3
	s_load_b32 s10, s[2:3], 0x740
	s_waitcnt lgkmcnt(0)
	s_ashr_i32 s11, s10, 31
	s_delay_alu instid0(SALU_CYCLE_1) | instskip(SKIP_2) | instid1(VALU_DEP_1)
	s_lshl_b64 s[8:9], s[10:11], 16
	s_waitcnt vmcnt(0)
	v_readfirstlane_b32 s5, v1
	s_lshl_b32 s2, s5, 3
	s_mov_b32 s5, 0
	s_clause 0x2
	s_load_b64 s[6:7], s[0:1], s2 offset:0x0
	s_load_b64 s[12:13], s[0:1], s2 offset:0x200
	;; [unrolled: 1-line block ×3, first 2 shown]
	s_waitcnt lgkmcnt(0)
	s_add_u32 s14, s6, s8
	s_addc_u32 s15, s7, s9
	s_and_b32 s16, s12, 31
	s_and_b32 s17, s2, 3
	;; [unrolled: 1-line block ×3, first 2 shown]
	s_or_b32 s16, s17, s16
	s_mov_b32 s17, s5
	s_delay_alu instid0(SALU_CYCLE_1)
	s_or_b64 s[16:17], s[4:5], s[16:17]
	s_sub_u32 s4, s2, s8
	s_subb_u32 s5, s3, s9
	s_cmp_eq_u64 s[16:17], 0
	s_mov_b32 s2, -1
	s_cbranch_scc0 .LBB248_5
; %bb.1:
	v_dual_mov_b32 v2, 0 :: v_dual_lshlrev_b32 v1, 2, v0
	s_mov_b32 s16, exec_lo
	s_delay_alu instid0(VALU_DEP_1)
	v_cmpx_gt_i64_e64 s[4:5], v[1:2]
	s_cbranch_execz .LBB248_4
; %bb.2:
	s_load_b32 s17, s[0:1], 0xc5c
	v_lshlrev_b32_e32 v3, 5, v0
	s_lshl_b64 s[2:3], s[10:11], 19
	s_mov_b32 s18, 0
	s_waitcnt lgkmcnt(0)
	s_and_b32 s19, s17, 0xffff
	s_delay_alu instid0(SALU_CYCLE_1) | instskip(SKIP_3) | instid1(VALU_DEP_1)
	s_lshl_b32 s17, s19, 2
	s_add_u32 s2, s12, s2
	s_addc_u32 s3, s13, s3
	v_add_co_u32 v3, s2, s2, v3
	v_add_co_ci_u32_e64 v4, null, s3, 0, s2
	s_lshl_b32 s19, s19, 5
.LBB248_3:                              ; =>This Inner Loop Header: Depth=1
	v_add_co_u32 v5, vcc_lo, s14, v1
	v_add_co_ci_u32_e32 v6, vcc_lo, s15, v2, vcc_lo
	global_load_b32 v5, v[5:6], off
	s_waitcnt vmcnt(0)
	v_and_b32_e32 v9, 0x7f000000, v5
	v_lshlrev_b32_e32 v8, 8, v5
	v_lshlrev_b32_e32 v6, 24, v5
	;; [unrolled: 1-line block ×3, first 2 shown]
	s_delay_alu instid0(VALU_DEP_4) | instskip(NEXT) | instid1(VALU_DEP_4)
	v_clz_i32_u32_e32 v13, v9
	v_and_b32_e32 v12, 0x7f000000, v8
	v_add_nc_u32_e32 v14, 0x1000000, v9
	v_and_b32_e32 v10, 0x7f000000, v6
	v_cmp_ne_u32_e32 vcc_lo, 0, v9
	v_min_u32_e32 v13, 32, v13
	v_clz_i32_u32_e32 v19, v12
	v_ashrrev_i32_e32 v14, 8, v14
	v_clz_i32_u32_e32 v15, v10
	v_add_nc_u32_e32 v20, 0x1000000, v12
	v_sub_nc_u32_e64 v13, v13, 4 clamp
	v_min_u32_e32 v19, 32, v19
	v_cmp_ne_u32_e64 s3, 0, v12
	v_min_u32_e32 v15, 32, v15
	v_add_nc_u32_e32 v16, 0x1000000, v10
	v_lshlrev_b32_e32 v21, v13, v9
	v_lshlrev_b32_e32 v13, 23, v13
	v_sub_nc_u32_e64 v19, v19, 4 clamp
	v_sub_nc_u32_e64 v15, v15, 4 clamp
	v_ashrrev_i32_e32 v16, 8, v16
	v_lshrrev_b32_e32 v21, 4, v21
	v_ashrrev_i32_e32 v20, 8, v20
	v_lshlrev_b32_e32 v24, v19, v12
	v_lshlrev_b32_e32 v22, v15, v10
	;; [unrolled: 1-line block ×3, first 2 shown]
	v_sub_nc_u32_e32 v13, v21, v13
	v_lshlrev_b32_e32 v19, 23, v19
	v_lshrrev_b32_e32 v24, 4, v24
	v_lshrrev_b32_e32 v22, 4, v22
	s_delay_alu instid0(VALU_DEP_4) | instskip(NEXT) | instid1(VALU_DEP_3)
	v_add_nc_u32_e32 v13, 0x3c000000, v13
	v_sub_nc_u32_e32 v19, v24, v19
	s_delay_alu instid0(VALU_DEP_3) | instskip(NEXT) | instid1(VALU_DEP_3)
	v_sub_nc_u32_e32 v15, v22, v15
	v_and_or_b32 v13, 0x7f800000, v14, v13
	v_and_b32_e32 v11, 0x7f000000, v7
	s_delay_alu instid0(VALU_DEP_4) | instskip(NEXT) | instid1(VALU_DEP_3)
	v_add_nc_u32_e32 v19, 0x3c000000, v19
	v_dual_cndmask_b32 v12, 0, v13 :: v_dual_add_nc_u32 v15, 0x3c000000, v15
	s_delay_alu instid0(VALU_DEP_3) | instskip(SKIP_1) | instid1(VALU_DEP_3)
	v_clz_i32_u32_e32 v17, v11
	v_add_nc_u32_e32 v18, 0x1000000, v11
	v_and_or_b32 v9, 0x7f800000, v16, v15
	v_cmp_ne_u32_e64 s2, 0, v11
	v_cmp_ne_u32_e32 vcc_lo, 0, v10
	v_min_u32_e32 v17, 32, v17
	v_ashrrev_i32_e32 v18, 8, v18
	v_and_or_b32 v5, 0x80000000, v5, v12
	v_cndmask_b32_e32 v9, 0, v9, vcc_lo
	s_delay_alu instid0(VALU_DEP_4) | instskip(SKIP_2) | instid1(VALU_DEP_3)
	v_sub_nc_u32_e64 v17, v17, 4 clamp
	v_add_co_u32 v1, vcc_lo, s17, v1
	v_add_co_ci_u32_e32 v2, vcc_lo, 0, v2, vcc_lo
	v_lshlrev_b32_e32 v23, v17, v11
	v_lshlrev_b32_e32 v17, 23, v17
	v_and_or_b32 v11, 0x7f800000, v20, v19
	v_and_or_b32 v6, 0x80000000, v6, v9
	v_cmp_le_i64_e32 vcc_lo, s[4:5], v[1:2]
	v_lshrrev_b32_e32 v23, 4, v23
	s_delay_alu instid0(VALU_DEP_4) | instskip(NEXT) | instid1(VALU_DEP_2)
	v_cndmask_b32_e64 v11, 0, v11, s3
	v_sub_nc_u32_e32 v17, v23, v17
	s_delay_alu instid0(VALU_DEP_2) | instskip(NEXT) | instid1(VALU_DEP_2)
	v_and_or_b32 v13, 0x80000000, v8, v11
	v_add_nc_u32_e32 v17, 0x3c000000, v17
	s_delay_alu instid0(VALU_DEP_1) | instskip(NEXT) | instid1(VALU_DEP_1)
	v_and_or_b32 v14, 0x7f800000, v18, v17
	v_cndmask_b32_e64 v10, 0, v14, s2
	v_cmp_lt_u64_e64 s2, 0xffff, v[1:2]
	s_delay_alu instid0(VALU_DEP_2)
	v_and_or_b32 v12, 0x80000000, v7, v10
	v_cvt_f64_f32_e32 v[9:10], v6
	v_cvt_f64_f32_e32 v[7:8], v5
	;; [unrolled: 1-line block ×3, first 2 shown]
	s_or_b32 s2, vcc_lo, s2
	v_cvt_f64_f32_e32 v[11:12], v12
	s_and_b32 s2, exec_lo, s2
	s_clause 0x1
	global_store_b128 v[3:4], v[9:12], off
	global_store_b128 v[3:4], v[5:8], off offset:16
	v_add_co_u32 v3, vcc_lo, v3, s19
	v_add_co_ci_u32_e32 v4, vcc_lo, 0, v4, vcc_lo
	s_or_b32 s18, s2, s18
	s_delay_alu instid0(SALU_CYCLE_1)
	s_and_not1_b32 exec_lo, exec_lo, s18
	s_cbranch_execnz .LBB248_3
.LBB248_4:
	s_or_b32 exec_lo, exec_lo, s16
	s_mov_b32 s2, 0
.LBB248_5:
	s_delay_alu instid0(SALU_CYCLE_1)
	s_and_not1_b32 vcc_lo, exec_lo, s2
	s_cbranch_vccnz .LBB248_25
; %bb.6:
	v_cmp_lt_i64_e64 s2, s[4:5], 1
	s_delay_alu instid0(VALU_DEP_1)
	s_and_b32 vcc_lo, exec_lo, s2
	s_cbranch_vccnz .LBB248_25
; %bb.7:
	s_load_b32 s0, s[0:1], 0xc5c
	v_cmp_gt_u64_e64 s1, 0x10000, s[4:5]
	v_add_co_u32 v3, s2, s8, v0
	v_lshlrev_b32_e32 v1, 3, v0
	v_add_co_ci_u32_e64 v4, null, s9, 0, s2
	s_delay_alu instid0(VALU_DEP_3) | instskip(NEXT) | instid1(VALU_DEP_2)
	v_add_co_u32 v13, vcc_lo, s6, v3
                                        ; implicit-def: $vgpr27
                                        ; implicit-def: $vgpr28
                                        ; implicit-def: $vgpr29
                                        ; implicit-def: $vgpr30
	v_add_co_ci_u32_e32 v14, vcc_lo, s7, v4, vcc_lo
	s_waitcnt lgkmcnt(0)
	s_and_b32 s0, s0, 0xffff
	s_and_b32 s1, s1, exec_lo
	s_cselect_b32 s3, s5, 0
	s_cselect_b32 s2, s4, 0x10000
	s_lshl_b64 s[10:11], s[10:11], 19
	s_lshl_b32 s14, s0, 1
	s_lshl_b32 s1, s0, 2
	s_add_u32 s12, s12, s10
	s_mul_i32 s15, s0, 3
	s_addc_u32 s11, s13, s11
	s_lshl_b32 s10, s0, 5
	v_add_co_u32 v1, s16, s12, v1
	s_add_u32 s13, s8, s15
	v_add_co_ci_u32_e64 v2, null, s11, 0, s16
	s_addc_u32 s16, s9, 0
	s_add_u32 s13, s6, s13
	s_addc_u32 s16, s7, s16
	s_add_u32 s8, s8, s14
	;; [unrolled: 2-line block ×3, first 2 shown]
	s_addc_u32 s9, s7, s9
	v_add_co_u32 v19, s8, s8, v0
	s_delay_alu instid0(VALU_DEP_1) | instskip(SKIP_1) | instid1(VALU_DEP_1)
	v_add_co_ci_u32_e64 v20, null, s9, 0, s8
	v_add_co_u32 v21, s9, s14, v0
	v_add_co_ci_u32_e64 v22, null, 0, 0, s9
	v_add_co_u32 v23, s9, v0, s0
	s_lshl_b32 s8, s0, 4
	v_add_co_u32 v15, s13, s13, v0
	s_delay_alu instid0(VALU_DEP_2)
	v_lshlrev_b32_e32 v5, 3, v23
	s_add_u32 s6, s6, s0
	v_add_co_ci_u32_e64 v16, null, s16, 0, s13
	v_add_co_u32 v17, s13, s15, v0
	s_addc_u32 s7, s7, 0
	v_add_co_u32 v25, vcc_lo, s6, v3
	v_add_co_u32 v3, s6, s12, v5
	v_add_co_ci_u32_e64 v18, null, 0, 0, s13
	v_add_co_ci_u32_e64 v24, null, 0, 0, s9
	v_add_co_ci_u32_e32 v26, vcc_lo, s7, v4, vcc_lo
	v_add_co_ci_u32_e64 v4, null, s11, 0, s6
	s_mul_i32 s9, s0, 24
	s_mov_b64 s[6:7], 0
	s_branch .LBB248_9
.LBB248_8:                              ;   in Loop: Header=BB248_9 Depth=1
	s_or_b32 exec_lo, exec_lo, s0
	s_add_u32 s6, s6, s1
	s_addc_u32 s7, s7, 0
	v_add_co_u32 v1, vcc_lo, v1, s10
	v_cmp_ge_i64_e64 s0, s[6:7], s[4:5]
	v_cmp_lt_u64_e64 s11, 0xffff, s[6:7]
	v_add_co_ci_u32_e32 v2, vcc_lo, 0, v2, vcc_lo
	v_add_co_u32 v3, vcc_lo, v3, s10
	v_add_co_ci_u32_e32 v4, vcc_lo, 0, v4, vcc_lo
	s_delay_alu instid0(VALU_DEP_4) | instskip(NEXT) | instid1(SALU_CYCLE_1)
	s_or_b32 s0, s0, s11
	s_and_b32 vcc_lo, exec_lo, s0
	s_cbranch_vccnz .LBB248_25
.LBB248_9:                              ; =>This Inner Loop Header: Depth=1
	v_add_co_u32 v11, s0, v0, s6
	s_delay_alu instid0(VALU_DEP_1) | instskip(NEXT) | instid1(VALU_DEP_1)
	v_add_co_ci_u32_e64 v12, null, 0, s7, s0
	v_cmp_gt_i64_e32 vcc_lo, s[4:5], v[11:12]
	v_cmp_gt_u64_e64 s0, 0x10000, v[11:12]
	s_delay_alu instid0(VALU_DEP_1) | instskip(NEXT) | instid1(SALU_CYCLE_1)
	s_and_b32 s11, vcc_lo, s0
	s_and_saveexec_b32 s0, s11
	s_cbranch_execz .LBB248_11
; %bb.10:                               ;   in Loop: Header=BB248_9 Depth=1
	v_add_co_u32 v5, vcc_lo, v13, s6
	v_add_co_ci_u32_e32 v6, vcc_lo, s7, v14, vcc_lo
	global_load_u8 v30, v[5:6], off
.LBB248_11:                             ;   in Loop: Header=BB248_9 Depth=1
	s_or_b32 exec_lo, exec_lo, s0
	v_add_co_u32 v9, vcc_lo, v23, s6
	v_add_co_ci_u32_e32 v10, vcc_lo, s7, v24, vcc_lo
	s_delay_alu instid0(VALU_DEP_1) | instskip(SKIP_1) | instid1(VALU_DEP_1)
	v_cmp_gt_i64_e32 vcc_lo, s[4:5], v[9:10]
	v_cmp_gt_u64_e64 s0, 0x10000, v[9:10]
	s_and_b32 s11, vcc_lo, s0
	s_delay_alu instid0(SALU_CYCLE_1)
	s_and_saveexec_b32 s0, s11
	s_cbranch_execz .LBB248_13
; %bb.12:                               ;   in Loop: Header=BB248_9 Depth=1
	v_add_co_u32 v5, vcc_lo, v25, s6
	v_add_co_ci_u32_e32 v6, vcc_lo, s7, v26, vcc_lo
	global_load_u8 v29, v[5:6], off
.LBB248_13:                             ;   in Loop: Header=BB248_9 Depth=1
	s_or_b32 exec_lo, exec_lo, s0
	v_add_co_u32 v7, vcc_lo, v21, s6
	v_add_co_ci_u32_e32 v8, vcc_lo, s7, v22, vcc_lo
	s_delay_alu instid0(VALU_DEP_1) | instskip(SKIP_1) | instid1(VALU_DEP_1)
	v_cmp_gt_i64_e32 vcc_lo, s[4:5], v[7:8]
	v_cmp_gt_u64_e64 s0, 0x10000, v[7:8]
	s_and_b32 s11, vcc_lo, s0
	s_delay_alu instid0(SALU_CYCLE_1)
	;; [unrolled: 15-line block ×3, first 2 shown]
	s_and_saveexec_b32 s0, s11
	s_cbranch_execnz .LBB248_20
; %bb.16:                               ;   in Loop: Header=BB248_9 Depth=1
	s_or_b32 exec_lo, exec_lo, s0
	s_delay_alu instid0(SALU_CYCLE_1)
	s_mov_b32 s0, exec_lo
	v_cmpx_gt_u64_e64 s[2:3], v[11:12]
	s_cbranch_execnz .LBB248_21
.LBB248_17:                             ;   in Loop: Header=BB248_9 Depth=1
	s_or_b32 exec_lo, exec_lo, s0
	s_delay_alu instid0(SALU_CYCLE_1)
	s_mov_b32 s0, exec_lo
	v_cmpx_gt_u64_e64 s[2:3], v[9:10]
	s_cbranch_execnz .LBB248_22
.LBB248_18:                             ;   in Loop: Header=BB248_9 Depth=1
	s_or_b32 exec_lo, exec_lo, s0
	s_delay_alu instid0(SALU_CYCLE_1)
	s_mov_b32 s0, exec_lo
	v_cmpx_gt_u64_e64 s[2:3], v[7:8]
	s_cbranch_execnz .LBB248_23
.LBB248_19:                             ;   in Loop: Header=BB248_9 Depth=1
	s_or_b32 exec_lo, exec_lo, s0
	s_delay_alu instid0(SALU_CYCLE_1)
	s_mov_b32 s0, exec_lo
	v_cmpx_gt_u64_e64 s[2:3], v[5:6]
	s_cbranch_execz .LBB248_8
	s_branch .LBB248_24
.LBB248_20:                             ;   in Loop: Header=BB248_9 Depth=1
	v_add_co_u32 v31, vcc_lo, v15, s6
	v_add_co_ci_u32_e32 v32, vcc_lo, s7, v16, vcc_lo
	global_load_u8 v27, v[31:32], off
	s_or_b32 exec_lo, exec_lo, s0
	s_delay_alu instid0(SALU_CYCLE_1)
	s_mov_b32 s0, exec_lo
	v_cmpx_gt_u64_e64 s[2:3], v[11:12]
	s_cbranch_execz .LBB248_17
.LBB248_21:                             ;   in Loop: Header=BB248_9 Depth=1
	s_waitcnt vmcnt(0)
	v_lshlrev_b32_e32 v11, 24, v30
	s_delay_alu instid0(VALU_DEP_1) | instskip(NEXT) | instid1(VALU_DEP_1)
	v_and_b32_e32 v12, 0x7f000000, v11
	v_clz_i32_u32_e32 v31, v12
	v_cmp_ne_u32_e32 vcc_lo, 0, v12
	s_delay_alu instid0(VALU_DEP_2) | instskip(NEXT) | instid1(VALU_DEP_1)
	v_min_u32_e32 v31, 32, v31
	v_sub_nc_u32_e64 v31, v31, 4 clamp
	s_delay_alu instid0(VALU_DEP_1) | instskip(SKIP_1) | instid1(VALU_DEP_2)
	v_lshlrev_b32_e32 v32, v31, v12
	v_lshlrev_b32_e32 v31, 23, v31
	v_lshrrev_b32_e32 v32, 4, v32
	s_delay_alu instid0(VALU_DEP_1) | instskip(SKIP_1) | instid1(VALU_DEP_2)
	v_sub_nc_u32_e32 v31, v32, v31
	v_add_nc_u32_e32 v32, 0x1000000, v12
	v_add_nc_u32_e32 v31, 0x3c000000, v31
	s_delay_alu instid0(VALU_DEP_2) | instskip(NEXT) | instid1(VALU_DEP_1)
	v_ashrrev_i32_e32 v32, 8, v32
	v_and_or_b32 v31, 0x7f800000, v32, v31
	s_delay_alu instid0(VALU_DEP_1) | instskip(NEXT) | instid1(VALU_DEP_1)
	v_cndmask_b32_e32 v12, 0, v31, vcc_lo
	v_and_or_b32 v11, 0x80000000, v11, v12
	s_delay_alu instid0(VALU_DEP_1) | instskip(SKIP_2) | instid1(SALU_CYCLE_1)
	v_cvt_f64_f32_e32 v[11:12], v11
	global_store_b64 v[1:2], v[11:12], off
	s_or_b32 exec_lo, exec_lo, s0
	s_mov_b32 s0, exec_lo
	v_cmpx_gt_u64_e64 s[2:3], v[9:10]
	s_cbranch_execz .LBB248_18
.LBB248_22:                             ;   in Loop: Header=BB248_9 Depth=1
	s_waitcnt vmcnt(0)
	v_lshlrev_b32_e32 v9, 24, v29
	s_delay_alu instid0(VALU_DEP_1) | instskip(NEXT) | instid1(VALU_DEP_1)
	v_and_b32_e32 v10, 0x7f000000, v9
	v_clz_i32_u32_e32 v11, v10
	v_add_nc_u32_e32 v31, 0x1000000, v10
	v_cmp_ne_u32_e32 vcc_lo, 0, v10
	s_delay_alu instid0(VALU_DEP_3) | instskip(NEXT) | instid1(VALU_DEP_1)
	v_min_u32_e32 v11, 32, v11
	v_sub_nc_u32_e64 v11, v11, 4 clamp
	s_delay_alu instid0(VALU_DEP_1) | instskip(SKIP_1) | instid1(VALU_DEP_2)
	v_lshlrev_b32_e32 v12, v11, v10
	v_lshlrev_b32_e32 v11, 23, v11
	v_lshrrev_b32_e32 v12, 4, v12
	s_delay_alu instid0(VALU_DEP_1) | instskip(SKIP_1) | instid1(VALU_DEP_2)
	v_sub_nc_u32_e32 v11, v12, v11
	v_ashrrev_i32_e32 v12, 8, v31
	v_add_nc_u32_e32 v11, 0x3c000000, v11
	s_delay_alu instid0(VALU_DEP_1) | instskip(NEXT) | instid1(VALU_DEP_1)
	v_and_or_b32 v11, 0x7f800000, v12, v11
	v_cndmask_b32_e32 v10, 0, v11, vcc_lo
	s_delay_alu instid0(VALU_DEP_1) | instskip(NEXT) | instid1(VALU_DEP_1)
	v_and_or_b32 v9, 0x80000000, v9, v10
	v_cvt_f64_f32_e32 v[9:10], v9
	global_store_b64 v[3:4], v[9:10], off
	s_or_b32 exec_lo, exec_lo, s0
	s_delay_alu instid0(SALU_CYCLE_1)
	s_mov_b32 s0, exec_lo
	v_cmpx_gt_u64_e64 s[2:3], v[7:8]
	s_cbranch_execz .LBB248_19
.LBB248_23:                             ;   in Loop: Header=BB248_9 Depth=1
	s_waitcnt vmcnt(0)
	v_lshlrev_b32_e32 v7, 24, v28
	s_delay_alu instid0(VALU_DEP_1) | instskip(NEXT) | instid1(VALU_DEP_1)
	v_and_b32_e32 v8, 0x7f000000, v7
	v_clz_i32_u32_e32 v9, v8
	v_add_nc_u32_e32 v11, 0x1000000, v8
	v_cmp_ne_u32_e32 vcc_lo, 0, v8
	s_delay_alu instid0(VALU_DEP_3) | instskip(NEXT) | instid1(VALU_DEP_1)
	v_min_u32_e32 v9, 32, v9
	v_sub_nc_u32_e64 v9, v9, 4 clamp
	s_delay_alu instid0(VALU_DEP_1) | instskip(SKIP_1) | instid1(VALU_DEP_2)
	v_lshlrev_b32_e32 v10, v9, v8
	v_lshlrev_b32_e32 v9, 23, v9
	v_lshrrev_b32_e32 v10, 4, v10
	s_delay_alu instid0(VALU_DEP_1) | instskip(SKIP_1) | instid1(VALU_DEP_2)
	v_sub_nc_u32_e32 v9, v10, v9
	v_ashrrev_i32_e32 v10, 8, v11
	v_add_nc_u32_e32 v9, 0x3c000000, v9
	s_delay_alu instid0(VALU_DEP_1) | instskip(NEXT) | instid1(VALU_DEP_1)
	v_and_or_b32 v9, 0x7f800000, v10, v9
	v_cndmask_b32_e32 v8, 0, v9, vcc_lo
	v_add_co_u32 v9, vcc_lo, v1, s8
	v_add_co_ci_u32_e32 v10, vcc_lo, 0, v2, vcc_lo
	s_delay_alu instid0(VALU_DEP_3) | instskip(NEXT) | instid1(VALU_DEP_1)
	v_and_or_b32 v7, 0x80000000, v7, v8
	v_cvt_f64_f32_e32 v[7:8], v7
	global_store_b64 v[9:10], v[7:8], off
	s_or_b32 exec_lo, exec_lo, s0
	s_delay_alu instid0(SALU_CYCLE_1)
	s_mov_b32 s0, exec_lo
	v_cmpx_gt_u64_e64 s[2:3], v[5:6]
	s_cbranch_execz .LBB248_8
.LBB248_24:                             ;   in Loop: Header=BB248_9 Depth=1
	s_waitcnt vmcnt(0)
	v_lshlrev_b32_e32 v5, 24, v27
	s_delay_alu instid0(VALU_DEP_1) | instskip(NEXT) | instid1(VALU_DEP_1)
	v_and_b32_e32 v6, 0x7f000000, v5
	v_clz_i32_u32_e32 v7, v6
	v_cmp_ne_u32_e32 vcc_lo, 0, v6
	v_add_nc_u32_e32 v9, 0x1000000, v6
	s_delay_alu instid0(VALU_DEP_3) | instskip(NEXT) | instid1(VALU_DEP_1)
	v_min_u32_e32 v7, 32, v7
	v_sub_nc_u32_e64 v7, v7, 4 clamp
	s_delay_alu instid0(VALU_DEP_1) | instskip(SKIP_1) | instid1(VALU_DEP_2)
	v_lshlrev_b32_e32 v8, v7, v6
	v_lshlrev_b32_e32 v7, 23, v7
	v_lshrrev_b32_e32 v8, 4, v8
	s_delay_alu instid0(VALU_DEP_1) | instskip(SKIP_1) | instid1(VALU_DEP_2)
	v_sub_nc_u32_e32 v7, v8, v7
	v_ashrrev_i32_e32 v8, 8, v9
	v_add_nc_u32_e32 v7, 0x3c000000, v7
	s_delay_alu instid0(VALU_DEP_1) | instskip(NEXT) | instid1(VALU_DEP_1)
	v_and_or_b32 v7, 0x7f800000, v8, v7
	v_cndmask_b32_e32 v6, 0, v7, vcc_lo
	v_add_co_u32 v7, vcc_lo, v1, s9
	v_add_co_ci_u32_e32 v8, vcc_lo, 0, v2, vcc_lo
	s_delay_alu instid0(VALU_DEP_3) | instskip(NEXT) | instid1(VALU_DEP_1)
	v_and_or_b32 v5, 0x80000000, v5, v6
	v_cvt_f64_f32_e32 v[5:6], v5
	global_store_b64 v[7:8], v[5:6], off
	s_branch .LBB248_8
.LBB248_25:
	s_nop 0
	s_sendmsg sendmsg(MSG_DEALLOC_VGPRS)
	s_endpgm
	.section	.rodata,"a",@progbits
	.p2align	6, 0x0
	.amdhsa_kernel _ZN2at6native12_GLOBAL__N_125multi_tensor_apply_kernelINS1_18TensorListMetadataILi2EEENS1_11CopyFunctorIdN3c1013Float8_e4m3fnELi2ELi1ELi1EEEJNS0_4CopyIdS7_EEEEEvT_T0_DpT1_
		.amdhsa_group_segment_fixed_size 0
		.amdhsa_private_segment_fixed_size 0
		.amdhsa_kernarg_size 3408
		.amdhsa_user_sgpr_count 15
		.amdhsa_user_sgpr_dispatch_ptr 0
		.amdhsa_user_sgpr_queue_ptr 0
		.amdhsa_user_sgpr_kernarg_segment_ptr 1
		.amdhsa_user_sgpr_dispatch_id 0
		.amdhsa_user_sgpr_private_segment_size 0
		.amdhsa_wavefront_size32 1
		.amdhsa_uses_dynamic_stack 0
		.amdhsa_enable_private_segment 0
		.amdhsa_system_sgpr_workgroup_id_x 1
		.amdhsa_system_sgpr_workgroup_id_y 0
		.amdhsa_system_sgpr_workgroup_id_z 0
		.amdhsa_system_sgpr_workgroup_info 0
		.amdhsa_system_vgpr_workitem_id 0
		.amdhsa_next_free_vgpr 33
		.amdhsa_next_free_sgpr 20
		.amdhsa_reserve_vcc 1
		.amdhsa_float_round_mode_32 0
		.amdhsa_float_round_mode_16_64 0
		.amdhsa_float_denorm_mode_32 3
		.amdhsa_float_denorm_mode_16_64 3
		.amdhsa_dx10_clamp 1
		.amdhsa_ieee_mode 1
		.amdhsa_fp16_overflow 0
		.amdhsa_workgroup_processor_mode 1
		.amdhsa_memory_ordered 1
		.amdhsa_forward_progress 0
		.amdhsa_shared_vgpr_count 0
		.amdhsa_exception_fp_ieee_invalid_op 0
		.amdhsa_exception_fp_denorm_src 0
		.amdhsa_exception_fp_ieee_div_zero 0
		.amdhsa_exception_fp_ieee_overflow 0
		.amdhsa_exception_fp_ieee_underflow 0
		.amdhsa_exception_fp_ieee_inexact 0
		.amdhsa_exception_int_div_zero 0
	.end_amdhsa_kernel
	.section	.text._ZN2at6native12_GLOBAL__N_125multi_tensor_apply_kernelINS1_18TensorListMetadataILi2EEENS1_11CopyFunctorIdN3c1013Float8_e4m3fnELi2ELi1ELi1EEEJNS0_4CopyIdS7_EEEEEvT_T0_DpT1_,"axG",@progbits,_ZN2at6native12_GLOBAL__N_125multi_tensor_apply_kernelINS1_18TensorListMetadataILi2EEENS1_11CopyFunctorIdN3c1013Float8_e4m3fnELi2ELi1ELi1EEEJNS0_4CopyIdS7_EEEEEvT_T0_DpT1_,comdat
.Lfunc_end248:
	.size	_ZN2at6native12_GLOBAL__N_125multi_tensor_apply_kernelINS1_18TensorListMetadataILi2EEENS1_11CopyFunctorIdN3c1013Float8_e4m3fnELi2ELi1ELi1EEEJNS0_4CopyIdS7_EEEEEvT_T0_DpT1_, .Lfunc_end248-_ZN2at6native12_GLOBAL__N_125multi_tensor_apply_kernelINS1_18TensorListMetadataILi2EEENS1_11CopyFunctorIdN3c1013Float8_e4m3fnELi2ELi1ELi1EEEJNS0_4CopyIdS7_EEEEEvT_T0_DpT1_
                                        ; -- End function
	.section	.AMDGPU.csdata,"",@progbits
; Kernel info:
; codeLenInByte = 2304
; NumSgprs: 22
; NumVgprs: 33
; ScratchSize: 0
; MemoryBound: 0
; FloatMode: 240
; IeeeMode: 1
; LDSByteSize: 0 bytes/workgroup (compile time only)
; SGPRBlocks: 2
; VGPRBlocks: 4
; NumSGPRsForWavesPerEU: 22
; NumVGPRsForWavesPerEU: 33
; Occupancy: 16
; WaveLimiterHint : 0
; COMPUTE_PGM_RSRC2:SCRATCH_EN: 0
; COMPUTE_PGM_RSRC2:USER_SGPR: 15
; COMPUTE_PGM_RSRC2:TRAP_HANDLER: 0
; COMPUTE_PGM_RSRC2:TGID_X_EN: 1
; COMPUTE_PGM_RSRC2:TGID_Y_EN: 0
; COMPUTE_PGM_RSRC2:TGID_Z_EN: 0
; COMPUTE_PGM_RSRC2:TIDIG_COMP_CNT: 0
	.section	.text._ZN2at6native12_GLOBAL__N_125multi_tensor_apply_kernelINS1_18TensorListMetadataILi2EEENS1_11CopyFunctorIdN3c1015Float8_e4m3fnuzELi2ELi1ELi1EEEJNS0_4CopyIdS7_EEEEEvT_T0_DpT1_,"axG",@progbits,_ZN2at6native12_GLOBAL__N_125multi_tensor_apply_kernelINS1_18TensorListMetadataILi2EEENS1_11CopyFunctorIdN3c1015Float8_e4m3fnuzELi2ELi1ELi1EEEJNS0_4CopyIdS7_EEEEEvT_T0_DpT1_,comdat
	.globl	_ZN2at6native12_GLOBAL__N_125multi_tensor_apply_kernelINS1_18TensorListMetadataILi2EEENS1_11CopyFunctorIdN3c1015Float8_e4m3fnuzELi2ELi1ELi1EEEJNS0_4CopyIdS7_EEEEEvT_T0_DpT1_ ; -- Begin function _ZN2at6native12_GLOBAL__N_125multi_tensor_apply_kernelINS1_18TensorListMetadataILi2EEENS1_11CopyFunctorIdN3c1015Float8_e4m3fnuzELi2ELi1ELi1EEEJNS0_4CopyIdS7_EEEEEvT_T0_DpT1_
	.p2align	8
	.type	_ZN2at6native12_GLOBAL__N_125multi_tensor_apply_kernelINS1_18TensorListMetadataILi2EEENS1_11CopyFunctorIdN3c1015Float8_e4m3fnuzELi2ELi1ELi1EEEJNS0_4CopyIdS7_EEEEEvT_T0_DpT1_,@function
_ZN2at6native12_GLOBAL__N_125multi_tensor_apply_kernelINS1_18TensorListMetadataILi2EEENS1_11CopyFunctorIdN3c1015Float8_e4m3fnuzELi2ELi1ELi1EEEJNS0_4CopyIdS7_EEEEEvT_T0_DpT1_: ; @_ZN2at6native12_GLOBAL__N_125multi_tensor_apply_kernelINS1_18TensorListMetadataILi2EEENS1_11CopyFunctorIdN3c1015Float8_e4m3fnuzELi2ELi1ELi1EEEJNS0_4CopyIdS7_EEEEEvT_T0_DpT1_
; %bb.0:
	v_mov_b32_e32 v1, s15
	s_add_u32 s2, s0, s15
	s_mul_hi_u32 s3, s15, 3
	s_mul_i32 s15, s15, 3
	s_addc_u32 s4, s1, 0
	global_load_u8 v1, v1, s[0:1] offset:1536
	s_add_u32 s2, s2, s15
	s_addc_u32 s3, s4, s3
	s_mov_b32 s15, 0
	s_load_b32 s10, s[2:3], 0x740
	s_mov_b32 s19, s15
	s_waitcnt lgkmcnt(0)
	s_ashr_i32 s11, s10, 31
	s_delay_alu instid0(SALU_CYCLE_1) | instskip(SKIP_2) | instid1(VALU_DEP_1)
	s_lshl_b64 s[8:9], s[10:11], 16
	s_waitcnt vmcnt(0)
	v_readfirstlane_b32 s5, v1
	s_lshl_b32 s2, s5, 3
	s_clause 0x2
	s_load_b64 s[6:7], s[0:1], s2 offset:0x0
	s_load_b64 s[12:13], s[0:1], s2 offset:0x200
	;; [unrolled: 1-line block ×3, first 2 shown]
	s_waitcnt lgkmcnt(0)
	s_add_u32 s3, s6, s8
	s_addc_u32 s16, s7, s9
	s_and_b32 s2, s12, 31
	s_and_b32 s17, s4, 3
	;; [unrolled: 1-line block ×3, first 2 shown]
	s_or_b32 s18, s17, s2
	s_mov_b32 s2, -1
	s_or_b64 s[14:15], s[14:15], s[18:19]
	s_sub_u32 s4, s4, s8
	s_subb_u32 s5, s5, s9
	s_cmp_eq_u64 s[14:15], 0
	s_cbranch_scc0 .LBB249_37
; %bb.1:
	v_dual_mov_b32 v10, 0 :: v_dual_lshlrev_b32 v9, 2, v0
	s_mov_b32 s17, exec_lo
	s_delay_alu instid0(VALU_DEP_1)
	v_cmpx_gt_i64_e64 s[4:5], v[9:10]
	s_cbranch_execz .LBB249_36
; %bb.2:
	s_load_b32 s2, s[0:1], 0xc5c
	v_lshlrev_b32_e32 v1, 5, v0
	s_lshl_b64 s[20:21], s[10:11], 19
	s_brev_b32 s14, 4
	s_mov_b32 s15, 0x7ff80000
	s_waitcnt lgkmcnt(0)
	s_and_b32 s2, s2, 0xffff
	s_delay_alu instid0(SALU_CYCLE_1) | instskip(SKIP_3) | instid1(VALU_DEP_1)
	s_lshl_b32 s18, s2, 2
	s_add_u32 s19, s12, s20
	s_addc_u32 s20, s13, s21
	v_add_co_u32 v11, s19, s19, v1
	v_add_co_ci_u32_e64 v12, null, s20, 0, s19
	s_mov_b32 s19, 0
	s_lshl_b32 s20, s2, 5
	s_branch .LBB249_4
.LBB249_3:                              ;   in Loop: Header=BB249_4 Depth=1
	s_or_b32 exec_lo, exec_lo, s21
	v_add_co_u32 v9, vcc_lo, s18, v9
	v_add_co_ci_u32_e32 v10, vcc_lo, 0, v10, vcc_lo
	s_clause 0x1
	global_store_b128 v[11:12], v[1:4], off
	global_store_b128 v[11:12], v[5:8], off offset:16
	v_cmp_le_i64_e32 vcc_lo, s[4:5], v[9:10]
	v_cmp_lt_u64_e64 s2, 0xffff, v[9:10]
	s_delay_alu instid0(VALU_DEP_1) | instskip(SKIP_3) | instid1(SALU_CYCLE_1)
	s_or_b32 s2, vcc_lo, s2
	v_add_co_u32 v11, vcc_lo, v11, s20
	v_add_co_ci_u32_e32 v12, vcc_lo, 0, v12, vcc_lo
	s_and_b32 s2, exec_lo, s2
	s_or_b32 s19, s2, s19
	s_delay_alu instid0(SALU_CYCLE_1)
	s_and_not1_b32 exec_lo, exec_lo, s19
	s_cbranch_execz .LBB249_36
.LBB249_4:                              ; =>This Inner Loop Header: Depth=1
	v_add_co_u32 v1, vcc_lo, s3, v9
	v_add_co_ci_u32_e32 v2, vcc_lo, s16, v10, vcc_lo
	s_mov_b32 s2, 0
	s_mov_b32 s21, exec_lo
	global_load_b32 v13, v[1:2], off
	s_waitcnt vmcnt(0)
	v_and_b32_e32 v3, 0xff, v13
	s_delay_alu instid0(VALU_DEP_1)
	v_cmpx_lt_i16_e32 0x7f, v3
	s_xor_b32 s21, exec_lo, s21
	s_cbranch_execz .LBB249_8
; %bb.5:                                ;   in Loop: Header=BB249_4 Depth=1
	s_mov_b32 s2, -1
	s_mov_b32 s22, exec_lo
	v_cmpx_eq_u16_e32 0x80, v3
; %bb.6:                                ;   in Loop: Header=BB249_4 Depth=1
	s_xor_b32 s2, exec_lo, -1
; %bb.7:                                ;   in Loop: Header=BB249_4 Depth=1
	s_or_b32 exec_lo, exec_lo, s22
	s_delay_alu instid0(SALU_CYCLE_1)
	s_and_b32 s2, s2, exec_lo
                                        ; implicit-def: $vgpr3
.LBB249_8:                              ;   in Loop: Header=BB249_4 Depth=1
	s_or_saveexec_b32 s21, s21
	v_dual_mov_b32 v1, s14 :: v_dual_mov_b32 v2, s15
	s_xor_b32 exec_lo, exec_lo, s21
; %bb.9:                                ;   in Loop: Header=BB249_4 Depth=1
	v_cmp_ne_u16_e32 vcc_lo, 0, v3
	v_mov_b32_e32 v1, 0
	v_mov_b32_e32 v2, 0
	s_and_not1_b32 s2, s2, exec_lo
	s_and_b32 s22, vcc_lo, exec_lo
	s_delay_alu instid0(SALU_CYCLE_1)
	s_or_b32 s2, s2, s22
; %bb.10:                               ;   in Loop: Header=BB249_4 Depth=1
	s_or_b32 exec_lo, exec_lo, s21
	s_and_saveexec_b32 s21, s2
	s_cbranch_execz .LBB249_12
; %bb.11:                               ;   in Loop: Header=BB249_4 Depth=1
	v_bfe_u32 v4, v13, 3, 4
	v_lshlrev_b32_e32 v5, 24, v13
	s_delay_alu instid0(VALU_DEP_2) | instskip(SKIP_1) | instid1(VALU_DEP_1)
	v_cmp_eq_u32_e32 vcc_lo, 0, v4
	v_and_b32_e32 v1, 7, v13
	v_clz_i32_u32_e32 v2, v1
	s_delay_alu instid0(VALU_DEP_1) | instskip(NEXT) | instid1(VALU_DEP_1)
	v_min_u32_e32 v2, 32, v2
	v_subrev_nc_u32_e32 v3, 28, v2
	v_sub_nc_u32_e32 v2, 29, v2
	s_delay_alu instid0(VALU_DEP_1) | instskip(NEXT) | instid1(VALU_DEP_1)
	v_dual_cndmask_b32 v2, v4, v2 :: v_dual_lshlrev_b32 v3, v3, v13
	v_and_b32_e32 v3, 7, v3
	s_delay_alu instid0(VALU_DEP_2) | instskip(NEXT) | instid1(VALU_DEP_2)
	v_lshl_add_u32 v2, v2, 23, 0x3b800000
	v_cndmask_b32_e32 v1, v1, v3, vcc_lo
	v_and_b32_e32 v3, 0x80000000, v5
	s_delay_alu instid0(VALU_DEP_2) | instskip(NEXT) | instid1(VALU_DEP_1)
	v_lshlrev_b32_e32 v1, 20, v1
	v_or3_b32 v1, v3, v2, v1
	s_delay_alu instid0(VALU_DEP_1)
	v_cvt_f64_f32_e32 v[1:2], v1
.LBB249_12:                             ;   in Loop: Header=BB249_4 Depth=1
	s_or_b32 exec_lo, exec_lo, s21
	v_lshrrev_b32_e32 v5, 8, v13
	s_mov_b32 s2, 0
	s_mov_b32 s21, exec_lo
	s_delay_alu instid0(VALU_DEP_1) | instskip(NEXT) | instid1(VALU_DEP_1)
	v_and_b32_e32 v6, 0xff, v5
	v_cmpx_lt_i16_e32 0x7f, v6
	s_xor_b32 s21, exec_lo, s21
	s_cbranch_execz .LBB249_16
; %bb.13:                               ;   in Loop: Header=BB249_4 Depth=1
	s_mov_b32 s2, -1
	s_mov_b32 s22, exec_lo
	v_cmpx_eq_u16_e32 0x80, v6
; %bb.14:                               ;   in Loop: Header=BB249_4 Depth=1
	s_xor_b32 s2, exec_lo, -1
; %bb.15:                               ;   in Loop: Header=BB249_4 Depth=1
	s_or_b32 exec_lo, exec_lo, s22
	s_delay_alu instid0(SALU_CYCLE_1)
	s_and_b32 s2, s2, exec_lo
                                        ; implicit-def: $vgpr6
.LBB249_16:                             ;   in Loop: Header=BB249_4 Depth=1
	s_or_saveexec_b32 s21, s21
	v_dual_mov_b32 v3, s14 :: v_dual_mov_b32 v4, s15
	s_xor_b32 exec_lo, exec_lo, s21
; %bb.17:                               ;   in Loop: Header=BB249_4 Depth=1
	v_cmp_ne_u16_e32 vcc_lo, 0, v6
	v_mov_b32_e32 v3, 0
	v_mov_b32_e32 v4, 0
	s_and_not1_b32 s2, s2, exec_lo
	s_and_b32 s22, vcc_lo, exec_lo
	s_delay_alu instid0(SALU_CYCLE_1)
	s_or_b32 s2, s2, s22
; %bb.18:                               ;   in Loop: Header=BB249_4 Depth=1
	s_or_b32 exec_lo, exec_lo, s21
	s_and_saveexec_b32 s21, s2
	s_cbranch_execz .LBB249_20
; %bb.19:                               ;   in Loop: Header=BB249_4 Depth=1
	v_bfe_u32 v3, v13, 8, 3
	v_bfe_u32 v7, v13, 11, 4
	s_delay_alu instid0(VALU_DEP_2) | instskip(NEXT) | instid1(VALU_DEP_2)
	v_clz_i32_u32_e32 v4, v3
	v_cmp_eq_u32_e32 vcc_lo, 0, v7
	s_delay_alu instid0(VALU_DEP_2) | instskip(NEXT) | instid1(VALU_DEP_1)
	v_min_u32_e32 v4, 32, v4
	v_subrev_nc_u32_e32 v6, 28, v4
	v_sub_nc_u32_e32 v4, 29, v4
	s_delay_alu instid0(VALU_DEP_2) | instskip(NEXT) | instid1(VALU_DEP_2)
	v_lshlrev_b32_e32 v6, v6, v5
	v_dual_cndmask_b32 v4, v7, v4 :: v_dual_lshlrev_b32 v5, 24, v5
	s_delay_alu instid0(VALU_DEP_2) | instskip(NEXT) | instid1(VALU_DEP_2)
	v_and_b32_e32 v6, 7, v6
	v_and_b32_e32 v5, 0x80000000, v5
	s_delay_alu instid0(VALU_DEP_3) | instskip(NEXT) | instid1(VALU_DEP_3)
	v_lshl_add_u32 v4, v4, 23, 0x3b800000
	v_cndmask_b32_e32 v3, v3, v6, vcc_lo
	s_delay_alu instid0(VALU_DEP_1) | instskip(NEXT) | instid1(VALU_DEP_1)
	v_lshlrev_b32_e32 v3, 20, v3
	v_or3_b32 v3, v5, v4, v3
	s_delay_alu instid0(VALU_DEP_1)
	v_cvt_f64_f32_e32 v[3:4], v3
.LBB249_20:                             ;   in Loop: Header=BB249_4 Depth=1
	s_or_b32 exec_lo, exec_lo, s21
	v_lshrrev_b32_e32 v7, 16, v13
	s_mov_b32 s2, 0
	s_mov_b32 s21, exec_lo
	s_delay_alu instid0(VALU_DEP_1) | instskip(NEXT) | instid1(VALU_DEP_1)
	v_and_b32_e32 v8, 0xff, v7
	v_cmpx_lt_i16_e32 0x7f, v8
	s_xor_b32 s21, exec_lo, s21
	s_cbranch_execz .LBB249_24
; %bb.21:                               ;   in Loop: Header=BB249_4 Depth=1
	s_mov_b32 s2, -1
	s_mov_b32 s22, exec_lo
	v_cmpx_eq_u16_e32 0x80, v8
; %bb.22:                               ;   in Loop: Header=BB249_4 Depth=1
	s_xor_b32 s2, exec_lo, -1
; %bb.23:                               ;   in Loop: Header=BB249_4 Depth=1
	s_or_b32 exec_lo, exec_lo, s22
	s_delay_alu instid0(SALU_CYCLE_1)
	s_and_b32 s2, s2, exec_lo
                                        ; implicit-def: $vgpr8
.LBB249_24:                             ;   in Loop: Header=BB249_4 Depth=1
	s_or_saveexec_b32 s21, s21
	v_dual_mov_b32 v5, s14 :: v_dual_mov_b32 v6, s15
	s_xor_b32 exec_lo, exec_lo, s21
; %bb.25:                               ;   in Loop: Header=BB249_4 Depth=1
	v_cmp_ne_u16_e32 vcc_lo, 0, v8
	v_mov_b32_e32 v5, 0
	v_mov_b32_e32 v6, 0
	s_and_not1_b32 s2, s2, exec_lo
	s_and_b32 s22, vcc_lo, exec_lo
	s_delay_alu instid0(SALU_CYCLE_1)
	s_or_b32 s2, s2, s22
; %bb.26:                               ;   in Loop: Header=BB249_4 Depth=1
	s_or_b32 exec_lo, exec_lo, s21
	s_and_saveexec_b32 s21, s2
	s_cbranch_execz .LBB249_28
; %bb.27:                               ;   in Loop: Header=BB249_4 Depth=1
	v_bfe_u32 v5, v13, 16, 3
	v_bfe_u32 v14, v13, 19, 4
	s_delay_alu instid0(VALU_DEP_2) | instskip(NEXT) | instid1(VALU_DEP_2)
	v_clz_i32_u32_e32 v6, v5
	v_cmp_eq_u32_e32 vcc_lo, 0, v14
	s_delay_alu instid0(VALU_DEP_2) | instskip(NEXT) | instid1(VALU_DEP_1)
	v_min_u32_e32 v6, 32, v6
	v_subrev_nc_u32_e32 v8, 28, v6
	v_sub_nc_u32_e32 v6, 29, v6
	s_delay_alu instid0(VALU_DEP_2) | instskip(NEXT) | instid1(VALU_DEP_2)
	v_lshlrev_b32_e32 v8, v8, v7
	v_dual_cndmask_b32 v6, v14, v6 :: v_dual_lshlrev_b32 v7, 24, v7
	s_delay_alu instid0(VALU_DEP_2) | instskip(NEXT) | instid1(VALU_DEP_2)
	v_and_b32_e32 v8, 7, v8
	v_and_b32_e32 v7, 0x80000000, v7
	s_delay_alu instid0(VALU_DEP_3) | instskip(NEXT) | instid1(VALU_DEP_3)
	v_lshl_add_u32 v6, v6, 23, 0x3b800000
	v_cndmask_b32_e32 v5, v5, v8, vcc_lo
	s_delay_alu instid0(VALU_DEP_1) | instskip(NEXT) | instid1(VALU_DEP_1)
	v_lshlrev_b32_e32 v5, 20, v5
	v_or3_b32 v5, v7, v6, v5
	s_delay_alu instid0(VALU_DEP_1)
	v_cvt_f64_f32_e32 v[5:6], v5
.LBB249_28:                             ;   in Loop: Header=BB249_4 Depth=1
	s_or_b32 exec_lo, exec_lo, s21
	v_lshrrev_b32_e32 v14, 24, v13
	s_mov_b32 s2, 0
	s_mov_b32 s21, exec_lo
	s_delay_alu instid0(VALU_DEP_1)
	v_cmpx_lt_i16_e32 0x7f, v14
	s_xor_b32 s21, exec_lo, s21
	s_cbranch_execz .LBB249_32
; %bb.29:                               ;   in Loop: Header=BB249_4 Depth=1
	s_mov_b32 s2, -1
	s_mov_b32 s22, exec_lo
	v_cmpx_eq_u16_e32 0x80, v14
; %bb.30:                               ;   in Loop: Header=BB249_4 Depth=1
	s_xor_b32 s2, exec_lo, -1
; %bb.31:                               ;   in Loop: Header=BB249_4 Depth=1
	s_or_b32 exec_lo, exec_lo, s22
	s_delay_alu instid0(SALU_CYCLE_1)
	s_and_b32 s2, s2, exec_lo
.LBB249_32:                             ;   in Loop: Header=BB249_4 Depth=1
	s_or_saveexec_b32 s21, s21
	v_dual_mov_b32 v7, s14 :: v_dual_mov_b32 v8, s15
	s_xor_b32 exec_lo, exec_lo, s21
; %bb.33:                               ;   in Loop: Header=BB249_4 Depth=1
	v_cmp_ne_u16_e32 vcc_lo, 0, v14
	v_mov_b32_e32 v7, 0
	v_mov_b32_e32 v8, 0
	s_and_not1_b32 s2, s2, exec_lo
	s_and_b32 s22, vcc_lo, exec_lo
	s_delay_alu instid0(SALU_CYCLE_1)
	s_or_b32 s2, s2, s22
; %bb.34:                               ;   in Loop: Header=BB249_4 Depth=1
	s_or_b32 exec_lo, exec_lo, s21
	s_and_saveexec_b32 s21, s2
	s_cbranch_execz .LBB249_3
; %bb.35:                               ;   in Loop: Header=BB249_4 Depth=1
	v_bfe_u32 v7, v13, 24, 3
	s_delay_alu instid0(VALU_DEP_1) | instskip(NEXT) | instid1(VALU_DEP_1)
	v_clz_i32_u32_e32 v8, v7
	v_min_u32_e32 v8, 32, v8
	s_delay_alu instid0(VALU_DEP_1) | instskip(SKIP_1) | instid1(VALU_DEP_2)
	v_subrev_nc_u32_e32 v15, 28, v8
	v_sub_nc_u32_e32 v8, 29, v8
	v_lshlrev_b32_e32 v14, v15, v14
	v_bfe_u32 v15, v13, 27, 4
	v_and_b32_e32 v13, 0x80000000, v13
	s_delay_alu instid0(VALU_DEP_3) | instskip(NEXT) | instid1(VALU_DEP_3)
	v_and_b32_e32 v14, 7, v14
	v_cmp_eq_u32_e32 vcc_lo, 0, v15
	v_cndmask_b32_e32 v8, v15, v8, vcc_lo
	s_delay_alu instid0(VALU_DEP_3) | instskip(NEXT) | instid1(VALU_DEP_2)
	v_cndmask_b32_e32 v7, v7, v14, vcc_lo
	v_lshl_add_u32 v8, v8, 23, 0x3b800000
	s_delay_alu instid0(VALU_DEP_2) | instskip(NEXT) | instid1(VALU_DEP_1)
	v_lshlrev_b32_e32 v7, 20, v7
	v_or3_b32 v7, v13, v8, v7
	s_delay_alu instid0(VALU_DEP_1)
	v_cvt_f64_f32_e32 v[7:8], v7
	s_branch .LBB249_3
.LBB249_36:
	s_or_b32 exec_lo, exec_lo, s17
	s_mov_b32 s2, 0
.LBB249_37:
	s_delay_alu instid0(SALU_CYCLE_1)
	s_and_not1_b32 vcc_lo, exec_lo, s2
	s_cbranch_vccnz .LBB249_89
; %bb.38:
	v_cmp_lt_i64_e64 s2, s[4:5], 1
	s_delay_alu instid0(VALU_DEP_1)
	s_and_b32 vcc_lo, exec_lo, s2
	s_cbranch_vccnz .LBB249_89
; %bb.39:
	s_load_b32 s0, s[0:1], 0xc5c
	v_cmp_gt_u64_e64 s1, 0x10000, s[4:5]
	v_add_co_u32 v3, s2, s8, v0
	v_lshlrev_b32_e32 v1, 3, v0
	v_add_co_ci_u32_e64 v4, null, s9, 0, s2
	s_delay_alu instid0(VALU_DEP_3) | instskip(NEXT) | instid1(VALU_DEP_2)
	v_add_co_u32 v21, vcc_lo, s6, v3
                                        ; implicit-def: $vgpr35
                                        ; implicit-def: $vgpr36
                                        ; implicit-def: $vgpr37
                                        ; implicit-def: $vgpr38
	v_add_co_ci_u32_e32 v22, vcc_lo, s7, v4, vcc_lo
	s_waitcnt lgkmcnt(0)
	s_and_b32 s0, s0, 0xffff
	s_and_b32 s1, s1, exec_lo
	s_cselect_b32 s3, s5, 0
	s_cselect_b32 s2, s4, 0x10000
	s_lshl_b64 s[10:11], s[10:11], 19
	s_lshl_b32 s14, s0, 1
	s_lshl_b32 s1, s0, 2
	s_add_u32 s12, s12, s10
	s_mul_i32 s15, s0, 3
	s_addc_u32 s13, s13, s11
	s_lshl_b32 s10, s0, 5
	v_add_co_u32 v1, s16, s12, v1
	s_add_u32 s11, s8, s15
	v_add_co_ci_u32_e64 v2, null, s13, 0, s16
	s_addc_u32 s16, s9, 0
	s_add_u32 s11, s6, s11
	s_addc_u32 s16, s7, s16
	s_add_u32 s8, s8, s14
	;; [unrolled: 2-line block ×3, first 2 shown]
	s_addc_u32 s9, s7, s9
	v_add_co_u32 v27, s8, s8, v0
	s_delay_alu instid0(VALU_DEP_1) | instskip(SKIP_1) | instid1(VALU_DEP_1)
	v_add_co_ci_u32_e64 v28, null, s9, 0, s8
	v_add_co_u32 v29, s8, s14, v0
	v_add_co_ci_u32_e64 v30, null, 0, 0, s8
	v_add_co_u32 v31, s8, v0, s0
	v_add_co_u32 v23, s11, s11, v0
	s_delay_alu instid0(VALU_DEP_1) | instskip(SKIP_1) | instid1(VALU_DEP_4)
	v_add_co_ci_u32_e64 v24, null, s16, 0, s11
	v_add_co_u32 v25, s11, s15, v0
	v_lshlrev_b32_e32 v5, 3, v31
	v_add_co_ci_u32_e64 v26, null, 0, 0, s11
	s_lshl_b32 s11, s0, 4
	s_add_u32 s6, s6, s0
	s_addc_u32 s7, s7, 0
	v_add_co_ci_u32_e64 v32, null, 0, 0, s8
	v_add_co_u32 v33, vcc_lo, s6, v3
	v_add_co_u32 v3, s8, s12, v5
	v_add_co_ci_u32_e32 v34, vcc_lo, s7, v4, vcc_lo
	v_add_co_ci_u32_e64 v4, null, s13, 0, s8
	s_brev_b32 s6, 4
	s_mov_b32 s7, 0x7ff80000
	s_mul_i32 s12, s0, 24
	s_mov_b64 s[8:9], 0
	s_branch .LBB249_41
.LBB249_40:                             ;   in Loop: Header=BB249_41 Depth=1
	s_or_b32 exec_lo, exec_lo, s0
	s_add_u32 s8, s8, s1
	s_addc_u32 s9, s9, 0
	v_add_co_u32 v1, vcc_lo, v1, s10
	v_cmp_ge_i64_e64 s0, s[8:9], s[4:5]
	v_cmp_lt_u64_e64 s13, 0xffff, s[8:9]
	v_add_co_ci_u32_e32 v2, vcc_lo, 0, v2, vcc_lo
	v_add_co_u32 v3, vcc_lo, v3, s10
	v_add_co_ci_u32_e32 v4, vcc_lo, 0, v4, vcc_lo
	s_delay_alu instid0(VALU_DEP_4) | instskip(NEXT) | instid1(SALU_CYCLE_1)
	s_or_b32 s0, s0, s13
	s_and_b32 vcc_lo, exec_lo, s0
	s_cbranch_vccnz .LBB249_89
.LBB249_41:                             ; =>This Inner Loop Header: Depth=1
	v_add_co_u32 v5, s0, v0, s8
	s_delay_alu instid0(VALU_DEP_1) | instskip(NEXT) | instid1(VALU_DEP_1)
	v_add_co_ci_u32_e64 v6, null, 0, s9, s0
	v_cmp_gt_i64_e32 vcc_lo, s[4:5], v[5:6]
	v_cmp_gt_u64_e64 s0, 0x10000, v[5:6]
	s_delay_alu instid0(VALU_DEP_1) | instskip(NEXT) | instid1(SALU_CYCLE_1)
	s_and_b32 s13, vcc_lo, s0
	s_and_saveexec_b32 s0, s13
	s_cbranch_execz .LBB249_43
; %bb.42:                               ;   in Loop: Header=BB249_41 Depth=1
	v_add_co_u32 v7, vcc_lo, v21, s8
	v_add_co_ci_u32_e32 v8, vcc_lo, s9, v22, vcc_lo
	global_load_u8 v38, v[7:8], off
.LBB249_43:                             ;   in Loop: Header=BB249_41 Depth=1
	s_or_b32 exec_lo, exec_lo, s0
	v_add_co_u32 v7, vcc_lo, v31, s8
	v_add_co_ci_u32_e32 v8, vcc_lo, s9, v32, vcc_lo
	s_delay_alu instid0(VALU_DEP_1) | instskip(SKIP_1) | instid1(VALU_DEP_1)
	v_cmp_gt_i64_e32 vcc_lo, s[4:5], v[7:8]
	v_cmp_gt_u64_e64 s0, 0x10000, v[7:8]
	s_and_b32 s13, vcc_lo, s0
	s_delay_alu instid0(SALU_CYCLE_1)
	s_and_saveexec_b32 s0, s13
	s_cbranch_execz .LBB249_45
; %bb.44:                               ;   in Loop: Header=BB249_41 Depth=1
	v_add_co_u32 v9, vcc_lo, v33, s8
	v_add_co_ci_u32_e32 v10, vcc_lo, s9, v34, vcc_lo
	global_load_u8 v37, v[9:10], off
.LBB249_45:                             ;   in Loop: Header=BB249_41 Depth=1
	s_or_b32 exec_lo, exec_lo, s0
	v_add_co_u32 v9, vcc_lo, v29, s8
	v_add_co_ci_u32_e32 v10, vcc_lo, s9, v30, vcc_lo
	s_delay_alu instid0(VALU_DEP_1) | instskip(SKIP_1) | instid1(VALU_DEP_1)
	v_cmp_gt_i64_e32 vcc_lo, s[4:5], v[9:10]
	v_cmp_gt_u64_e64 s0, 0x10000, v[9:10]
	s_and_b32 s13, vcc_lo, s0
	s_delay_alu instid0(SALU_CYCLE_1)
	;; [unrolled: 15-line block ×3, first 2 shown]
	s_and_saveexec_b32 s0, s13
	s_cbranch_execz .LBB249_49
; %bb.48:                               ;   in Loop: Header=BB249_41 Depth=1
	v_add_co_u32 v13, vcc_lo, v23, s8
	v_add_co_ci_u32_e32 v14, vcc_lo, s9, v24, vcc_lo
	global_load_u8 v35, v[13:14], off
.LBB249_49:                             ;   in Loop: Header=BB249_41 Depth=1
	s_or_b32 exec_lo, exec_lo, s0
	s_waitcnt vmcnt(0)
	v_and_b32_e32 v15, 0xff, v38
	s_mov_b32 s0, 0
	s_mov_b32 s13, exec_lo
	s_delay_alu instid0(VALU_DEP_1)
	v_cmpx_lt_i16_e32 0x7f, v15
	s_xor_b32 s13, exec_lo, s13
	s_cbranch_execz .LBB249_53
; %bb.50:                               ;   in Loop: Header=BB249_41 Depth=1
	s_mov_b32 s0, -1
	s_mov_b32 s14, exec_lo
	v_cmpx_eq_u16_e32 0x80, v15
; %bb.51:                               ;   in Loop: Header=BB249_41 Depth=1
	s_xor_b32 s0, exec_lo, -1
; %bb.52:                               ;   in Loop: Header=BB249_41 Depth=1
	s_or_b32 exec_lo, exec_lo, s14
	s_delay_alu instid0(SALU_CYCLE_1)
	s_and_b32 s0, s0, exec_lo
                                        ; implicit-def: $vgpr15
.LBB249_53:                             ;   in Loop: Header=BB249_41 Depth=1
	s_or_saveexec_b32 s13, s13
	v_dual_mov_b32 v14, s7 :: v_dual_mov_b32 v13, s6
	s_xor_b32 exec_lo, exec_lo, s13
; %bb.54:                               ;   in Loop: Header=BB249_41 Depth=1
	v_cmp_ne_u16_e32 vcc_lo, 0, v15
	v_mov_b32_e32 v13, 0
	v_mov_b32_e32 v14, 0
	s_and_not1_b32 s0, s0, exec_lo
	s_and_b32 s14, vcc_lo, exec_lo
	s_delay_alu instid0(SALU_CYCLE_1)
	s_or_b32 s0, s0, s14
; %bb.55:                               ;   in Loop: Header=BB249_41 Depth=1
	s_or_b32 exec_lo, exec_lo, s13
	s_and_saveexec_b32 s13, s0
	s_cbranch_execz .LBB249_57
; %bb.56:                               ;   in Loop: Header=BB249_41 Depth=1
	v_and_b32_e32 v13, 7, v38
	v_lshrrev_b16 v16, 3, v38
	v_lshlrev_b32_e32 v17, 24, v38
	s_delay_alu instid0(VALU_DEP_3) | instskip(NEXT) | instid1(VALU_DEP_1)
	v_clz_i32_u32_e32 v14, v13
	v_min_u32_e32 v14, 32, v14
	s_delay_alu instid0(VALU_DEP_1) | instskip(SKIP_1) | instid1(VALU_DEP_2)
	v_subrev_nc_u32_e32 v15, 28, v14
	v_sub_nc_u32_e32 v14, 29, v14
	v_lshlrev_b32_e32 v15, v15, v38
	s_delay_alu instid0(VALU_DEP_1) | instskip(SKIP_1) | instid1(VALU_DEP_1)
	v_and_b32_e32 v15, 7, v15
	v_and_b32_e32 v16, 15, v16
	v_cmp_eq_u32_e32 vcc_lo, 0, v16
	s_delay_alu instid0(VALU_DEP_3) | instskip(SKIP_1) | instid1(VALU_DEP_2)
	v_dual_cndmask_b32 v13, v13, v15 :: v_dual_cndmask_b32 v14, v16, v14
	v_and_b32_e32 v15, 0x80000000, v17
	v_lshlrev_b32_e32 v13, 20, v13
	s_delay_alu instid0(VALU_DEP_3) | instskip(NEXT) | instid1(VALU_DEP_1)
	v_lshl_add_u32 v14, v14, 23, 0x3b800000
	v_or3_b32 v13, v15, v14, v13
	s_delay_alu instid0(VALU_DEP_1)
	v_cvt_f64_f32_e32 v[13:14], v13
.LBB249_57:                             ;   in Loop: Header=BB249_41 Depth=1
	s_or_b32 exec_lo, exec_lo, s13
	v_and_b32_e32 v17, 0xff, v37
	s_mov_b32 s0, 0
	s_mov_b32 s13, exec_lo
	s_delay_alu instid0(VALU_DEP_1)
	v_cmpx_lt_i16_e32 0x7f, v17
	s_xor_b32 s13, exec_lo, s13
	s_cbranch_execz .LBB249_61
; %bb.58:                               ;   in Loop: Header=BB249_41 Depth=1
	s_mov_b32 s0, -1
	s_mov_b32 s14, exec_lo
	v_cmpx_eq_u16_e32 0x80, v17
; %bb.59:                               ;   in Loop: Header=BB249_41 Depth=1
	s_xor_b32 s0, exec_lo, -1
; %bb.60:                               ;   in Loop: Header=BB249_41 Depth=1
	s_or_b32 exec_lo, exec_lo, s14
	s_delay_alu instid0(SALU_CYCLE_1)
	s_and_b32 s0, s0, exec_lo
                                        ; implicit-def: $vgpr17
.LBB249_61:                             ;   in Loop: Header=BB249_41 Depth=1
	s_or_saveexec_b32 s13, s13
	v_dual_mov_b32 v16, s7 :: v_dual_mov_b32 v15, s6
	s_xor_b32 exec_lo, exec_lo, s13
; %bb.62:                               ;   in Loop: Header=BB249_41 Depth=1
	v_cmp_ne_u16_e32 vcc_lo, 0, v17
	v_mov_b32_e32 v15, 0
	v_mov_b32_e32 v16, 0
	s_and_not1_b32 s0, s0, exec_lo
	s_and_b32 s14, vcc_lo, exec_lo
	s_delay_alu instid0(SALU_CYCLE_1)
	s_or_b32 s0, s0, s14
; %bb.63:                               ;   in Loop: Header=BB249_41 Depth=1
	s_or_b32 exec_lo, exec_lo, s13
	s_and_saveexec_b32 s13, s0
	s_cbranch_execz .LBB249_65
; %bb.64:                               ;   in Loop: Header=BB249_41 Depth=1
	v_lshrrev_b16 v18, 3, v37
	v_lshlrev_b32_e32 v19, 24, v37
	s_delay_alu instid0(VALU_DEP_2) | instskip(NEXT) | instid1(VALU_DEP_1)
	v_and_b32_e32 v18, 15, v18
	v_cmp_eq_u32_e32 vcc_lo, 0, v18
	v_and_b32_e32 v15, 7, v37
	s_delay_alu instid0(VALU_DEP_1) | instskip(NEXT) | instid1(VALU_DEP_1)
	v_clz_i32_u32_e32 v16, v15
	v_min_u32_e32 v16, 32, v16
	s_delay_alu instid0(VALU_DEP_1) | instskip(SKIP_1) | instid1(VALU_DEP_1)
	v_subrev_nc_u32_e32 v17, 28, v16
	v_sub_nc_u32_e32 v16, 29, v16
	v_dual_cndmask_b32 v16, v18, v16 :: v_dual_lshlrev_b32 v17, v17, v37
	s_delay_alu instid0(VALU_DEP_1) | instskip(NEXT) | instid1(VALU_DEP_2)
	v_and_b32_e32 v17, 7, v17
	v_lshl_add_u32 v16, v16, 23, 0x3b800000
	s_delay_alu instid0(VALU_DEP_2) | instskip(SKIP_1) | instid1(VALU_DEP_2)
	v_cndmask_b32_e32 v15, v15, v17, vcc_lo
	v_and_b32_e32 v17, 0x80000000, v19
	v_lshlrev_b32_e32 v15, 20, v15
	s_delay_alu instid0(VALU_DEP_1) | instskip(NEXT) | instid1(VALU_DEP_1)
	v_or3_b32 v15, v17, v16, v15
	v_cvt_f64_f32_e32 v[15:16], v15
.LBB249_65:                             ;   in Loop: Header=BB249_41 Depth=1
	s_or_b32 exec_lo, exec_lo, s13
	v_and_b32_e32 v19, 0xff, v36
	s_mov_b32 s0, 0
	s_mov_b32 s13, exec_lo
	s_delay_alu instid0(VALU_DEP_1)
	v_cmpx_lt_i16_e32 0x7f, v19
	s_xor_b32 s13, exec_lo, s13
	s_cbranch_execz .LBB249_69
; %bb.66:                               ;   in Loop: Header=BB249_41 Depth=1
	s_mov_b32 s0, -1
	s_mov_b32 s14, exec_lo
	v_cmpx_eq_u16_e32 0x80, v19
; %bb.67:                               ;   in Loop: Header=BB249_41 Depth=1
	s_xor_b32 s0, exec_lo, -1
; %bb.68:                               ;   in Loop: Header=BB249_41 Depth=1
	s_or_b32 exec_lo, exec_lo, s14
	s_delay_alu instid0(SALU_CYCLE_1)
	s_and_b32 s0, s0, exec_lo
                                        ; implicit-def: $vgpr19
.LBB249_69:                             ;   in Loop: Header=BB249_41 Depth=1
	s_or_saveexec_b32 s13, s13
	v_dual_mov_b32 v18, s7 :: v_dual_mov_b32 v17, s6
	s_xor_b32 exec_lo, exec_lo, s13
; %bb.70:                               ;   in Loop: Header=BB249_41 Depth=1
	v_cmp_ne_u16_e32 vcc_lo, 0, v19
	v_mov_b32_e32 v17, 0
	v_mov_b32_e32 v18, 0
	s_and_not1_b32 s0, s0, exec_lo
	s_and_b32 s14, vcc_lo, exec_lo
	s_delay_alu instid0(SALU_CYCLE_1)
	s_or_b32 s0, s0, s14
; %bb.71:                               ;   in Loop: Header=BB249_41 Depth=1
	s_or_b32 exec_lo, exec_lo, s13
	s_and_saveexec_b32 s13, s0
	s_cbranch_execz .LBB249_73
; %bb.72:                               ;   in Loop: Header=BB249_41 Depth=1
	v_lshrrev_b16 v20, 3, v36
	v_lshlrev_b32_e32 v39, 24, v36
	s_delay_alu instid0(VALU_DEP_2) | instskip(NEXT) | instid1(VALU_DEP_1)
	v_and_b32_e32 v20, 15, v20
	v_cmp_eq_u32_e32 vcc_lo, 0, v20
	v_and_b32_e32 v17, 7, v36
	s_delay_alu instid0(VALU_DEP_1) | instskip(NEXT) | instid1(VALU_DEP_1)
	v_clz_i32_u32_e32 v18, v17
	v_min_u32_e32 v18, 32, v18
	s_delay_alu instid0(VALU_DEP_1) | instskip(SKIP_1) | instid1(VALU_DEP_1)
	v_subrev_nc_u32_e32 v19, 28, v18
	v_sub_nc_u32_e32 v18, 29, v18
	v_dual_cndmask_b32 v18, v20, v18 :: v_dual_lshlrev_b32 v19, v19, v36
	s_delay_alu instid0(VALU_DEP_1) | instskip(NEXT) | instid1(VALU_DEP_2)
	v_and_b32_e32 v19, 7, v19
	v_lshl_add_u32 v18, v18, 23, 0x3b800000
	s_delay_alu instid0(VALU_DEP_2) | instskip(SKIP_1) | instid1(VALU_DEP_2)
	v_cndmask_b32_e32 v17, v17, v19, vcc_lo
	v_and_b32_e32 v19, 0x80000000, v39
	v_lshlrev_b32_e32 v17, 20, v17
	s_delay_alu instid0(VALU_DEP_1) | instskip(NEXT) | instid1(VALU_DEP_1)
	v_or3_b32 v17, v19, v18, v17
	v_cvt_f64_f32_e32 v[17:18], v17
.LBB249_73:                             ;   in Loop: Header=BB249_41 Depth=1
	s_or_b32 exec_lo, exec_lo, s13
	v_and_b32_e32 v39, 0xff, v35
	s_mov_b32 s0, 0
	s_mov_b32 s13, exec_lo
	s_delay_alu instid0(VALU_DEP_1)
	v_cmpx_lt_i16_e32 0x7f, v39
	s_xor_b32 s13, exec_lo, s13
	s_cbranch_execz .LBB249_77
; %bb.74:                               ;   in Loop: Header=BB249_41 Depth=1
	s_mov_b32 s0, -1
	s_mov_b32 s14, exec_lo
	v_cmpx_eq_u16_e32 0x80, v39
; %bb.75:                               ;   in Loop: Header=BB249_41 Depth=1
	s_xor_b32 s0, exec_lo, -1
; %bb.76:                               ;   in Loop: Header=BB249_41 Depth=1
	s_or_b32 exec_lo, exec_lo, s14
	s_delay_alu instid0(SALU_CYCLE_1)
	s_and_b32 s0, s0, exec_lo
                                        ; implicit-def: $vgpr39
.LBB249_77:                             ;   in Loop: Header=BB249_41 Depth=1
	s_or_saveexec_b32 s13, s13
	v_dual_mov_b32 v20, s7 :: v_dual_mov_b32 v19, s6
	s_xor_b32 exec_lo, exec_lo, s13
; %bb.78:                               ;   in Loop: Header=BB249_41 Depth=1
	v_cmp_ne_u16_e32 vcc_lo, 0, v39
	v_mov_b32_e32 v19, 0
	v_mov_b32_e32 v20, 0
	s_and_not1_b32 s0, s0, exec_lo
	s_and_b32 s14, vcc_lo, exec_lo
	s_delay_alu instid0(SALU_CYCLE_1)
	s_or_b32 s0, s0, s14
; %bb.79:                               ;   in Loop: Header=BB249_41 Depth=1
	s_or_b32 exec_lo, exec_lo, s13
	s_and_saveexec_b32 s13, s0
	s_cbranch_execz .LBB249_81
; %bb.80:                               ;   in Loop: Header=BB249_41 Depth=1
	v_lshrrev_b16 v40, 3, v35
	v_lshlrev_b32_e32 v41, 24, v35
	s_delay_alu instid0(VALU_DEP_2) | instskip(NEXT) | instid1(VALU_DEP_1)
	v_and_b32_e32 v40, 15, v40
	v_cmp_eq_u32_e32 vcc_lo, 0, v40
	v_and_b32_e32 v19, 7, v35
	s_delay_alu instid0(VALU_DEP_1) | instskip(NEXT) | instid1(VALU_DEP_1)
	v_clz_i32_u32_e32 v20, v19
	v_min_u32_e32 v20, 32, v20
	s_delay_alu instid0(VALU_DEP_1) | instskip(SKIP_1) | instid1(VALU_DEP_1)
	v_subrev_nc_u32_e32 v39, 28, v20
	v_sub_nc_u32_e32 v20, 29, v20
	v_dual_cndmask_b32 v20, v40, v20 :: v_dual_lshlrev_b32 v39, v39, v35
	s_delay_alu instid0(VALU_DEP_1) | instskip(NEXT) | instid1(VALU_DEP_2)
	v_and_b32_e32 v39, 7, v39
	v_lshl_add_u32 v20, v20, 23, 0x3b800000
	s_delay_alu instid0(VALU_DEP_2) | instskip(SKIP_1) | instid1(VALU_DEP_2)
	v_cndmask_b32_e32 v19, v19, v39, vcc_lo
	v_and_b32_e32 v39, 0x80000000, v41
	v_lshlrev_b32_e32 v19, 20, v19
	s_delay_alu instid0(VALU_DEP_1) | instskip(NEXT) | instid1(VALU_DEP_1)
	v_or3_b32 v19, v39, v20, v19
	v_cvt_f64_f32_e32 v[19:20], v19
.LBB249_81:                             ;   in Loop: Header=BB249_41 Depth=1
	s_or_b32 exec_lo, exec_lo, s13
	s_delay_alu instid0(SALU_CYCLE_1)
	s_mov_b32 s0, exec_lo
	v_cmpx_gt_u64_e64 s[2:3], v[5:6]
	s_xor_b32 s0, exec_lo, s0
	s_cbranch_execnz .LBB249_85
; %bb.82:                               ;   in Loop: Header=BB249_41 Depth=1
	s_or_b32 exec_lo, exec_lo, s0
	s_delay_alu instid0(SALU_CYCLE_1)
	s_mov_b32 s0, exec_lo
	v_cmpx_gt_u64_e64 s[2:3], v[7:8]
	s_cbranch_execnz .LBB249_86
.LBB249_83:                             ;   in Loop: Header=BB249_41 Depth=1
	s_or_b32 exec_lo, exec_lo, s0
	s_delay_alu instid0(SALU_CYCLE_1)
	s_mov_b32 s0, exec_lo
	v_cmpx_gt_u64_e64 s[2:3], v[9:10]
	s_cbranch_execnz .LBB249_87
.LBB249_84:                             ;   in Loop: Header=BB249_41 Depth=1
	s_or_b32 exec_lo, exec_lo, s0
	s_delay_alu instid0(SALU_CYCLE_1)
	s_mov_b32 s0, exec_lo
	v_cmpx_gt_u64_e64 s[2:3], v[11:12]
	s_cbranch_execz .LBB249_40
	s_branch .LBB249_88
.LBB249_85:                             ;   in Loop: Header=BB249_41 Depth=1
	global_store_b64 v[1:2], v[13:14], off
	s_or_b32 exec_lo, exec_lo, s0
	s_delay_alu instid0(SALU_CYCLE_1)
	s_mov_b32 s0, exec_lo
	v_cmpx_gt_u64_e64 s[2:3], v[7:8]
	s_cbranch_execz .LBB249_83
.LBB249_86:                             ;   in Loop: Header=BB249_41 Depth=1
	global_store_b64 v[3:4], v[15:16], off
	s_or_b32 exec_lo, exec_lo, s0
	s_delay_alu instid0(SALU_CYCLE_1)
	s_mov_b32 s0, exec_lo
	v_cmpx_gt_u64_e64 s[2:3], v[9:10]
	s_cbranch_execz .LBB249_84
.LBB249_87:                             ;   in Loop: Header=BB249_41 Depth=1
	v_add_co_u32 v5, vcc_lo, v1, s11
	v_add_co_ci_u32_e32 v6, vcc_lo, 0, v2, vcc_lo
	global_store_b64 v[5:6], v[17:18], off
	s_or_b32 exec_lo, exec_lo, s0
	s_delay_alu instid0(SALU_CYCLE_1)
	s_mov_b32 s0, exec_lo
	v_cmpx_gt_u64_e64 s[2:3], v[11:12]
	s_cbranch_execz .LBB249_40
.LBB249_88:                             ;   in Loop: Header=BB249_41 Depth=1
	v_add_co_u32 v5, vcc_lo, v1, s12
	v_add_co_ci_u32_e32 v6, vcc_lo, 0, v2, vcc_lo
	global_store_b64 v[5:6], v[19:20], off
	s_branch .LBB249_40
.LBB249_89:
	s_nop 0
	s_sendmsg sendmsg(MSG_DEALLOC_VGPRS)
	s_endpgm
	.section	.rodata,"a",@progbits
	.p2align	6, 0x0
	.amdhsa_kernel _ZN2at6native12_GLOBAL__N_125multi_tensor_apply_kernelINS1_18TensorListMetadataILi2EEENS1_11CopyFunctorIdN3c1015Float8_e4m3fnuzELi2ELi1ELi1EEEJNS0_4CopyIdS7_EEEEEvT_T0_DpT1_
		.amdhsa_group_segment_fixed_size 0
		.amdhsa_private_segment_fixed_size 0
		.amdhsa_kernarg_size 3408
		.amdhsa_user_sgpr_count 15
		.amdhsa_user_sgpr_dispatch_ptr 0
		.amdhsa_user_sgpr_queue_ptr 0
		.amdhsa_user_sgpr_kernarg_segment_ptr 1
		.amdhsa_user_sgpr_dispatch_id 0
		.amdhsa_user_sgpr_private_segment_size 0
		.amdhsa_wavefront_size32 1
		.amdhsa_uses_dynamic_stack 0
		.amdhsa_enable_private_segment 0
		.amdhsa_system_sgpr_workgroup_id_x 1
		.amdhsa_system_sgpr_workgroup_id_y 0
		.amdhsa_system_sgpr_workgroup_id_z 0
		.amdhsa_system_sgpr_workgroup_info 0
		.amdhsa_system_vgpr_workitem_id 0
		.amdhsa_next_free_vgpr 42
		.amdhsa_next_free_sgpr 23
		.amdhsa_reserve_vcc 1
		.amdhsa_float_round_mode_32 0
		.amdhsa_float_round_mode_16_64 0
		.amdhsa_float_denorm_mode_32 3
		.amdhsa_float_denorm_mode_16_64 3
		.amdhsa_dx10_clamp 1
		.amdhsa_ieee_mode 1
		.amdhsa_fp16_overflow 0
		.amdhsa_workgroup_processor_mode 1
		.amdhsa_memory_ordered 1
		.amdhsa_forward_progress 0
		.amdhsa_shared_vgpr_count 0
		.amdhsa_exception_fp_ieee_invalid_op 0
		.amdhsa_exception_fp_denorm_src 0
		.amdhsa_exception_fp_ieee_div_zero 0
		.amdhsa_exception_fp_ieee_overflow 0
		.amdhsa_exception_fp_ieee_underflow 0
		.amdhsa_exception_fp_ieee_inexact 0
		.amdhsa_exception_int_div_zero 0
	.end_amdhsa_kernel
	.section	.text._ZN2at6native12_GLOBAL__N_125multi_tensor_apply_kernelINS1_18TensorListMetadataILi2EEENS1_11CopyFunctorIdN3c1015Float8_e4m3fnuzELi2ELi1ELi1EEEJNS0_4CopyIdS7_EEEEEvT_T0_DpT1_,"axG",@progbits,_ZN2at6native12_GLOBAL__N_125multi_tensor_apply_kernelINS1_18TensorListMetadataILi2EEENS1_11CopyFunctorIdN3c1015Float8_e4m3fnuzELi2ELi1ELi1EEEJNS0_4CopyIdS7_EEEEEvT_T0_DpT1_,comdat
.Lfunc_end249:
	.size	_ZN2at6native12_GLOBAL__N_125multi_tensor_apply_kernelINS1_18TensorListMetadataILi2EEENS1_11CopyFunctorIdN3c1015Float8_e4m3fnuzELi2ELi1ELi1EEEJNS0_4CopyIdS7_EEEEEvT_T0_DpT1_, .Lfunc_end249-_ZN2at6native12_GLOBAL__N_125multi_tensor_apply_kernelINS1_18TensorListMetadataILi2EEENS1_11CopyFunctorIdN3c1015Float8_e4m3fnuzELi2ELi1ELi1EEEJNS0_4CopyIdS7_EEEEEvT_T0_DpT1_
                                        ; -- End function
	.section	.AMDGPU.csdata,"",@progbits
; Kernel info:
; codeLenInByte = 3312
; NumSgprs: 25
; NumVgprs: 42
; ScratchSize: 0
; MemoryBound: 0
; FloatMode: 240
; IeeeMode: 1
; LDSByteSize: 0 bytes/workgroup (compile time only)
; SGPRBlocks: 3
; VGPRBlocks: 5
; NumSGPRsForWavesPerEU: 25
; NumVGPRsForWavesPerEU: 42
; Occupancy: 16
; WaveLimiterHint : 0
; COMPUTE_PGM_RSRC2:SCRATCH_EN: 0
; COMPUTE_PGM_RSRC2:USER_SGPR: 15
; COMPUTE_PGM_RSRC2:TRAP_HANDLER: 0
; COMPUTE_PGM_RSRC2:TGID_X_EN: 1
; COMPUTE_PGM_RSRC2:TGID_Y_EN: 0
; COMPUTE_PGM_RSRC2:TGID_Z_EN: 0
; COMPUTE_PGM_RSRC2:TIDIG_COMP_CNT: 0
	.section	.text._ZN2at6native12_GLOBAL__N_125multi_tensor_apply_kernelINS1_18TensorListMetadataILi2EEENS1_11CopyFunctorIdN3c1011Float8_e5m2ELi2ELi1ELi1EEEJNS0_4CopyIdS7_EEEEEvT_T0_DpT1_,"axG",@progbits,_ZN2at6native12_GLOBAL__N_125multi_tensor_apply_kernelINS1_18TensorListMetadataILi2EEENS1_11CopyFunctorIdN3c1011Float8_e5m2ELi2ELi1ELi1EEEJNS0_4CopyIdS7_EEEEEvT_T0_DpT1_,comdat
	.globl	_ZN2at6native12_GLOBAL__N_125multi_tensor_apply_kernelINS1_18TensorListMetadataILi2EEENS1_11CopyFunctorIdN3c1011Float8_e5m2ELi2ELi1ELi1EEEJNS0_4CopyIdS7_EEEEEvT_T0_DpT1_ ; -- Begin function _ZN2at6native12_GLOBAL__N_125multi_tensor_apply_kernelINS1_18TensorListMetadataILi2EEENS1_11CopyFunctorIdN3c1011Float8_e5m2ELi2ELi1ELi1EEEJNS0_4CopyIdS7_EEEEEvT_T0_DpT1_
	.p2align	8
	.type	_ZN2at6native12_GLOBAL__N_125multi_tensor_apply_kernelINS1_18TensorListMetadataILi2EEENS1_11CopyFunctorIdN3c1011Float8_e5m2ELi2ELi1ELi1EEEJNS0_4CopyIdS7_EEEEEvT_T0_DpT1_,@function
_ZN2at6native12_GLOBAL__N_125multi_tensor_apply_kernelINS1_18TensorListMetadataILi2EEENS1_11CopyFunctorIdN3c1011Float8_e5m2ELi2ELi1ELi1EEEJNS0_4CopyIdS7_EEEEEvT_T0_DpT1_: ; @_ZN2at6native12_GLOBAL__N_125multi_tensor_apply_kernelINS1_18TensorListMetadataILi2EEENS1_11CopyFunctorIdN3c1011Float8_e5m2ELi2ELi1ELi1EEEJNS0_4CopyIdS7_EEEEEvT_T0_DpT1_
; %bb.0:
	v_mov_b32_e32 v1, s15
	s_add_u32 s2, s0, s15
	s_mul_hi_u32 s3, s15, 3
	s_mul_i32 s15, s15, 3
	s_addc_u32 s4, s1, 0
	global_load_u8 v1, v1, s[0:1] offset:1536
	s_add_u32 s2, s2, s15
	s_addc_u32 s3, s4, s3
	s_load_b32 s10, s[2:3], 0x740
	s_waitcnt lgkmcnt(0)
	s_ashr_i32 s11, s10, 31
	s_delay_alu instid0(SALU_CYCLE_1) | instskip(SKIP_2) | instid1(VALU_DEP_1)
	s_lshl_b64 s[8:9], s[10:11], 16
	s_waitcnt vmcnt(0)
	v_readfirstlane_b32 s5, v1
	s_lshl_b32 s2, s5, 3
	s_mov_b32 s5, 0
	s_clause 0x2
	s_load_b64 s[6:7], s[0:1], s2 offset:0x0
	s_load_b64 s[12:13], s[0:1], s2 offset:0x200
	;; [unrolled: 1-line block ×3, first 2 shown]
	s_waitcnt lgkmcnt(0)
	s_add_u32 s14, s6, s8
	s_addc_u32 s15, s7, s9
	s_and_b32 s16, s12, 31
	s_and_b32 s17, s2, 3
	;; [unrolled: 1-line block ×3, first 2 shown]
	s_or_b32 s16, s17, s16
	s_mov_b32 s17, s5
	s_delay_alu instid0(SALU_CYCLE_1)
	s_or_b64 s[16:17], s[4:5], s[16:17]
	s_sub_u32 s4, s2, s8
	s_subb_u32 s5, s3, s9
	s_cmp_eq_u64 s[16:17], 0
	s_mov_b32 s2, -1
	s_cbranch_scc0 .LBB250_5
; %bb.1:
	v_dual_mov_b32 v2, 0 :: v_dual_lshlrev_b32 v1, 2, v0
	s_mov_b32 s16, exec_lo
	s_delay_alu instid0(VALU_DEP_1)
	v_cmpx_gt_i64_e64 s[4:5], v[1:2]
	s_cbranch_execz .LBB250_4
; %bb.2:
	s_load_b32 s17, s[0:1], 0xc5c
	v_lshlrev_b32_e32 v3, 5, v0
	s_lshl_b64 s[2:3], s[10:11], 19
	s_mov_b32 s18, 0
	s_mov_b32 s20, 0xfe00000
	s_waitcnt lgkmcnt(0)
	s_and_b32 s19, s17, 0xffff
	s_delay_alu instid0(SALU_CYCLE_1) | instskip(SKIP_3) | instid1(VALU_DEP_1)
	s_lshl_b32 s17, s19, 2
	s_add_u32 s2, s12, s2
	s_addc_u32 s3, s13, s3
	v_add_co_u32 v3, s2, s2, v3
	v_add_co_ci_u32_e64 v4, null, s3, 0, s2
	s_lshl_b32 s19, s19, 5
.LBB250_3:                              ; =>This Inner Loop Header: Depth=1
	v_add_co_u32 v5, vcc_lo, s14, v1
	v_add_co_ci_u32_e32 v6, vcc_lo, s15, v2, vcc_lo
	global_load_b32 v5, v[5:6], off
	s_waitcnt vmcnt(0)
	v_lshlrev_b16 v6, 8, v5
	v_and_or_b32 v10, 0x7f00, v5, 0.5
	v_lshlrev_b32_e32 v7, 25, v5
	v_lshrrev_b32_e32 v16, 3, v5
	v_lshrrev_b32_e32 v12, 8, v5
	;; [unrolled: 1-line block ×3, first 2 shown]
	v_add_f32_e32 v10, -0.5, v10
	v_lshrrev_b32_e32 v17, 4, v7
	v_and_or_b32 v18, 0x7f00, v6, 0.5
	v_lshlrev_b32_e32 v9, 13, v5
	v_and_or_b32 v16, v16, s20, 0x70000000
	v_lshlrev_b32_e32 v13, 5, v5
	v_or_b32_e32 v17, 0x70000000, v17
	v_lshlrev_b32_e32 v19, 17, v12
	v_and_or_b32 v12, 0x7f00, v12, 0.5
	v_add_f32_e32 v18, -0.5, v18
	v_and_or_b32 v9, v9, s20, 0x70000000
	v_lshlrev_b32_e32 v20, 17, v15
	v_and_or_b32 v15, 0x7f00, v15, 0.5
	v_lshlrev_b32_e32 v8, 17, v5
	v_mul_f32_e32 v16, 0x7800000, v16
	v_and_or_b32 v13, v13, s20, 0x70000000
	v_dual_add_f32 v12, -0.5, v12 :: v_dual_lshlrev_b32 v11, 16, v5
	v_mul_f32_e32 v9, 0x7800000, v9
	v_add_f32_e32 v15, -0.5, v15
	s_delay_alu instid0(VALU_DEP_4)
	v_mul_f32_e32 v13, 0x7800000, v13
	v_cmp_gt_u32_e64 s3, 0x8000000, v8
	v_mul_f32_e32 v8, 0x7800000, v17
	v_cmp_gt_u32_e32 vcc_lo, 0x8000000, v19
	v_cmp_gt_u32_e64 s2, 0x8000000, v20
	v_bfe_i32 v6, v6, 0, 16
	v_cndmask_b32_e64 v9, v9, v10, s3
	v_cndmask_b32_e32 v10, v13, v12, vcc_lo
	v_cmp_gt_u32_e32 vcc_lo, 0x8000000, v7
	v_lshlrev_b32_e32 v14, 8, v5
	v_cndmask_b32_e64 v12, v16, v15, s2
	v_cndmask_b32_e32 v7, v8, v18, vcc_lo
	v_and_or_b32 v8, 0x80000000, v11, v9
	s_delay_alu instid0(VALU_DEP_3)
	v_and_or_b32 v5, 0x80000000, v5, v12
	v_and_or_b32 v9, 0x80000000, v14, v10
	v_add_co_u32 v1, vcc_lo, s17, v1
	v_and_or_b32 v6, 0x80000000, v6, v7
	v_cvt_f64_f32_e32 v[7:8], v8
	v_cvt_f64_f32_e32 v[11:12], v5
	;; [unrolled: 1-line block ×3, first 2 shown]
	v_add_co_ci_u32_e32 v2, vcc_lo, 0, v2, vcc_lo
	v_cvt_f64_f32_e32 v[5:6], v6
	s_clause 0x1
	global_store_b128 v[3:4], v[5:8], off
	global_store_b128 v[3:4], v[9:12], off offset:16
	v_cmp_le_i64_e32 vcc_lo, s[4:5], v[1:2]
	v_cmp_lt_u64_e64 s2, 0xffff, v[1:2]
	s_delay_alu instid0(VALU_DEP_1) | instskip(SKIP_3) | instid1(SALU_CYCLE_1)
	s_or_b32 s2, vcc_lo, s2
	v_add_co_u32 v3, vcc_lo, v3, s19
	v_add_co_ci_u32_e32 v4, vcc_lo, 0, v4, vcc_lo
	s_and_b32 s2, exec_lo, s2
	s_or_b32 s18, s2, s18
	s_delay_alu instid0(SALU_CYCLE_1)
	s_and_not1_b32 exec_lo, exec_lo, s18
	s_cbranch_execnz .LBB250_3
.LBB250_4:
	s_or_b32 exec_lo, exec_lo, s16
	s_mov_b32 s2, 0
.LBB250_5:
	s_delay_alu instid0(SALU_CYCLE_1)
	s_and_not1_b32 vcc_lo, exec_lo, s2
	s_cbranch_vccnz .LBB250_25
; %bb.6:
	v_cmp_lt_i64_e64 s2, s[4:5], 1
	s_delay_alu instid0(VALU_DEP_1)
	s_and_b32 vcc_lo, exec_lo, s2
	s_cbranch_vccnz .LBB250_25
; %bb.7:
	s_load_b32 s0, s[0:1], 0xc5c
	v_cmp_gt_u64_e64 s1, 0x10000, s[4:5]
	v_add_co_u32 v3, s2, s8, v0
	v_lshlrev_b32_e32 v1, 3, v0
	v_add_co_ci_u32_e64 v4, null, s9, 0, s2
	s_delay_alu instid0(VALU_DEP_3) | instskip(NEXT) | instid1(VALU_DEP_2)
	v_add_co_u32 v13, vcc_lo, s6, v3
                                        ; implicit-def: $vgpr27
                                        ; implicit-def: $vgpr28
                                        ; implicit-def: $vgpr29
                                        ; implicit-def: $vgpr30
	v_add_co_ci_u32_e32 v14, vcc_lo, s7, v4, vcc_lo
	s_waitcnt lgkmcnt(0)
	s_and_b32 s0, s0, 0xffff
	s_and_b32 s1, s1, exec_lo
	s_cselect_b32 s3, s5, 0
	s_cselect_b32 s2, s4, 0x10000
	s_lshl_b64 s[10:11], s[10:11], 19
	s_lshl_b32 s14, s0, 1
	s_lshl_b32 s1, s0, 2
	s_add_u32 s12, s12, s10
	s_mul_i32 s15, s0, 3
	s_addc_u32 s11, s13, s11
	s_lshl_b32 s10, s0, 5
	v_add_co_u32 v1, s16, s12, v1
	s_add_u32 s13, s8, s15
	v_add_co_ci_u32_e64 v2, null, s11, 0, s16
	s_addc_u32 s16, s9, 0
	s_add_u32 s13, s6, s13
	s_addc_u32 s16, s7, s16
	s_add_u32 s8, s8, s14
	;; [unrolled: 2-line block ×3, first 2 shown]
	s_addc_u32 s9, s7, s9
	v_add_co_u32 v19, s8, s8, v0
	s_delay_alu instid0(VALU_DEP_1) | instskip(SKIP_1) | instid1(VALU_DEP_1)
	v_add_co_ci_u32_e64 v20, null, s9, 0, s8
	v_add_co_u32 v21, s9, s14, v0
	v_add_co_ci_u32_e64 v22, null, 0, 0, s9
	v_add_co_u32 v23, s9, v0, s0
	s_lshl_b32 s8, s0, 4
	v_add_co_u32 v15, s13, s13, v0
	s_delay_alu instid0(VALU_DEP_2)
	v_lshlrev_b32_e32 v5, 3, v23
	s_add_u32 s6, s6, s0
	v_add_co_ci_u32_e64 v16, null, s16, 0, s13
	v_add_co_u32 v17, s13, s15, v0
	s_addc_u32 s7, s7, 0
	v_add_co_u32 v25, vcc_lo, s6, v3
	v_add_co_u32 v3, s6, s12, v5
	v_add_co_ci_u32_e64 v18, null, 0, 0, s13
	v_add_co_ci_u32_e64 v24, null, 0, 0, s9
	v_add_co_ci_u32_e32 v26, vcc_lo, s7, v4, vcc_lo
	v_add_co_ci_u32_e64 v4, null, s11, 0, s6
	s_mul_i32 s9, s0, 24
	s_mov_b64 s[6:7], 0
	s_branch .LBB250_9
.LBB250_8:                              ;   in Loop: Header=BB250_9 Depth=1
	s_or_b32 exec_lo, exec_lo, s0
	s_add_u32 s6, s6, s1
	s_addc_u32 s7, s7, 0
	v_add_co_u32 v1, vcc_lo, v1, s10
	v_cmp_ge_i64_e64 s0, s[6:7], s[4:5]
	v_cmp_lt_u64_e64 s11, 0xffff, s[6:7]
	v_add_co_ci_u32_e32 v2, vcc_lo, 0, v2, vcc_lo
	v_add_co_u32 v3, vcc_lo, v3, s10
	v_add_co_ci_u32_e32 v4, vcc_lo, 0, v4, vcc_lo
	s_delay_alu instid0(VALU_DEP_4) | instskip(NEXT) | instid1(SALU_CYCLE_1)
	s_or_b32 s0, s0, s11
	s_and_b32 vcc_lo, exec_lo, s0
	s_cbranch_vccnz .LBB250_25
.LBB250_9:                              ; =>This Inner Loop Header: Depth=1
	v_add_co_u32 v11, s0, v0, s6
	s_delay_alu instid0(VALU_DEP_1) | instskip(NEXT) | instid1(VALU_DEP_1)
	v_add_co_ci_u32_e64 v12, null, 0, s7, s0
	v_cmp_gt_i64_e32 vcc_lo, s[4:5], v[11:12]
	v_cmp_gt_u64_e64 s0, 0x10000, v[11:12]
	s_delay_alu instid0(VALU_DEP_1) | instskip(NEXT) | instid1(SALU_CYCLE_1)
	s_and_b32 s11, vcc_lo, s0
	s_and_saveexec_b32 s0, s11
	s_cbranch_execz .LBB250_11
; %bb.10:                               ;   in Loop: Header=BB250_9 Depth=1
	v_add_co_u32 v5, vcc_lo, v13, s6
	v_add_co_ci_u32_e32 v6, vcc_lo, s7, v14, vcc_lo
	global_load_u8 v30, v[5:6], off
.LBB250_11:                             ;   in Loop: Header=BB250_9 Depth=1
	s_or_b32 exec_lo, exec_lo, s0
	v_add_co_u32 v9, vcc_lo, v23, s6
	v_add_co_ci_u32_e32 v10, vcc_lo, s7, v24, vcc_lo
	s_delay_alu instid0(VALU_DEP_1) | instskip(SKIP_1) | instid1(VALU_DEP_1)
	v_cmp_gt_i64_e32 vcc_lo, s[4:5], v[9:10]
	v_cmp_gt_u64_e64 s0, 0x10000, v[9:10]
	s_and_b32 s11, vcc_lo, s0
	s_delay_alu instid0(SALU_CYCLE_1)
	s_and_saveexec_b32 s0, s11
	s_cbranch_execz .LBB250_13
; %bb.12:                               ;   in Loop: Header=BB250_9 Depth=1
	v_add_co_u32 v5, vcc_lo, v25, s6
	v_add_co_ci_u32_e32 v6, vcc_lo, s7, v26, vcc_lo
	global_load_u8 v29, v[5:6], off
.LBB250_13:                             ;   in Loop: Header=BB250_9 Depth=1
	s_or_b32 exec_lo, exec_lo, s0
	v_add_co_u32 v7, vcc_lo, v21, s6
	v_add_co_ci_u32_e32 v8, vcc_lo, s7, v22, vcc_lo
	s_delay_alu instid0(VALU_DEP_1) | instskip(SKIP_1) | instid1(VALU_DEP_1)
	v_cmp_gt_i64_e32 vcc_lo, s[4:5], v[7:8]
	v_cmp_gt_u64_e64 s0, 0x10000, v[7:8]
	s_and_b32 s11, vcc_lo, s0
	s_delay_alu instid0(SALU_CYCLE_1)
	;; [unrolled: 15-line block ×3, first 2 shown]
	s_and_saveexec_b32 s0, s11
	s_cbranch_execnz .LBB250_20
; %bb.16:                               ;   in Loop: Header=BB250_9 Depth=1
	s_or_b32 exec_lo, exec_lo, s0
	s_delay_alu instid0(SALU_CYCLE_1)
	s_mov_b32 s0, exec_lo
	v_cmpx_gt_u64_e64 s[2:3], v[11:12]
	s_cbranch_execnz .LBB250_21
.LBB250_17:                             ;   in Loop: Header=BB250_9 Depth=1
	s_or_b32 exec_lo, exec_lo, s0
	s_delay_alu instid0(SALU_CYCLE_1)
	s_mov_b32 s0, exec_lo
	v_cmpx_gt_u64_e64 s[2:3], v[9:10]
	s_cbranch_execnz .LBB250_22
.LBB250_18:                             ;   in Loop: Header=BB250_9 Depth=1
	s_or_b32 exec_lo, exec_lo, s0
	s_delay_alu instid0(SALU_CYCLE_1)
	s_mov_b32 s0, exec_lo
	v_cmpx_gt_u64_e64 s[2:3], v[7:8]
	s_cbranch_execnz .LBB250_23
.LBB250_19:                             ;   in Loop: Header=BB250_9 Depth=1
	s_or_b32 exec_lo, exec_lo, s0
	s_delay_alu instid0(SALU_CYCLE_1)
	s_mov_b32 s0, exec_lo
	v_cmpx_gt_u64_e64 s[2:3], v[5:6]
	s_cbranch_execz .LBB250_8
	s_branch .LBB250_24
.LBB250_20:                             ;   in Loop: Header=BB250_9 Depth=1
	v_add_co_u32 v31, vcc_lo, v15, s6
	v_add_co_ci_u32_e32 v32, vcc_lo, s7, v16, vcc_lo
	global_load_u8 v27, v[31:32], off
	s_or_b32 exec_lo, exec_lo, s0
	s_delay_alu instid0(SALU_CYCLE_1)
	s_mov_b32 s0, exec_lo
	v_cmpx_gt_u64_e64 s[2:3], v[11:12]
	s_cbranch_execz .LBB250_17
.LBB250_21:                             ;   in Loop: Header=BB250_9 Depth=1
	s_waitcnt vmcnt(0)
	v_lshlrev_b16 v12, 8, v30
	s_delay_alu instid0(VALU_DEP_1) | instskip(SKIP_2) | instid1(VALU_DEP_3)
	v_and_or_b32 v32, 0x7f00, v12, 0.5
	v_lshlrev_b32_e32 v11, 25, v30
	v_bfe_i32 v12, v12, 0, 16
	v_add_f32_e32 v32, -0.5, v32
	s_delay_alu instid0(VALU_DEP_3) | instskip(SKIP_1) | instid1(VALU_DEP_2)
	v_lshrrev_b32_e32 v31, 4, v11
	v_cmp_gt_u32_e32 vcc_lo, 0x8000000, v11
	v_or_b32_e32 v31, 0x70000000, v31
	s_delay_alu instid0(VALU_DEP_1) | instskip(NEXT) | instid1(VALU_DEP_1)
	v_mul_f32_e32 v31, 0x7800000, v31
	v_cndmask_b32_e32 v11, v31, v32, vcc_lo
	s_delay_alu instid0(VALU_DEP_1) | instskip(NEXT) | instid1(VALU_DEP_1)
	v_and_or_b32 v11, 0x80000000, v12, v11
	v_cvt_f64_f32_e32 v[11:12], v11
	global_store_b64 v[1:2], v[11:12], off
	s_or_b32 exec_lo, exec_lo, s0
	s_delay_alu instid0(SALU_CYCLE_1)
	s_mov_b32 s0, exec_lo
	v_cmpx_gt_u64_e64 s[2:3], v[9:10]
	s_cbranch_execz .LBB250_18
.LBB250_22:                             ;   in Loop: Header=BB250_9 Depth=1
	s_waitcnt vmcnt(0)
	v_lshlrev_b16 v10, 8, v29
	s_delay_alu instid0(VALU_DEP_1) | instskip(SKIP_2) | instid1(VALU_DEP_3)
	v_and_or_b32 v12, 0x7f00, v10, 0.5
	v_lshlrev_b32_e32 v9, 25, v29
	v_bfe_i32 v10, v10, 0, 16
	v_add_f32_e32 v12, -0.5, v12
	s_delay_alu instid0(VALU_DEP_3) | instskip(SKIP_1) | instid1(VALU_DEP_2)
	v_lshrrev_b32_e32 v11, 4, v9
	v_cmp_gt_u32_e32 vcc_lo, 0x8000000, v9
	v_or_b32_e32 v11, 0x70000000, v11
	s_delay_alu instid0(VALU_DEP_1) | instskip(NEXT) | instid1(VALU_DEP_1)
	v_mul_f32_e32 v11, 0x7800000, v11
	v_cndmask_b32_e32 v9, v11, v12, vcc_lo
	s_delay_alu instid0(VALU_DEP_1) | instskip(NEXT) | instid1(VALU_DEP_1)
	v_and_or_b32 v9, 0x80000000, v10, v9
	v_cvt_f64_f32_e32 v[9:10], v9
	global_store_b64 v[3:4], v[9:10], off
	s_or_b32 exec_lo, exec_lo, s0
	s_delay_alu instid0(SALU_CYCLE_1)
	s_mov_b32 s0, exec_lo
	v_cmpx_gt_u64_e64 s[2:3], v[7:8]
	s_cbranch_execz .LBB250_19
.LBB250_23:                             ;   in Loop: Header=BB250_9 Depth=1
	s_waitcnt vmcnt(0)
	v_lshlrev_b16 v8, 8, v28
	s_delay_alu instid0(VALU_DEP_1) | instskip(SKIP_2) | instid1(VALU_DEP_3)
	v_and_or_b32 v10, 0x7f00, v8, 0.5
	v_lshlrev_b32_e32 v7, 25, v28
	v_bfe_i32 v8, v8, 0, 16
	v_add_f32_e32 v10, -0.5, v10
	s_delay_alu instid0(VALU_DEP_3) | instskip(SKIP_1) | instid1(VALU_DEP_2)
	v_lshrrev_b32_e32 v9, 4, v7
	v_cmp_gt_u32_e32 vcc_lo, 0x8000000, v7
	v_or_b32_e32 v9, 0x70000000, v9
	s_delay_alu instid0(VALU_DEP_1) | instskip(NEXT) | instid1(VALU_DEP_1)
	v_mul_f32_e32 v9, 0x7800000, v9
	v_cndmask_b32_e32 v7, v9, v10, vcc_lo
	v_add_co_u32 v9, vcc_lo, v1, s8
	v_add_co_ci_u32_e32 v10, vcc_lo, 0, v2, vcc_lo
	s_delay_alu instid0(VALU_DEP_3) | instskip(NEXT) | instid1(VALU_DEP_1)
	v_and_or_b32 v7, 0x80000000, v8, v7
	v_cvt_f64_f32_e32 v[7:8], v7
	global_store_b64 v[9:10], v[7:8], off
	s_or_b32 exec_lo, exec_lo, s0
	s_delay_alu instid0(SALU_CYCLE_1)
	s_mov_b32 s0, exec_lo
	v_cmpx_gt_u64_e64 s[2:3], v[5:6]
	s_cbranch_execz .LBB250_8
.LBB250_24:                             ;   in Loop: Header=BB250_9 Depth=1
	s_waitcnt vmcnt(0)
	v_lshlrev_b16 v6, 8, v27
	s_delay_alu instid0(VALU_DEP_1) | instskip(SKIP_2) | instid1(VALU_DEP_3)
	v_and_or_b32 v8, 0x7f00, v6, 0.5
	v_lshlrev_b32_e32 v5, 25, v27
	v_bfe_i32 v6, v6, 0, 16
	v_add_f32_e32 v8, -0.5, v8
	s_delay_alu instid0(VALU_DEP_3) | instskip(SKIP_1) | instid1(VALU_DEP_2)
	v_lshrrev_b32_e32 v7, 4, v5
	v_cmp_gt_u32_e32 vcc_lo, 0x8000000, v5
	v_or_b32_e32 v7, 0x70000000, v7
	s_delay_alu instid0(VALU_DEP_1) | instskip(NEXT) | instid1(VALU_DEP_1)
	v_mul_f32_e32 v7, 0x7800000, v7
	v_cndmask_b32_e32 v5, v7, v8, vcc_lo
	v_add_co_u32 v7, vcc_lo, v1, s9
	v_add_co_ci_u32_e32 v8, vcc_lo, 0, v2, vcc_lo
	s_delay_alu instid0(VALU_DEP_3) | instskip(NEXT) | instid1(VALU_DEP_1)
	v_and_or_b32 v5, 0x80000000, v6, v5
	v_cvt_f64_f32_e32 v[5:6], v5
	global_store_b64 v[7:8], v[5:6], off
	s_branch .LBB250_8
.LBB250_25:
	s_nop 0
	s_sendmsg sendmsg(MSG_DEALLOC_VGPRS)
	s_endpgm
	.section	.rodata,"a",@progbits
	.p2align	6, 0x0
	.amdhsa_kernel _ZN2at6native12_GLOBAL__N_125multi_tensor_apply_kernelINS1_18TensorListMetadataILi2EEENS1_11CopyFunctorIdN3c1011Float8_e5m2ELi2ELi1ELi1EEEJNS0_4CopyIdS7_EEEEEvT_T0_DpT1_
		.amdhsa_group_segment_fixed_size 0
		.amdhsa_private_segment_fixed_size 0
		.amdhsa_kernarg_size 3408
		.amdhsa_user_sgpr_count 15
		.amdhsa_user_sgpr_dispatch_ptr 0
		.amdhsa_user_sgpr_queue_ptr 0
		.amdhsa_user_sgpr_kernarg_segment_ptr 1
		.amdhsa_user_sgpr_dispatch_id 0
		.amdhsa_user_sgpr_private_segment_size 0
		.amdhsa_wavefront_size32 1
		.amdhsa_uses_dynamic_stack 0
		.amdhsa_enable_private_segment 0
		.amdhsa_system_sgpr_workgroup_id_x 1
		.amdhsa_system_sgpr_workgroup_id_y 0
		.amdhsa_system_sgpr_workgroup_id_z 0
		.amdhsa_system_sgpr_workgroup_info 0
		.amdhsa_system_vgpr_workitem_id 0
		.amdhsa_next_free_vgpr 33
		.amdhsa_next_free_sgpr 21
		.amdhsa_reserve_vcc 1
		.amdhsa_float_round_mode_32 0
		.amdhsa_float_round_mode_16_64 0
		.amdhsa_float_denorm_mode_32 3
		.amdhsa_float_denorm_mode_16_64 3
		.amdhsa_dx10_clamp 1
		.amdhsa_ieee_mode 1
		.amdhsa_fp16_overflow 0
		.amdhsa_workgroup_processor_mode 1
		.amdhsa_memory_ordered 1
		.amdhsa_forward_progress 0
		.amdhsa_shared_vgpr_count 0
		.amdhsa_exception_fp_ieee_invalid_op 0
		.amdhsa_exception_fp_denorm_src 0
		.amdhsa_exception_fp_ieee_div_zero 0
		.amdhsa_exception_fp_ieee_overflow 0
		.amdhsa_exception_fp_ieee_underflow 0
		.amdhsa_exception_fp_ieee_inexact 0
		.amdhsa_exception_int_div_zero 0
	.end_amdhsa_kernel
	.section	.text._ZN2at6native12_GLOBAL__N_125multi_tensor_apply_kernelINS1_18TensorListMetadataILi2EEENS1_11CopyFunctorIdN3c1011Float8_e5m2ELi2ELi1ELi1EEEJNS0_4CopyIdS7_EEEEEvT_T0_DpT1_,"axG",@progbits,_ZN2at6native12_GLOBAL__N_125multi_tensor_apply_kernelINS1_18TensorListMetadataILi2EEENS1_11CopyFunctorIdN3c1011Float8_e5m2ELi2ELi1ELi1EEEJNS0_4CopyIdS7_EEEEEvT_T0_DpT1_,comdat
.Lfunc_end250:
	.size	_ZN2at6native12_GLOBAL__N_125multi_tensor_apply_kernelINS1_18TensorListMetadataILi2EEENS1_11CopyFunctorIdN3c1011Float8_e5m2ELi2ELi1ELi1EEEJNS0_4CopyIdS7_EEEEEvT_T0_DpT1_, .Lfunc_end250-_ZN2at6native12_GLOBAL__N_125multi_tensor_apply_kernelINS1_18TensorListMetadataILi2EEENS1_11CopyFunctorIdN3c1011Float8_e5m2ELi2ELi1ELi1EEEJNS0_4CopyIdS7_EEEEEvT_T0_DpT1_
                                        ; -- End function
	.section	.AMDGPU.csdata,"",@progbits
; Kernel info:
; codeLenInByte = 2108
; NumSgprs: 23
; NumVgprs: 33
; ScratchSize: 0
; MemoryBound: 0
; FloatMode: 240
; IeeeMode: 1
; LDSByteSize: 0 bytes/workgroup (compile time only)
; SGPRBlocks: 2
; VGPRBlocks: 4
; NumSGPRsForWavesPerEU: 23
; NumVGPRsForWavesPerEU: 33
; Occupancy: 16
; WaveLimiterHint : 0
; COMPUTE_PGM_RSRC2:SCRATCH_EN: 0
; COMPUTE_PGM_RSRC2:USER_SGPR: 15
; COMPUTE_PGM_RSRC2:TRAP_HANDLER: 0
; COMPUTE_PGM_RSRC2:TGID_X_EN: 1
; COMPUTE_PGM_RSRC2:TGID_Y_EN: 0
; COMPUTE_PGM_RSRC2:TGID_Z_EN: 0
; COMPUTE_PGM_RSRC2:TIDIG_COMP_CNT: 0
	.section	.text._ZN2at6native12_GLOBAL__N_125multi_tensor_apply_kernelINS1_18TensorListMetadataILi2EEENS1_11CopyFunctorIdN3c1015Float8_e5m2fnuzELi2ELi1ELi1EEEJNS0_4CopyIdS7_EEEEEvT_T0_DpT1_,"axG",@progbits,_ZN2at6native12_GLOBAL__N_125multi_tensor_apply_kernelINS1_18TensorListMetadataILi2EEENS1_11CopyFunctorIdN3c1015Float8_e5m2fnuzELi2ELi1ELi1EEEJNS0_4CopyIdS7_EEEEEvT_T0_DpT1_,comdat
	.globl	_ZN2at6native12_GLOBAL__N_125multi_tensor_apply_kernelINS1_18TensorListMetadataILi2EEENS1_11CopyFunctorIdN3c1015Float8_e5m2fnuzELi2ELi1ELi1EEEJNS0_4CopyIdS7_EEEEEvT_T0_DpT1_ ; -- Begin function _ZN2at6native12_GLOBAL__N_125multi_tensor_apply_kernelINS1_18TensorListMetadataILi2EEENS1_11CopyFunctorIdN3c1015Float8_e5m2fnuzELi2ELi1ELi1EEEJNS0_4CopyIdS7_EEEEEvT_T0_DpT1_
	.p2align	8
	.type	_ZN2at6native12_GLOBAL__N_125multi_tensor_apply_kernelINS1_18TensorListMetadataILi2EEENS1_11CopyFunctorIdN3c1015Float8_e5m2fnuzELi2ELi1ELi1EEEJNS0_4CopyIdS7_EEEEEvT_T0_DpT1_,@function
_ZN2at6native12_GLOBAL__N_125multi_tensor_apply_kernelINS1_18TensorListMetadataILi2EEENS1_11CopyFunctorIdN3c1015Float8_e5m2fnuzELi2ELi1ELi1EEEJNS0_4CopyIdS7_EEEEEvT_T0_DpT1_: ; @_ZN2at6native12_GLOBAL__N_125multi_tensor_apply_kernelINS1_18TensorListMetadataILi2EEENS1_11CopyFunctorIdN3c1015Float8_e5m2fnuzELi2ELi1ELi1EEEJNS0_4CopyIdS7_EEEEEvT_T0_DpT1_
; %bb.0:
	v_mov_b32_e32 v1, s15
	s_add_u32 s2, s0, s15
	s_mul_hi_u32 s3, s15, 3
	s_mul_i32 s15, s15, 3
	s_addc_u32 s4, s1, 0
	global_load_u8 v1, v1, s[0:1] offset:1536
	s_add_u32 s2, s2, s15
	s_addc_u32 s3, s4, s3
	s_mov_b32 s15, 0
	s_load_b32 s10, s[2:3], 0x740
	s_mov_b32 s19, s15
	s_waitcnt lgkmcnt(0)
	s_ashr_i32 s11, s10, 31
	s_delay_alu instid0(SALU_CYCLE_1) | instskip(SKIP_2) | instid1(VALU_DEP_1)
	s_lshl_b64 s[8:9], s[10:11], 16
	s_waitcnt vmcnt(0)
	v_readfirstlane_b32 s5, v1
	s_lshl_b32 s2, s5, 3
	s_clause 0x2
	s_load_b64 s[6:7], s[0:1], s2 offset:0x0
	s_load_b64 s[12:13], s[0:1], s2 offset:0x200
	;; [unrolled: 1-line block ×3, first 2 shown]
	s_waitcnt lgkmcnt(0)
	s_add_u32 s3, s6, s8
	s_addc_u32 s16, s7, s9
	s_and_b32 s2, s12, 31
	s_and_b32 s17, s4, 3
	;; [unrolled: 1-line block ×3, first 2 shown]
	s_or_b32 s18, s17, s2
	s_mov_b32 s2, -1
	s_or_b64 s[14:15], s[14:15], s[18:19]
	s_sub_u32 s4, s4, s8
	s_subb_u32 s5, s5, s9
	s_cmp_eq_u64 s[14:15], 0
	s_cbranch_scc0 .LBB251_37
; %bb.1:
	v_dual_mov_b32 v10, 0 :: v_dual_lshlrev_b32 v9, 2, v0
	s_mov_b32 s17, exec_lo
	s_delay_alu instid0(VALU_DEP_1)
	v_cmpx_gt_i64_e64 s[4:5], v[9:10]
	s_cbranch_execz .LBB251_36
; %bb.2:
	s_load_b32 s2, s[0:1], 0xc5c
	v_lshlrev_b32_e32 v1, 5, v0
	s_lshl_b64 s[20:21], s[10:11], 19
	s_brev_b32 s14, 4
	s_mov_b32 s15, 0x7ff80000
	s_waitcnt lgkmcnt(0)
	s_and_b32 s2, s2, 0xffff
	s_delay_alu instid0(SALU_CYCLE_1) | instskip(SKIP_3) | instid1(VALU_DEP_1)
	s_lshl_b32 s18, s2, 2
	s_add_u32 s19, s12, s20
	s_addc_u32 s20, s13, s21
	v_add_co_u32 v11, s19, s19, v1
	v_add_co_ci_u32_e64 v12, null, s20, 0, s19
	s_mov_b32 s19, 0
	s_lshl_b32 s20, s2, 5
	s_branch .LBB251_4
.LBB251_3:                              ;   in Loop: Header=BB251_4 Depth=1
	s_or_b32 exec_lo, exec_lo, s21
	v_add_co_u32 v9, vcc_lo, s18, v9
	v_add_co_ci_u32_e32 v10, vcc_lo, 0, v10, vcc_lo
	s_clause 0x1
	global_store_b128 v[11:12], v[1:4], off
	global_store_b128 v[11:12], v[5:8], off offset:16
	v_cmp_le_i64_e32 vcc_lo, s[4:5], v[9:10]
	v_cmp_lt_u64_e64 s2, 0xffff, v[9:10]
	s_delay_alu instid0(VALU_DEP_1) | instskip(SKIP_3) | instid1(SALU_CYCLE_1)
	s_or_b32 s2, vcc_lo, s2
	v_add_co_u32 v11, vcc_lo, v11, s20
	v_add_co_ci_u32_e32 v12, vcc_lo, 0, v12, vcc_lo
	s_and_b32 s2, exec_lo, s2
	s_or_b32 s19, s2, s19
	s_delay_alu instid0(SALU_CYCLE_1)
	s_and_not1_b32 exec_lo, exec_lo, s19
	s_cbranch_execz .LBB251_36
.LBB251_4:                              ; =>This Inner Loop Header: Depth=1
	v_add_co_u32 v1, vcc_lo, s3, v9
	v_add_co_ci_u32_e32 v2, vcc_lo, s16, v10, vcc_lo
	s_mov_b32 s2, 0
	s_mov_b32 s21, exec_lo
	global_load_b32 v13, v[1:2], off
	s_waitcnt vmcnt(0)
	v_and_b32_e32 v3, 0xff, v13
	s_delay_alu instid0(VALU_DEP_1)
	v_cmpx_lt_i16_e32 0x7f, v3
	s_xor_b32 s21, exec_lo, s21
	s_cbranch_execz .LBB251_8
; %bb.5:                                ;   in Loop: Header=BB251_4 Depth=1
	s_mov_b32 s2, -1
	s_mov_b32 s22, exec_lo
	v_cmpx_eq_u16_e32 0x80, v3
; %bb.6:                                ;   in Loop: Header=BB251_4 Depth=1
	s_xor_b32 s2, exec_lo, -1
; %bb.7:                                ;   in Loop: Header=BB251_4 Depth=1
	s_or_b32 exec_lo, exec_lo, s22
	s_delay_alu instid0(SALU_CYCLE_1)
	s_and_b32 s2, s2, exec_lo
                                        ; implicit-def: $vgpr3
.LBB251_8:                              ;   in Loop: Header=BB251_4 Depth=1
	s_or_saveexec_b32 s21, s21
	v_dual_mov_b32 v1, s14 :: v_dual_mov_b32 v2, s15
	s_xor_b32 exec_lo, exec_lo, s21
; %bb.9:                                ;   in Loop: Header=BB251_4 Depth=1
	v_cmp_ne_u16_e32 vcc_lo, 0, v3
	v_mov_b32_e32 v1, 0
	v_mov_b32_e32 v2, 0
	s_and_not1_b32 s2, s2, exec_lo
	s_and_b32 s22, vcc_lo, exec_lo
	s_delay_alu instid0(SALU_CYCLE_1)
	s_or_b32 s2, s2, s22
; %bb.10:                               ;   in Loop: Header=BB251_4 Depth=1
	s_or_b32 exec_lo, exec_lo, s21
	s_and_saveexec_b32 s21, s2
	s_cbranch_execz .LBB251_12
; %bb.11:                               ;   in Loop: Header=BB251_4 Depth=1
	v_bfe_u32 v4, v13, 2, 5
	v_lshlrev_b32_e32 v5, 24, v13
	s_delay_alu instid0(VALU_DEP_2) | instskip(SKIP_1) | instid1(VALU_DEP_1)
	v_cmp_eq_u32_e32 vcc_lo, 0, v4
	v_and_b32_e32 v1, 3, v13
	v_clz_i32_u32_e32 v2, v1
	s_delay_alu instid0(VALU_DEP_1) | instskip(NEXT) | instid1(VALU_DEP_1)
	v_min_u32_e32 v2, 32, v2
	v_subrev_nc_u32_e32 v3, 29, v2
	v_sub_nc_u32_e32 v2, 30, v2
	s_delay_alu instid0(VALU_DEP_1) | instskip(NEXT) | instid1(VALU_DEP_1)
	v_dual_cndmask_b32 v2, v4, v2 :: v_dual_lshlrev_b32 v3, v3, v13
	v_and_b32_e32 v3, 3, v3
	s_delay_alu instid0(VALU_DEP_2) | instskip(NEXT) | instid1(VALU_DEP_2)
	v_lshl_add_u32 v2, v2, 23, 0x37800000
	v_cndmask_b32_e32 v1, v1, v3, vcc_lo
	v_and_b32_e32 v3, 0x80000000, v5
	s_delay_alu instid0(VALU_DEP_2) | instskip(NEXT) | instid1(VALU_DEP_1)
	v_lshlrev_b32_e32 v1, 21, v1
	v_or3_b32 v1, v3, v2, v1
	s_delay_alu instid0(VALU_DEP_1)
	v_cvt_f64_f32_e32 v[1:2], v1
.LBB251_12:                             ;   in Loop: Header=BB251_4 Depth=1
	s_or_b32 exec_lo, exec_lo, s21
	v_lshrrev_b32_e32 v5, 8, v13
	s_mov_b32 s2, 0
	s_mov_b32 s21, exec_lo
	s_delay_alu instid0(VALU_DEP_1) | instskip(NEXT) | instid1(VALU_DEP_1)
	v_and_b32_e32 v6, 0xff, v5
	v_cmpx_lt_i16_e32 0x7f, v6
	s_xor_b32 s21, exec_lo, s21
	s_cbranch_execz .LBB251_16
; %bb.13:                               ;   in Loop: Header=BB251_4 Depth=1
	s_mov_b32 s2, -1
	s_mov_b32 s22, exec_lo
	v_cmpx_eq_u16_e32 0x80, v6
; %bb.14:                               ;   in Loop: Header=BB251_4 Depth=1
	s_xor_b32 s2, exec_lo, -1
; %bb.15:                               ;   in Loop: Header=BB251_4 Depth=1
	s_or_b32 exec_lo, exec_lo, s22
	s_delay_alu instid0(SALU_CYCLE_1)
	s_and_b32 s2, s2, exec_lo
                                        ; implicit-def: $vgpr6
.LBB251_16:                             ;   in Loop: Header=BB251_4 Depth=1
	s_or_saveexec_b32 s21, s21
	v_dual_mov_b32 v3, s14 :: v_dual_mov_b32 v4, s15
	s_xor_b32 exec_lo, exec_lo, s21
; %bb.17:                               ;   in Loop: Header=BB251_4 Depth=1
	v_cmp_ne_u16_e32 vcc_lo, 0, v6
	v_mov_b32_e32 v3, 0
	v_mov_b32_e32 v4, 0
	s_and_not1_b32 s2, s2, exec_lo
	s_and_b32 s22, vcc_lo, exec_lo
	s_delay_alu instid0(SALU_CYCLE_1)
	s_or_b32 s2, s2, s22
; %bb.18:                               ;   in Loop: Header=BB251_4 Depth=1
	s_or_b32 exec_lo, exec_lo, s21
	s_and_saveexec_b32 s21, s2
	s_cbranch_execz .LBB251_20
; %bb.19:                               ;   in Loop: Header=BB251_4 Depth=1
	v_bfe_u32 v3, v13, 8, 2
	v_bfe_u32 v7, v13, 10, 5
	s_delay_alu instid0(VALU_DEP_2) | instskip(NEXT) | instid1(VALU_DEP_2)
	v_clz_i32_u32_e32 v4, v3
	v_cmp_eq_u32_e32 vcc_lo, 0, v7
	s_delay_alu instid0(VALU_DEP_2) | instskip(NEXT) | instid1(VALU_DEP_1)
	v_min_u32_e32 v4, 32, v4
	v_subrev_nc_u32_e32 v6, 29, v4
	v_sub_nc_u32_e32 v4, 30, v4
	s_delay_alu instid0(VALU_DEP_2) | instskip(NEXT) | instid1(VALU_DEP_2)
	v_lshlrev_b32_e32 v6, v6, v5
	v_dual_cndmask_b32 v4, v7, v4 :: v_dual_lshlrev_b32 v5, 24, v5
	s_delay_alu instid0(VALU_DEP_2) | instskip(NEXT) | instid1(VALU_DEP_2)
	v_and_b32_e32 v6, 3, v6
	v_and_b32_e32 v5, 0x80000000, v5
	s_delay_alu instid0(VALU_DEP_3) | instskip(NEXT) | instid1(VALU_DEP_3)
	v_lshl_add_u32 v4, v4, 23, 0x37800000
	v_cndmask_b32_e32 v3, v3, v6, vcc_lo
	s_delay_alu instid0(VALU_DEP_1) | instskip(NEXT) | instid1(VALU_DEP_1)
	v_lshlrev_b32_e32 v3, 21, v3
	v_or3_b32 v3, v5, v4, v3
	s_delay_alu instid0(VALU_DEP_1)
	v_cvt_f64_f32_e32 v[3:4], v3
.LBB251_20:                             ;   in Loop: Header=BB251_4 Depth=1
	s_or_b32 exec_lo, exec_lo, s21
	v_lshrrev_b32_e32 v7, 16, v13
	s_mov_b32 s2, 0
	s_mov_b32 s21, exec_lo
	s_delay_alu instid0(VALU_DEP_1) | instskip(NEXT) | instid1(VALU_DEP_1)
	v_and_b32_e32 v8, 0xff, v7
	v_cmpx_lt_i16_e32 0x7f, v8
	s_xor_b32 s21, exec_lo, s21
	s_cbranch_execz .LBB251_24
; %bb.21:                               ;   in Loop: Header=BB251_4 Depth=1
	s_mov_b32 s2, -1
	s_mov_b32 s22, exec_lo
	v_cmpx_eq_u16_e32 0x80, v8
; %bb.22:                               ;   in Loop: Header=BB251_4 Depth=1
	s_xor_b32 s2, exec_lo, -1
; %bb.23:                               ;   in Loop: Header=BB251_4 Depth=1
	s_or_b32 exec_lo, exec_lo, s22
	s_delay_alu instid0(SALU_CYCLE_1)
	s_and_b32 s2, s2, exec_lo
                                        ; implicit-def: $vgpr8
.LBB251_24:                             ;   in Loop: Header=BB251_4 Depth=1
	s_or_saveexec_b32 s21, s21
	v_dual_mov_b32 v5, s14 :: v_dual_mov_b32 v6, s15
	s_xor_b32 exec_lo, exec_lo, s21
; %bb.25:                               ;   in Loop: Header=BB251_4 Depth=1
	v_cmp_ne_u16_e32 vcc_lo, 0, v8
	v_mov_b32_e32 v5, 0
	v_mov_b32_e32 v6, 0
	s_and_not1_b32 s2, s2, exec_lo
	s_and_b32 s22, vcc_lo, exec_lo
	s_delay_alu instid0(SALU_CYCLE_1)
	s_or_b32 s2, s2, s22
; %bb.26:                               ;   in Loop: Header=BB251_4 Depth=1
	s_or_b32 exec_lo, exec_lo, s21
	s_and_saveexec_b32 s21, s2
	s_cbranch_execz .LBB251_28
; %bb.27:                               ;   in Loop: Header=BB251_4 Depth=1
	v_bfe_u32 v5, v13, 16, 2
	v_bfe_u32 v14, v13, 18, 5
	s_delay_alu instid0(VALU_DEP_2) | instskip(NEXT) | instid1(VALU_DEP_2)
	v_clz_i32_u32_e32 v6, v5
	v_cmp_eq_u32_e32 vcc_lo, 0, v14
	s_delay_alu instid0(VALU_DEP_2) | instskip(NEXT) | instid1(VALU_DEP_1)
	v_min_u32_e32 v6, 32, v6
	v_subrev_nc_u32_e32 v8, 29, v6
	v_sub_nc_u32_e32 v6, 30, v6
	s_delay_alu instid0(VALU_DEP_2) | instskip(NEXT) | instid1(VALU_DEP_2)
	v_lshlrev_b32_e32 v8, v8, v7
	v_dual_cndmask_b32 v6, v14, v6 :: v_dual_lshlrev_b32 v7, 24, v7
	s_delay_alu instid0(VALU_DEP_2) | instskip(NEXT) | instid1(VALU_DEP_2)
	v_and_b32_e32 v8, 3, v8
	v_and_b32_e32 v7, 0x80000000, v7
	s_delay_alu instid0(VALU_DEP_3) | instskip(NEXT) | instid1(VALU_DEP_3)
	v_lshl_add_u32 v6, v6, 23, 0x37800000
	v_cndmask_b32_e32 v5, v5, v8, vcc_lo
	s_delay_alu instid0(VALU_DEP_1) | instskip(NEXT) | instid1(VALU_DEP_1)
	v_lshlrev_b32_e32 v5, 21, v5
	v_or3_b32 v5, v7, v6, v5
	s_delay_alu instid0(VALU_DEP_1)
	v_cvt_f64_f32_e32 v[5:6], v5
.LBB251_28:                             ;   in Loop: Header=BB251_4 Depth=1
	s_or_b32 exec_lo, exec_lo, s21
	v_lshrrev_b32_e32 v14, 24, v13
	s_mov_b32 s2, 0
	s_mov_b32 s21, exec_lo
	s_delay_alu instid0(VALU_DEP_1)
	v_cmpx_lt_i16_e32 0x7f, v14
	s_xor_b32 s21, exec_lo, s21
	s_cbranch_execz .LBB251_32
; %bb.29:                               ;   in Loop: Header=BB251_4 Depth=1
	s_mov_b32 s2, -1
	s_mov_b32 s22, exec_lo
	v_cmpx_eq_u16_e32 0x80, v14
; %bb.30:                               ;   in Loop: Header=BB251_4 Depth=1
	s_xor_b32 s2, exec_lo, -1
; %bb.31:                               ;   in Loop: Header=BB251_4 Depth=1
	s_or_b32 exec_lo, exec_lo, s22
	s_delay_alu instid0(SALU_CYCLE_1)
	s_and_b32 s2, s2, exec_lo
.LBB251_32:                             ;   in Loop: Header=BB251_4 Depth=1
	s_or_saveexec_b32 s21, s21
	v_dual_mov_b32 v7, s14 :: v_dual_mov_b32 v8, s15
	s_xor_b32 exec_lo, exec_lo, s21
; %bb.33:                               ;   in Loop: Header=BB251_4 Depth=1
	v_cmp_ne_u16_e32 vcc_lo, 0, v14
	v_mov_b32_e32 v7, 0
	v_mov_b32_e32 v8, 0
	s_and_not1_b32 s2, s2, exec_lo
	s_and_b32 s22, vcc_lo, exec_lo
	s_delay_alu instid0(SALU_CYCLE_1)
	s_or_b32 s2, s2, s22
; %bb.34:                               ;   in Loop: Header=BB251_4 Depth=1
	s_or_b32 exec_lo, exec_lo, s21
	s_and_saveexec_b32 s21, s2
	s_cbranch_execz .LBB251_3
; %bb.35:                               ;   in Loop: Header=BB251_4 Depth=1
	v_bfe_u32 v7, v13, 24, 2
	s_delay_alu instid0(VALU_DEP_1) | instskip(NEXT) | instid1(VALU_DEP_1)
	v_clz_i32_u32_e32 v8, v7
	v_min_u32_e32 v8, 32, v8
	s_delay_alu instid0(VALU_DEP_1) | instskip(SKIP_1) | instid1(VALU_DEP_2)
	v_subrev_nc_u32_e32 v15, 29, v8
	v_sub_nc_u32_e32 v8, 30, v8
	v_lshlrev_b32_e32 v14, v15, v14
	v_bfe_u32 v15, v13, 26, 5
	v_and_b32_e32 v13, 0x80000000, v13
	s_delay_alu instid0(VALU_DEP_3) | instskip(NEXT) | instid1(VALU_DEP_3)
	v_and_b32_e32 v14, 3, v14
	v_cmp_eq_u32_e32 vcc_lo, 0, v15
	v_cndmask_b32_e32 v8, v15, v8, vcc_lo
	s_delay_alu instid0(VALU_DEP_3) | instskip(NEXT) | instid1(VALU_DEP_2)
	v_cndmask_b32_e32 v7, v7, v14, vcc_lo
	v_lshl_add_u32 v8, v8, 23, 0x37800000
	s_delay_alu instid0(VALU_DEP_2) | instskip(NEXT) | instid1(VALU_DEP_1)
	v_lshlrev_b32_e32 v7, 21, v7
	v_or3_b32 v7, v13, v8, v7
	s_delay_alu instid0(VALU_DEP_1)
	v_cvt_f64_f32_e32 v[7:8], v7
	s_branch .LBB251_3
.LBB251_36:
	s_or_b32 exec_lo, exec_lo, s17
	s_mov_b32 s2, 0
.LBB251_37:
	s_delay_alu instid0(SALU_CYCLE_1)
	s_and_not1_b32 vcc_lo, exec_lo, s2
	s_cbranch_vccnz .LBB251_89
; %bb.38:
	v_cmp_lt_i64_e64 s2, s[4:5], 1
	s_delay_alu instid0(VALU_DEP_1)
	s_and_b32 vcc_lo, exec_lo, s2
	s_cbranch_vccnz .LBB251_89
; %bb.39:
	s_load_b32 s0, s[0:1], 0xc5c
	v_cmp_gt_u64_e64 s1, 0x10000, s[4:5]
	v_add_co_u32 v3, s2, s8, v0
	v_lshlrev_b32_e32 v1, 3, v0
	v_add_co_ci_u32_e64 v4, null, s9, 0, s2
	s_delay_alu instid0(VALU_DEP_3) | instskip(NEXT) | instid1(VALU_DEP_2)
	v_add_co_u32 v21, vcc_lo, s6, v3
                                        ; implicit-def: $vgpr35
                                        ; implicit-def: $vgpr36
                                        ; implicit-def: $vgpr37
                                        ; implicit-def: $vgpr38
	v_add_co_ci_u32_e32 v22, vcc_lo, s7, v4, vcc_lo
	s_waitcnt lgkmcnt(0)
	s_and_b32 s0, s0, 0xffff
	s_and_b32 s1, s1, exec_lo
	s_cselect_b32 s3, s5, 0
	s_cselect_b32 s2, s4, 0x10000
	s_lshl_b64 s[10:11], s[10:11], 19
	s_lshl_b32 s14, s0, 1
	s_lshl_b32 s1, s0, 2
	s_add_u32 s12, s12, s10
	s_mul_i32 s15, s0, 3
	s_addc_u32 s13, s13, s11
	s_lshl_b32 s10, s0, 5
	v_add_co_u32 v1, s16, s12, v1
	s_add_u32 s11, s8, s15
	v_add_co_ci_u32_e64 v2, null, s13, 0, s16
	s_addc_u32 s16, s9, 0
	s_add_u32 s11, s6, s11
	s_addc_u32 s16, s7, s16
	s_add_u32 s8, s8, s14
	;; [unrolled: 2-line block ×3, first 2 shown]
	s_addc_u32 s9, s7, s9
	v_add_co_u32 v27, s8, s8, v0
	s_delay_alu instid0(VALU_DEP_1) | instskip(SKIP_1) | instid1(VALU_DEP_1)
	v_add_co_ci_u32_e64 v28, null, s9, 0, s8
	v_add_co_u32 v29, s8, s14, v0
	v_add_co_ci_u32_e64 v30, null, 0, 0, s8
	v_add_co_u32 v31, s8, v0, s0
	v_add_co_u32 v23, s11, s11, v0
	s_delay_alu instid0(VALU_DEP_1) | instskip(SKIP_1) | instid1(VALU_DEP_4)
	v_add_co_ci_u32_e64 v24, null, s16, 0, s11
	v_add_co_u32 v25, s11, s15, v0
	v_lshlrev_b32_e32 v5, 3, v31
	v_add_co_ci_u32_e64 v26, null, 0, 0, s11
	s_lshl_b32 s11, s0, 4
	s_add_u32 s6, s6, s0
	s_addc_u32 s7, s7, 0
	v_add_co_ci_u32_e64 v32, null, 0, 0, s8
	v_add_co_u32 v33, vcc_lo, s6, v3
	v_add_co_u32 v3, s8, s12, v5
	v_add_co_ci_u32_e32 v34, vcc_lo, s7, v4, vcc_lo
	v_add_co_ci_u32_e64 v4, null, s13, 0, s8
	s_brev_b32 s6, 4
	s_mov_b32 s7, 0x7ff80000
	s_mul_i32 s12, s0, 24
	s_mov_b64 s[8:9], 0
	s_branch .LBB251_41
.LBB251_40:                             ;   in Loop: Header=BB251_41 Depth=1
	s_or_b32 exec_lo, exec_lo, s0
	s_add_u32 s8, s8, s1
	s_addc_u32 s9, s9, 0
	v_add_co_u32 v1, vcc_lo, v1, s10
	v_cmp_ge_i64_e64 s0, s[8:9], s[4:5]
	v_cmp_lt_u64_e64 s13, 0xffff, s[8:9]
	v_add_co_ci_u32_e32 v2, vcc_lo, 0, v2, vcc_lo
	v_add_co_u32 v3, vcc_lo, v3, s10
	v_add_co_ci_u32_e32 v4, vcc_lo, 0, v4, vcc_lo
	s_delay_alu instid0(VALU_DEP_4) | instskip(NEXT) | instid1(SALU_CYCLE_1)
	s_or_b32 s0, s0, s13
	s_and_b32 vcc_lo, exec_lo, s0
	s_cbranch_vccnz .LBB251_89
.LBB251_41:                             ; =>This Inner Loop Header: Depth=1
	v_add_co_u32 v5, s0, v0, s8
	s_delay_alu instid0(VALU_DEP_1) | instskip(NEXT) | instid1(VALU_DEP_1)
	v_add_co_ci_u32_e64 v6, null, 0, s9, s0
	v_cmp_gt_i64_e32 vcc_lo, s[4:5], v[5:6]
	v_cmp_gt_u64_e64 s0, 0x10000, v[5:6]
	s_delay_alu instid0(VALU_DEP_1) | instskip(NEXT) | instid1(SALU_CYCLE_1)
	s_and_b32 s13, vcc_lo, s0
	s_and_saveexec_b32 s0, s13
	s_cbranch_execz .LBB251_43
; %bb.42:                               ;   in Loop: Header=BB251_41 Depth=1
	v_add_co_u32 v7, vcc_lo, v21, s8
	v_add_co_ci_u32_e32 v8, vcc_lo, s9, v22, vcc_lo
	global_load_u8 v38, v[7:8], off
.LBB251_43:                             ;   in Loop: Header=BB251_41 Depth=1
	s_or_b32 exec_lo, exec_lo, s0
	v_add_co_u32 v7, vcc_lo, v31, s8
	v_add_co_ci_u32_e32 v8, vcc_lo, s9, v32, vcc_lo
	s_delay_alu instid0(VALU_DEP_1) | instskip(SKIP_1) | instid1(VALU_DEP_1)
	v_cmp_gt_i64_e32 vcc_lo, s[4:5], v[7:8]
	v_cmp_gt_u64_e64 s0, 0x10000, v[7:8]
	s_and_b32 s13, vcc_lo, s0
	s_delay_alu instid0(SALU_CYCLE_1)
	s_and_saveexec_b32 s0, s13
	s_cbranch_execz .LBB251_45
; %bb.44:                               ;   in Loop: Header=BB251_41 Depth=1
	v_add_co_u32 v9, vcc_lo, v33, s8
	v_add_co_ci_u32_e32 v10, vcc_lo, s9, v34, vcc_lo
	global_load_u8 v37, v[9:10], off
.LBB251_45:                             ;   in Loop: Header=BB251_41 Depth=1
	s_or_b32 exec_lo, exec_lo, s0
	v_add_co_u32 v9, vcc_lo, v29, s8
	v_add_co_ci_u32_e32 v10, vcc_lo, s9, v30, vcc_lo
	s_delay_alu instid0(VALU_DEP_1) | instskip(SKIP_1) | instid1(VALU_DEP_1)
	v_cmp_gt_i64_e32 vcc_lo, s[4:5], v[9:10]
	v_cmp_gt_u64_e64 s0, 0x10000, v[9:10]
	s_and_b32 s13, vcc_lo, s0
	s_delay_alu instid0(SALU_CYCLE_1)
	;; [unrolled: 15-line block ×3, first 2 shown]
	s_and_saveexec_b32 s0, s13
	s_cbranch_execz .LBB251_49
; %bb.48:                               ;   in Loop: Header=BB251_41 Depth=1
	v_add_co_u32 v13, vcc_lo, v23, s8
	v_add_co_ci_u32_e32 v14, vcc_lo, s9, v24, vcc_lo
	global_load_u8 v35, v[13:14], off
.LBB251_49:                             ;   in Loop: Header=BB251_41 Depth=1
	s_or_b32 exec_lo, exec_lo, s0
	s_waitcnt vmcnt(0)
	v_and_b32_e32 v15, 0xff, v38
	s_mov_b32 s0, 0
	s_mov_b32 s13, exec_lo
	s_delay_alu instid0(VALU_DEP_1)
	v_cmpx_lt_i16_e32 0x7f, v15
	s_xor_b32 s13, exec_lo, s13
	s_cbranch_execz .LBB251_53
; %bb.50:                               ;   in Loop: Header=BB251_41 Depth=1
	s_mov_b32 s0, -1
	s_mov_b32 s14, exec_lo
	v_cmpx_eq_u16_e32 0x80, v15
; %bb.51:                               ;   in Loop: Header=BB251_41 Depth=1
	s_xor_b32 s0, exec_lo, -1
; %bb.52:                               ;   in Loop: Header=BB251_41 Depth=1
	s_or_b32 exec_lo, exec_lo, s14
	s_delay_alu instid0(SALU_CYCLE_1)
	s_and_b32 s0, s0, exec_lo
                                        ; implicit-def: $vgpr15
.LBB251_53:                             ;   in Loop: Header=BB251_41 Depth=1
	s_or_saveexec_b32 s13, s13
	v_dual_mov_b32 v14, s7 :: v_dual_mov_b32 v13, s6
	s_xor_b32 exec_lo, exec_lo, s13
; %bb.54:                               ;   in Loop: Header=BB251_41 Depth=1
	v_cmp_ne_u16_e32 vcc_lo, 0, v15
	v_mov_b32_e32 v13, 0
	v_mov_b32_e32 v14, 0
	s_and_not1_b32 s0, s0, exec_lo
	s_and_b32 s14, vcc_lo, exec_lo
	s_delay_alu instid0(SALU_CYCLE_1)
	s_or_b32 s0, s0, s14
; %bb.55:                               ;   in Loop: Header=BB251_41 Depth=1
	s_or_b32 exec_lo, exec_lo, s13
	s_and_saveexec_b32 s13, s0
	s_cbranch_execz .LBB251_57
; %bb.56:                               ;   in Loop: Header=BB251_41 Depth=1
	v_and_b32_e32 v13, 3, v38
	v_lshrrev_b16 v16, 2, v38
	v_lshlrev_b32_e32 v17, 24, v38
	s_delay_alu instid0(VALU_DEP_3) | instskip(NEXT) | instid1(VALU_DEP_1)
	v_clz_i32_u32_e32 v14, v13
	v_min_u32_e32 v14, 32, v14
	s_delay_alu instid0(VALU_DEP_1) | instskip(SKIP_1) | instid1(VALU_DEP_2)
	v_subrev_nc_u32_e32 v15, 29, v14
	v_sub_nc_u32_e32 v14, 30, v14
	v_lshlrev_b32_e32 v15, v15, v38
	s_delay_alu instid0(VALU_DEP_1) | instskip(SKIP_1) | instid1(VALU_DEP_1)
	v_and_b32_e32 v15, 3, v15
	v_and_b32_e32 v16, 31, v16
	v_cmp_eq_u32_e32 vcc_lo, 0, v16
	s_delay_alu instid0(VALU_DEP_3) | instskip(SKIP_1) | instid1(VALU_DEP_2)
	v_dual_cndmask_b32 v13, v13, v15 :: v_dual_cndmask_b32 v14, v16, v14
	v_and_b32_e32 v15, 0x80000000, v17
	v_lshlrev_b32_e32 v13, 21, v13
	s_delay_alu instid0(VALU_DEP_3) | instskip(NEXT) | instid1(VALU_DEP_1)
	v_lshl_add_u32 v14, v14, 23, 0x37800000
	v_or3_b32 v13, v15, v14, v13
	s_delay_alu instid0(VALU_DEP_1)
	v_cvt_f64_f32_e32 v[13:14], v13
.LBB251_57:                             ;   in Loop: Header=BB251_41 Depth=1
	s_or_b32 exec_lo, exec_lo, s13
	v_and_b32_e32 v17, 0xff, v37
	s_mov_b32 s0, 0
	s_mov_b32 s13, exec_lo
	s_delay_alu instid0(VALU_DEP_1)
	v_cmpx_lt_i16_e32 0x7f, v17
	s_xor_b32 s13, exec_lo, s13
	s_cbranch_execz .LBB251_61
; %bb.58:                               ;   in Loop: Header=BB251_41 Depth=1
	s_mov_b32 s0, -1
	s_mov_b32 s14, exec_lo
	v_cmpx_eq_u16_e32 0x80, v17
; %bb.59:                               ;   in Loop: Header=BB251_41 Depth=1
	s_xor_b32 s0, exec_lo, -1
; %bb.60:                               ;   in Loop: Header=BB251_41 Depth=1
	s_or_b32 exec_lo, exec_lo, s14
	s_delay_alu instid0(SALU_CYCLE_1)
	s_and_b32 s0, s0, exec_lo
                                        ; implicit-def: $vgpr17
.LBB251_61:                             ;   in Loop: Header=BB251_41 Depth=1
	s_or_saveexec_b32 s13, s13
	v_dual_mov_b32 v16, s7 :: v_dual_mov_b32 v15, s6
	s_xor_b32 exec_lo, exec_lo, s13
; %bb.62:                               ;   in Loop: Header=BB251_41 Depth=1
	v_cmp_ne_u16_e32 vcc_lo, 0, v17
	v_mov_b32_e32 v15, 0
	v_mov_b32_e32 v16, 0
	s_and_not1_b32 s0, s0, exec_lo
	s_and_b32 s14, vcc_lo, exec_lo
	s_delay_alu instid0(SALU_CYCLE_1)
	s_or_b32 s0, s0, s14
; %bb.63:                               ;   in Loop: Header=BB251_41 Depth=1
	s_or_b32 exec_lo, exec_lo, s13
	s_and_saveexec_b32 s13, s0
	s_cbranch_execz .LBB251_65
; %bb.64:                               ;   in Loop: Header=BB251_41 Depth=1
	v_lshrrev_b16 v18, 2, v37
	v_lshlrev_b32_e32 v19, 24, v37
	s_delay_alu instid0(VALU_DEP_2) | instskip(NEXT) | instid1(VALU_DEP_1)
	v_and_b32_e32 v18, 31, v18
	v_cmp_eq_u32_e32 vcc_lo, 0, v18
	v_and_b32_e32 v15, 3, v37
	s_delay_alu instid0(VALU_DEP_1) | instskip(NEXT) | instid1(VALU_DEP_1)
	v_clz_i32_u32_e32 v16, v15
	v_min_u32_e32 v16, 32, v16
	s_delay_alu instid0(VALU_DEP_1) | instskip(SKIP_1) | instid1(VALU_DEP_1)
	v_subrev_nc_u32_e32 v17, 29, v16
	v_sub_nc_u32_e32 v16, 30, v16
	v_dual_cndmask_b32 v16, v18, v16 :: v_dual_lshlrev_b32 v17, v17, v37
	s_delay_alu instid0(VALU_DEP_1) | instskip(NEXT) | instid1(VALU_DEP_2)
	v_and_b32_e32 v17, 3, v17
	v_lshl_add_u32 v16, v16, 23, 0x37800000
	s_delay_alu instid0(VALU_DEP_2) | instskip(SKIP_1) | instid1(VALU_DEP_2)
	v_cndmask_b32_e32 v15, v15, v17, vcc_lo
	v_and_b32_e32 v17, 0x80000000, v19
	v_lshlrev_b32_e32 v15, 21, v15
	s_delay_alu instid0(VALU_DEP_1) | instskip(NEXT) | instid1(VALU_DEP_1)
	v_or3_b32 v15, v17, v16, v15
	v_cvt_f64_f32_e32 v[15:16], v15
.LBB251_65:                             ;   in Loop: Header=BB251_41 Depth=1
	s_or_b32 exec_lo, exec_lo, s13
	v_and_b32_e32 v19, 0xff, v36
	s_mov_b32 s0, 0
	s_mov_b32 s13, exec_lo
	s_delay_alu instid0(VALU_DEP_1)
	v_cmpx_lt_i16_e32 0x7f, v19
	s_xor_b32 s13, exec_lo, s13
	s_cbranch_execz .LBB251_69
; %bb.66:                               ;   in Loop: Header=BB251_41 Depth=1
	s_mov_b32 s0, -1
	s_mov_b32 s14, exec_lo
	v_cmpx_eq_u16_e32 0x80, v19
; %bb.67:                               ;   in Loop: Header=BB251_41 Depth=1
	s_xor_b32 s0, exec_lo, -1
; %bb.68:                               ;   in Loop: Header=BB251_41 Depth=1
	s_or_b32 exec_lo, exec_lo, s14
	s_delay_alu instid0(SALU_CYCLE_1)
	s_and_b32 s0, s0, exec_lo
                                        ; implicit-def: $vgpr19
.LBB251_69:                             ;   in Loop: Header=BB251_41 Depth=1
	s_or_saveexec_b32 s13, s13
	v_dual_mov_b32 v18, s7 :: v_dual_mov_b32 v17, s6
	s_xor_b32 exec_lo, exec_lo, s13
; %bb.70:                               ;   in Loop: Header=BB251_41 Depth=1
	v_cmp_ne_u16_e32 vcc_lo, 0, v19
	v_mov_b32_e32 v17, 0
	v_mov_b32_e32 v18, 0
	s_and_not1_b32 s0, s0, exec_lo
	s_and_b32 s14, vcc_lo, exec_lo
	s_delay_alu instid0(SALU_CYCLE_1)
	s_or_b32 s0, s0, s14
; %bb.71:                               ;   in Loop: Header=BB251_41 Depth=1
	s_or_b32 exec_lo, exec_lo, s13
	s_and_saveexec_b32 s13, s0
	s_cbranch_execz .LBB251_73
; %bb.72:                               ;   in Loop: Header=BB251_41 Depth=1
	v_lshrrev_b16 v20, 2, v36
	v_lshlrev_b32_e32 v39, 24, v36
	s_delay_alu instid0(VALU_DEP_2) | instskip(NEXT) | instid1(VALU_DEP_1)
	v_and_b32_e32 v20, 31, v20
	v_cmp_eq_u32_e32 vcc_lo, 0, v20
	v_and_b32_e32 v17, 3, v36
	s_delay_alu instid0(VALU_DEP_1) | instskip(NEXT) | instid1(VALU_DEP_1)
	v_clz_i32_u32_e32 v18, v17
	v_min_u32_e32 v18, 32, v18
	s_delay_alu instid0(VALU_DEP_1) | instskip(SKIP_1) | instid1(VALU_DEP_1)
	v_subrev_nc_u32_e32 v19, 29, v18
	v_sub_nc_u32_e32 v18, 30, v18
	v_dual_cndmask_b32 v18, v20, v18 :: v_dual_lshlrev_b32 v19, v19, v36
	s_delay_alu instid0(VALU_DEP_1) | instskip(NEXT) | instid1(VALU_DEP_2)
	v_and_b32_e32 v19, 3, v19
	v_lshl_add_u32 v18, v18, 23, 0x37800000
	s_delay_alu instid0(VALU_DEP_2) | instskip(SKIP_1) | instid1(VALU_DEP_2)
	v_cndmask_b32_e32 v17, v17, v19, vcc_lo
	v_and_b32_e32 v19, 0x80000000, v39
	v_lshlrev_b32_e32 v17, 21, v17
	s_delay_alu instid0(VALU_DEP_1) | instskip(NEXT) | instid1(VALU_DEP_1)
	v_or3_b32 v17, v19, v18, v17
	v_cvt_f64_f32_e32 v[17:18], v17
.LBB251_73:                             ;   in Loop: Header=BB251_41 Depth=1
	s_or_b32 exec_lo, exec_lo, s13
	v_and_b32_e32 v39, 0xff, v35
	s_mov_b32 s0, 0
	s_mov_b32 s13, exec_lo
	s_delay_alu instid0(VALU_DEP_1)
	v_cmpx_lt_i16_e32 0x7f, v39
	s_xor_b32 s13, exec_lo, s13
	s_cbranch_execz .LBB251_77
; %bb.74:                               ;   in Loop: Header=BB251_41 Depth=1
	s_mov_b32 s0, -1
	s_mov_b32 s14, exec_lo
	v_cmpx_eq_u16_e32 0x80, v39
; %bb.75:                               ;   in Loop: Header=BB251_41 Depth=1
	s_xor_b32 s0, exec_lo, -1
; %bb.76:                               ;   in Loop: Header=BB251_41 Depth=1
	s_or_b32 exec_lo, exec_lo, s14
	s_delay_alu instid0(SALU_CYCLE_1)
	s_and_b32 s0, s0, exec_lo
                                        ; implicit-def: $vgpr39
.LBB251_77:                             ;   in Loop: Header=BB251_41 Depth=1
	s_or_saveexec_b32 s13, s13
	v_dual_mov_b32 v20, s7 :: v_dual_mov_b32 v19, s6
	s_xor_b32 exec_lo, exec_lo, s13
; %bb.78:                               ;   in Loop: Header=BB251_41 Depth=1
	v_cmp_ne_u16_e32 vcc_lo, 0, v39
	v_mov_b32_e32 v19, 0
	v_mov_b32_e32 v20, 0
	s_and_not1_b32 s0, s0, exec_lo
	s_and_b32 s14, vcc_lo, exec_lo
	s_delay_alu instid0(SALU_CYCLE_1)
	s_or_b32 s0, s0, s14
; %bb.79:                               ;   in Loop: Header=BB251_41 Depth=1
	s_or_b32 exec_lo, exec_lo, s13
	s_and_saveexec_b32 s13, s0
	s_cbranch_execz .LBB251_81
; %bb.80:                               ;   in Loop: Header=BB251_41 Depth=1
	v_lshrrev_b16 v40, 2, v35
	v_lshlrev_b32_e32 v41, 24, v35
	s_delay_alu instid0(VALU_DEP_2) | instskip(NEXT) | instid1(VALU_DEP_1)
	v_and_b32_e32 v40, 31, v40
	v_cmp_eq_u32_e32 vcc_lo, 0, v40
	v_and_b32_e32 v19, 3, v35
	s_delay_alu instid0(VALU_DEP_1) | instskip(NEXT) | instid1(VALU_DEP_1)
	v_clz_i32_u32_e32 v20, v19
	v_min_u32_e32 v20, 32, v20
	s_delay_alu instid0(VALU_DEP_1) | instskip(SKIP_1) | instid1(VALU_DEP_1)
	v_subrev_nc_u32_e32 v39, 29, v20
	v_sub_nc_u32_e32 v20, 30, v20
	v_dual_cndmask_b32 v20, v40, v20 :: v_dual_lshlrev_b32 v39, v39, v35
	s_delay_alu instid0(VALU_DEP_1) | instskip(NEXT) | instid1(VALU_DEP_2)
	v_and_b32_e32 v39, 3, v39
	v_lshl_add_u32 v20, v20, 23, 0x37800000
	s_delay_alu instid0(VALU_DEP_2) | instskip(SKIP_1) | instid1(VALU_DEP_2)
	v_cndmask_b32_e32 v19, v19, v39, vcc_lo
	v_and_b32_e32 v39, 0x80000000, v41
	v_lshlrev_b32_e32 v19, 21, v19
	s_delay_alu instid0(VALU_DEP_1) | instskip(NEXT) | instid1(VALU_DEP_1)
	v_or3_b32 v19, v39, v20, v19
	v_cvt_f64_f32_e32 v[19:20], v19
.LBB251_81:                             ;   in Loop: Header=BB251_41 Depth=1
	s_or_b32 exec_lo, exec_lo, s13
	s_delay_alu instid0(SALU_CYCLE_1)
	s_mov_b32 s0, exec_lo
	v_cmpx_gt_u64_e64 s[2:3], v[5:6]
	s_xor_b32 s0, exec_lo, s0
	s_cbranch_execnz .LBB251_85
; %bb.82:                               ;   in Loop: Header=BB251_41 Depth=1
	s_or_b32 exec_lo, exec_lo, s0
	s_delay_alu instid0(SALU_CYCLE_1)
	s_mov_b32 s0, exec_lo
	v_cmpx_gt_u64_e64 s[2:3], v[7:8]
	s_cbranch_execnz .LBB251_86
.LBB251_83:                             ;   in Loop: Header=BB251_41 Depth=1
	s_or_b32 exec_lo, exec_lo, s0
	s_delay_alu instid0(SALU_CYCLE_1)
	s_mov_b32 s0, exec_lo
	v_cmpx_gt_u64_e64 s[2:3], v[9:10]
	s_cbranch_execnz .LBB251_87
.LBB251_84:                             ;   in Loop: Header=BB251_41 Depth=1
	s_or_b32 exec_lo, exec_lo, s0
	s_delay_alu instid0(SALU_CYCLE_1)
	s_mov_b32 s0, exec_lo
	v_cmpx_gt_u64_e64 s[2:3], v[11:12]
	s_cbranch_execz .LBB251_40
	s_branch .LBB251_88
.LBB251_85:                             ;   in Loop: Header=BB251_41 Depth=1
	global_store_b64 v[1:2], v[13:14], off
	s_or_b32 exec_lo, exec_lo, s0
	s_delay_alu instid0(SALU_CYCLE_1)
	s_mov_b32 s0, exec_lo
	v_cmpx_gt_u64_e64 s[2:3], v[7:8]
	s_cbranch_execz .LBB251_83
.LBB251_86:                             ;   in Loop: Header=BB251_41 Depth=1
	global_store_b64 v[3:4], v[15:16], off
	s_or_b32 exec_lo, exec_lo, s0
	s_delay_alu instid0(SALU_CYCLE_1)
	s_mov_b32 s0, exec_lo
	v_cmpx_gt_u64_e64 s[2:3], v[9:10]
	s_cbranch_execz .LBB251_84
.LBB251_87:                             ;   in Loop: Header=BB251_41 Depth=1
	v_add_co_u32 v5, vcc_lo, v1, s11
	v_add_co_ci_u32_e32 v6, vcc_lo, 0, v2, vcc_lo
	global_store_b64 v[5:6], v[17:18], off
	s_or_b32 exec_lo, exec_lo, s0
	s_delay_alu instid0(SALU_CYCLE_1)
	s_mov_b32 s0, exec_lo
	v_cmpx_gt_u64_e64 s[2:3], v[11:12]
	s_cbranch_execz .LBB251_40
.LBB251_88:                             ;   in Loop: Header=BB251_41 Depth=1
	v_add_co_u32 v5, vcc_lo, v1, s12
	v_add_co_ci_u32_e32 v6, vcc_lo, 0, v2, vcc_lo
	global_store_b64 v[5:6], v[19:20], off
	s_branch .LBB251_40
.LBB251_89:
	s_nop 0
	s_sendmsg sendmsg(MSG_DEALLOC_VGPRS)
	s_endpgm
	.section	.rodata,"a",@progbits
	.p2align	6, 0x0
	.amdhsa_kernel _ZN2at6native12_GLOBAL__N_125multi_tensor_apply_kernelINS1_18TensorListMetadataILi2EEENS1_11CopyFunctorIdN3c1015Float8_e5m2fnuzELi2ELi1ELi1EEEJNS0_4CopyIdS7_EEEEEvT_T0_DpT1_
		.amdhsa_group_segment_fixed_size 0
		.amdhsa_private_segment_fixed_size 0
		.amdhsa_kernarg_size 3408
		.amdhsa_user_sgpr_count 15
		.amdhsa_user_sgpr_dispatch_ptr 0
		.amdhsa_user_sgpr_queue_ptr 0
		.amdhsa_user_sgpr_kernarg_segment_ptr 1
		.amdhsa_user_sgpr_dispatch_id 0
		.amdhsa_user_sgpr_private_segment_size 0
		.amdhsa_wavefront_size32 1
		.amdhsa_uses_dynamic_stack 0
		.amdhsa_enable_private_segment 0
		.amdhsa_system_sgpr_workgroup_id_x 1
		.amdhsa_system_sgpr_workgroup_id_y 0
		.amdhsa_system_sgpr_workgroup_id_z 0
		.amdhsa_system_sgpr_workgroup_info 0
		.amdhsa_system_vgpr_workitem_id 0
		.amdhsa_next_free_vgpr 42
		.amdhsa_next_free_sgpr 23
		.amdhsa_reserve_vcc 1
		.amdhsa_float_round_mode_32 0
		.amdhsa_float_round_mode_16_64 0
		.amdhsa_float_denorm_mode_32 3
		.amdhsa_float_denorm_mode_16_64 3
		.amdhsa_dx10_clamp 1
		.amdhsa_ieee_mode 1
		.amdhsa_fp16_overflow 0
		.amdhsa_workgroup_processor_mode 1
		.amdhsa_memory_ordered 1
		.amdhsa_forward_progress 0
		.amdhsa_shared_vgpr_count 0
		.amdhsa_exception_fp_ieee_invalid_op 0
		.amdhsa_exception_fp_denorm_src 0
		.amdhsa_exception_fp_ieee_div_zero 0
		.amdhsa_exception_fp_ieee_overflow 0
		.amdhsa_exception_fp_ieee_underflow 0
		.amdhsa_exception_fp_ieee_inexact 0
		.amdhsa_exception_int_div_zero 0
	.end_amdhsa_kernel
	.section	.text._ZN2at6native12_GLOBAL__N_125multi_tensor_apply_kernelINS1_18TensorListMetadataILi2EEENS1_11CopyFunctorIdN3c1015Float8_e5m2fnuzELi2ELi1ELi1EEEJNS0_4CopyIdS7_EEEEEvT_T0_DpT1_,"axG",@progbits,_ZN2at6native12_GLOBAL__N_125multi_tensor_apply_kernelINS1_18TensorListMetadataILi2EEENS1_11CopyFunctorIdN3c1015Float8_e5m2fnuzELi2ELi1ELi1EEEJNS0_4CopyIdS7_EEEEEvT_T0_DpT1_,comdat
.Lfunc_end251:
	.size	_ZN2at6native12_GLOBAL__N_125multi_tensor_apply_kernelINS1_18TensorListMetadataILi2EEENS1_11CopyFunctorIdN3c1015Float8_e5m2fnuzELi2ELi1ELi1EEEJNS0_4CopyIdS7_EEEEEvT_T0_DpT1_, .Lfunc_end251-_ZN2at6native12_GLOBAL__N_125multi_tensor_apply_kernelINS1_18TensorListMetadataILi2EEENS1_11CopyFunctorIdN3c1015Float8_e5m2fnuzELi2ELi1ELi1EEEJNS0_4CopyIdS7_EEEEEvT_T0_DpT1_
                                        ; -- End function
	.section	.AMDGPU.csdata,"",@progbits
; Kernel info:
; codeLenInByte = 3312
; NumSgprs: 25
; NumVgprs: 42
; ScratchSize: 0
; MemoryBound: 0
; FloatMode: 240
; IeeeMode: 1
; LDSByteSize: 0 bytes/workgroup (compile time only)
; SGPRBlocks: 3
; VGPRBlocks: 5
; NumSGPRsForWavesPerEU: 25
; NumVGPRsForWavesPerEU: 42
; Occupancy: 16
; WaveLimiterHint : 0
; COMPUTE_PGM_RSRC2:SCRATCH_EN: 0
; COMPUTE_PGM_RSRC2:USER_SGPR: 15
; COMPUTE_PGM_RSRC2:TRAP_HANDLER: 0
; COMPUTE_PGM_RSRC2:TGID_X_EN: 1
; COMPUTE_PGM_RSRC2:TGID_Y_EN: 0
; COMPUTE_PGM_RSRC2:TGID_Z_EN: 0
; COMPUTE_PGM_RSRC2:TIDIG_COMP_CNT: 0
	.section	.text._ZN2at6native12_GLOBAL__N_125multi_tensor_apply_kernelINS1_18TensorListMetadataILi2EEENS1_11CopyFunctorIfhLi2ELi1ELi1EEEJNS0_4CopyIfhEEEEEvT_T0_DpT1_,"axG",@progbits,_ZN2at6native12_GLOBAL__N_125multi_tensor_apply_kernelINS1_18TensorListMetadataILi2EEENS1_11CopyFunctorIfhLi2ELi1ELi1EEEJNS0_4CopyIfhEEEEEvT_T0_DpT1_,comdat
	.globl	_ZN2at6native12_GLOBAL__N_125multi_tensor_apply_kernelINS1_18TensorListMetadataILi2EEENS1_11CopyFunctorIfhLi2ELi1ELi1EEEJNS0_4CopyIfhEEEEEvT_T0_DpT1_ ; -- Begin function _ZN2at6native12_GLOBAL__N_125multi_tensor_apply_kernelINS1_18TensorListMetadataILi2EEENS1_11CopyFunctorIfhLi2ELi1ELi1EEEJNS0_4CopyIfhEEEEEvT_T0_DpT1_
	.p2align	8
	.type	_ZN2at6native12_GLOBAL__N_125multi_tensor_apply_kernelINS1_18TensorListMetadataILi2EEENS1_11CopyFunctorIfhLi2ELi1ELi1EEEJNS0_4CopyIfhEEEEEvT_T0_DpT1_,@function
_ZN2at6native12_GLOBAL__N_125multi_tensor_apply_kernelINS1_18TensorListMetadataILi2EEENS1_11CopyFunctorIfhLi2ELi1ELi1EEEJNS0_4CopyIfhEEEEEvT_T0_DpT1_: ; @_ZN2at6native12_GLOBAL__N_125multi_tensor_apply_kernelINS1_18TensorListMetadataILi2EEENS1_11CopyFunctorIfhLi2ELi1ELi1EEEJNS0_4CopyIfhEEEEEvT_T0_DpT1_
; %bb.0:
	v_mov_b32_e32 v1, s15
	s_add_u32 s2, s0, s15
	s_mul_hi_u32 s3, s15, 3
	s_mul_i32 s15, s15, 3
	s_addc_u32 s4, s1, 0
	global_load_u8 v1, v1, s[0:1] offset:1536
	s_add_u32 s2, s2, s15
	s_addc_u32 s3, s4, s3
	s_mov_b32 s15, 0
	s_load_b32 s10, s[2:3], 0x740
	s_mov_b32 s17, s15
	s_waitcnt lgkmcnt(0)
	s_ashr_i32 s11, s10, 31
	s_delay_alu instid0(SALU_CYCLE_1) | instskip(SKIP_2) | instid1(VALU_DEP_1)
	s_lshl_b64 s[8:9], s[10:11], 16
	s_waitcnt vmcnt(0)
	v_readfirstlane_b32 s5, v1
	s_lshl_b32 s2, s5, 3
	s_clause 0x2
	s_load_b64 s[6:7], s[0:1], s2 offset:0x0
	s_load_b64 s[12:13], s[0:1], s2 offset:0x200
	s_load_b64 s[4:5], s[0:1], s2 offset:0x400
	s_waitcnt lgkmcnt(0)
	s_add_u32 s3, s6, s8
	s_addc_u32 s18, s7, s9
	s_and_b32 s2, s12, 15
	s_and_b32 s16, s4, 3
	;; [unrolled: 1-line block ×3, first 2 shown]
	s_or_b32 s16, s16, s2
	s_mov_b32 s2, -1
	s_or_b64 s[14:15], s[14:15], s[16:17]
	s_sub_u32 s4, s4, s8
	s_subb_u32 s5, s5, s9
	s_cmp_eq_u64 s[14:15], 0
	s_cbranch_scc0 .LBB252_5
; %bb.1:
	v_dual_mov_b32 v2, 0 :: v_dual_lshlrev_b32 v1, 2, v0
	s_mov_b32 s19, exec_lo
	s_delay_alu instid0(VALU_DEP_1)
	v_cmpx_gt_i64_e64 s[4:5], v[1:2]
	s_cbranch_execz .LBB252_4
; %bb.2:
	s_load_b32 s2, s[0:1], 0xc5c
	v_lshlrev_b32_e32 v2, 4, v0
	s_lshl_b64 s[16:17], s[10:11], 18
	s_waitcnt lgkmcnt(0)
	s_and_b32 s2, s2, 0xffff
	s_delay_alu instid0(SALU_CYCLE_1) | instskip(SKIP_3) | instid1(VALU_DEP_1)
	s_lshl_b32 s14, s2, 2
	s_add_u32 s15, s12, s16
	s_addc_u32 s16, s13, s17
	v_add_co_u32 v2, s15, s15, v2
	v_add_co_ci_u32_e64 v3, null, s16, 0, s15
	s_mov_b32 s15, 0
	s_delay_alu instid0(VALU_DEP_2) | instskip(NEXT) | instid1(VALU_DEP_2)
	v_add_co_u32 v2, vcc_lo, v2, 8
	v_add_co_ci_u32_e32 v3, vcc_lo, 0, v3, vcc_lo
	s_lshl_b32 s20, s2, 4
	s_mov_b64 s[16:17], s[14:15]
	.p2align	6
.LBB252_3:                              ; =>This Inner Loop Header: Depth=1
	v_add_co_u32 v4, s2, s3, v1
	s_delay_alu instid0(VALU_DEP_1) | instskip(SKIP_2) | instid1(VALU_DEP_1)
	v_add_co_ci_u32_e64 v5, null, s18, 0, s2
	global_load_b32 v7, v[4:5], off
	v_add_co_u32 v4, s2, v1, s16
	v_add_co_ci_u32_e64 v5, null, 0, s17, s2
	s_delay_alu instid0(VALU_DEP_1) | instskip(SKIP_1) | instid1(VALU_DEP_1)
	v_cmp_le_i64_e32 vcc_lo, s[4:5], v[4:5]
	v_cmp_lt_u64_e64 s2, 0xffff, v[4:5]
	s_or_b32 s2, vcc_lo, s2
	s_add_u32 s16, s16, s14
	s_addc_u32 s17, s17, 0
	s_add_u32 s3, s3, s14
	s_addc_u32 s18, s18, 0
	s_and_b32 s2, exec_lo, s2
	s_delay_alu instid0(SALU_CYCLE_1)
	s_or_b32 s15, s2, s15
	s_waitcnt vmcnt(0)
	v_cvt_f32_ubyte0_e32 v4, v7
	v_cvt_f32_ubyte1_e32 v5, v7
	v_cvt_f32_ubyte2_e32 v6, v7
	v_cvt_f32_ubyte3_e32 v7, v7
	global_store_b128 v[2:3], v[4:7], off offset:-8
	v_add_co_u32 v2, vcc_lo, v2, s20
	v_add_co_ci_u32_e32 v3, vcc_lo, 0, v3, vcc_lo
	s_and_not1_b32 exec_lo, exec_lo, s15
	s_cbranch_execnz .LBB252_3
.LBB252_4:
	s_or_b32 exec_lo, exec_lo, s19
	s_mov_b32 s2, 0
.LBB252_5:
	s_delay_alu instid0(SALU_CYCLE_1)
	s_and_not1_b32 vcc_lo, exec_lo, s2
	s_cbranch_vccnz .LBB252_25
; %bb.6:
	v_cmp_lt_i64_e64 s2, s[4:5], 1
	s_delay_alu instid0(VALU_DEP_1)
	s_and_b32 vcc_lo, exec_lo, s2
	s_cbranch_vccnz .LBB252_25
; %bb.7:
	s_load_b32 s0, s[0:1], 0xc5c
	v_cmp_gt_u64_e64 s1, 0x10000, s[4:5]
	v_add_co_u32 v3, s2, s8, v0
	v_lshlrev_b32_e32 v1, 2, v0
	v_add_co_ci_u32_e64 v4, null, s9, 0, s2
	s_delay_alu instid0(VALU_DEP_3) | instskip(NEXT) | instid1(VALU_DEP_2)
	v_add_co_u32 v13, vcc_lo, s6, v3
                                        ; implicit-def: $vgpr27
                                        ; implicit-def: $vgpr28
                                        ; implicit-def: $vgpr29
                                        ; implicit-def: $vgpr30
	v_add_co_ci_u32_e32 v14, vcc_lo, s7, v4, vcc_lo
	s_waitcnt lgkmcnt(0)
	s_and_b32 s0, s0, 0xffff
	s_and_b32 s1, s1, exec_lo
	s_cselect_b32 s3, s5, 0
	s_cselect_b32 s2, s4, 0x10000
	s_lshl_b64 s[10:11], s[10:11], 18
	s_lshl_b32 s14, s0, 1
	s_lshl_b32 s1, s0, 2
	s_add_u32 s12, s12, s10
	s_mul_i32 s15, s0, 3
	s_addc_u32 s11, s13, s11
	s_lshl_b32 s10, s0, 4
	v_add_co_u32 v1, s16, s12, v1
	s_add_u32 s13, s8, s15
	v_add_co_ci_u32_e64 v2, null, s11, 0, s16
	s_addc_u32 s16, s9, 0
	s_add_u32 s13, s6, s13
	s_addc_u32 s16, s7, s16
	s_add_u32 s8, s8, s14
	;; [unrolled: 2-line block ×3, first 2 shown]
	s_addc_u32 s9, s7, s9
	v_add_co_u32 v19, s8, s8, v0
	s_delay_alu instid0(VALU_DEP_1) | instskip(SKIP_1) | instid1(VALU_DEP_1)
	v_add_co_ci_u32_e64 v20, null, s9, 0, s8
	v_add_co_u32 v21, s9, s14, v0
	v_add_co_ci_u32_e64 v22, null, 0, 0, s9
	v_add_co_u32 v23, s9, v0, s0
	s_lshl_b32 s8, s0, 3
	v_add_co_u32 v15, s13, s13, v0
	s_delay_alu instid0(VALU_DEP_2)
	v_lshlrev_b32_e32 v5, 2, v23
	s_add_u32 s6, s6, s0
	v_add_co_ci_u32_e64 v16, null, s16, 0, s13
	v_add_co_u32 v17, s13, s15, v0
	s_addc_u32 s7, s7, 0
	v_add_co_u32 v25, vcc_lo, s6, v3
	v_add_co_u32 v3, s6, s12, v5
	v_add_co_ci_u32_e64 v18, null, 0, 0, s13
	v_add_co_ci_u32_e64 v24, null, 0, 0, s9
	v_add_co_ci_u32_e32 v26, vcc_lo, s7, v4, vcc_lo
	v_add_co_ci_u32_e64 v4, null, s11, 0, s6
	s_mul_i32 s9, s0, 12
	s_mov_b64 s[6:7], 0
	s_branch .LBB252_9
.LBB252_8:                              ;   in Loop: Header=BB252_9 Depth=1
	s_or_b32 exec_lo, exec_lo, s0
	s_add_u32 s6, s6, s1
	s_addc_u32 s7, s7, 0
	v_add_co_u32 v1, vcc_lo, v1, s10
	v_cmp_ge_i64_e64 s0, s[6:7], s[4:5]
	v_cmp_lt_u64_e64 s11, 0xffff, s[6:7]
	v_add_co_ci_u32_e32 v2, vcc_lo, 0, v2, vcc_lo
	v_add_co_u32 v3, vcc_lo, v3, s10
	v_add_co_ci_u32_e32 v4, vcc_lo, 0, v4, vcc_lo
	s_delay_alu instid0(VALU_DEP_4) | instskip(NEXT) | instid1(SALU_CYCLE_1)
	s_or_b32 s0, s0, s11
	s_and_b32 vcc_lo, exec_lo, s0
	s_cbranch_vccnz .LBB252_25
.LBB252_9:                              ; =>This Inner Loop Header: Depth=1
	v_add_co_u32 v5, s0, v0, s6
	s_delay_alu instid0(VALU_DEP_1) | instskip(NEXT) | instid1(VALU_DEP_1)
	v_add_co_ci_u32_e64 v6, null, 0, s7, s0
	v_cmp_gt_i64_e32 vcc_lo, s[4:5], v[5:6]
	v_cmp_gt_u64_e64 s0, 0x10000, v[5:6]
	s_delay_alu instid0(VALU_DEP_1) | instskip(NEXT) | instid1(SALU_CYCLE_1)
	s_and_b32 s11, vcc_lo, s0
	s_and_saveexec_b32 s0, s11
	s_cbranch_execz .LBB252_11
; %bb.10:                               ;   in Loop: Header=BB252_9 Depth=1
	v_add_co_u32 v7, vcc_lo, v13, s6
	v_add_co_ci_u32_e32 v8, vcc_lo, s7, v14, vcc_lo
	global_load_u8 v27, v[7:8], off
.LBB252_11:                             ;   in Loop: Header=BB252_9 Depth=1
	s_or_b32 exec_lo, exec_lo, s0
	v_add_co_u32 v7, vcc_lo, v23, s6
	v_add_co_ci_u32_e32 v8, vcc_lo, s7, v24, vcc_lo
	s_delay_alu instid0(VALU_DEP_1) | instskip(SKIP_1) | instid1(VALU_DEP_1)
	v_cmp_gt_i64_e32 vcc_lo, s[4:5], v[7:8]
	v_cmp_gt_u64_e64 s0, 0x10000, v[7:8]
	s_and_b32 s11, vcc_lo, s0
	s_delay_alu instid0(SALU_CYCLE_1)
	s_and_saveexec_b32 s0, s11
	s_cbranch_execz .LBB252_13
; %bb.12:                               ;   in Loop: Header=BB252_9 Depth=1
	v_add_co_u32 v9, vcc_lo, v25, s6
	v_add_co_ci_u32_e32 v10, vcc_lo, s7, v26, vcc_lo
	global_load_u8 v28, v[9:10], off
.LBB252_13:                             ;   in Loop: Header=BB252_9 Depth=1
	s_or_b32 exec_lo, exec_lo, s0
	v_add_co_u32 v9, vcc_lo, v21, s6
	v_add_co_ci_u32_e32 v10, vcc_lo, s7, v22, vcc_lo
	s_delay_alu instid0(VALU_DEP_1) | instskip(SKIP_1) | instid1(VALU_DEP_1)
	v_cmp_gt_i64_e32 vcc_lo, s[4:5], v[9:10]
	v_cmp_gt_u64_e64 s0, 0x10000, v[9:10]
	s_and_b32 s11, vcc_lo, s0
	s_delay_alu instid0(SALU_CYCLE_1)
	;; [unrolled: 15-line block ×3, first 2 shown]
	s_and_saveexec_b32 s0, s11
	s_cbranch_execnz .LBB252_20
; %bb.16:                               ;   in Loop: Header=BB252_9 Depth=1
	s_or_b32 exec_lo, exec_lo, s0
	s_delay_alu instid0(SALU_CYCLE_1)
	s_mov_b32 s0, exec_lo
	v_cmpx_gt_u64_e64 s[2:3], v[5:6]
	s_cbranch_execnz .LBB252_21
.LBB252_17:                             ;   in Loop: Header=BB252_9 Depth=1
	s_or_b32 exec_lo, exec_lo, s0
	s_delay_alu instid0(SALU_CYCLE_1)
	s_mov_b32 s0, exec_lo
	v_cmpx_gt_u64_e64 s[2:3], v[7:8]
	s_cbranch_execnz .LBB252_22
.LBB252_18:                             ;   in Loop: Header=BB252_9 Depth=1
	s_or_b32 exec_lo, exec_lo, s0
	s_delay_alu instid0(SALU_CYCLE_1)
	s_mov_b32 s0, exec_lo
	v_cmpx_gt_u64_e64 s[2:3], v[9:10]
	s_cbranch_execnz .LBB252_23
.LBB252_19:                             ;   in Loop: Header=BB252_9 Depth=1
	s_or_b32 exec_lo, exec_lo, s0
	s_delay_alu instid0(SALU_CYCLE_1)
	s_mov_b32 s0, exec_lo
	v_cmpx_gt_u64_e64 s[2:3], v[11:12]
	s_cbranch_execz .LBB252_8
	s_branch .LBB252_24
.LBB252_20:                             ;   in Loop: Header=BB252_9 Depth=1
	s_waitcnt vmcnt(0)
	v_add_co_u32 v30, vcc_lo, v15, s6
	v_add_co_ci_u32_e32 v31, vcc_lo, s7, v16, vcc_lo
	global_load_u8 v30, v[30:31], off
	s_or_b32 exec_lo, exec_lo, s0
	s_delay_alu instid0(SALU_CYCLE_1)
	s_mov_b32 s0, exec_lo
	v_cmpx_gt_u64_e64 s[2:3], v[5:6]
	s_cbranch_execz .LBB252_17
.LBB252_21:                             ;   in Loop: Header=BB252_9 Depth=1
	s_waitcnt vmcnt(0)
	v_cvt_f32_ubyte0_e32 v5, v27
	global_store_b32 v[1:2], v5, off
	s_or_b32 exec_lo, exec_lo, s0
	s_delay_alu instid0(SALU_CYCLE_1)
	s_mov_b32 s0, exec_lo
	v_cmpx_gt_u64_e64 s[2:3], v[7:8]
	s_cbranch_execz .LBB252_18
.LBB252_22:                             ;   in Loop: Header=BB252_9 Depth=1
	s_waitcnt vmcnt(0)
	v_cvt_f32_ubyte0_e32 v5, v28
	global_store_b32 v[3:4], v5, off
	s_or_b32 exec_lo, exec_lo, s0
	s_delay_alu instid0(SALU_CYCLE_1)
	s_mov_b32 s0, exec_lo
	v_cmpx_gt_u64_e64 s[2:3], v[9:10]
	s_cbranch_execz .LBB252_19
.LBB252_23:                             ;   in Loop: Header=BB252_9 Depth=1
	v_add_co_u32 v5, vcc_lo, v1, s8
	s_waitcnt vmcnt(0)
	v_cvt_f32_ubyte0_e32 v7, v29
	v_add_co_ci_u32_e32 v6, vcc_lo, 0, v2, vcc_lo
	global_store_b32 v[5:6], v7, off
	s_or_b32 exec_lo, exec_lo, s0
	s_delay_alu instid0(SALU_CYCLE_1)
	s_mov_b32 s0, exec_lo
	v_cmpx_gt_u64_e64 s[2:3], v[11:12]
	s_cbranch_execz .LBB252_8
.LBB252_24:                             ;   in Loop: Header=BB252_9 Depth=1
	v_add_co_u32 v5, vcc_lo, v1, s9
	s_waitcnt vmcnt(0)
	v_cvt_f32_ubyte0_e32 v7, v30
	v_add_co_ci_u32_e32 v6, vcc_lo, 0, v2, vcc_lo
	global_store_b32 v[5:6], v7, off
	s_branch .LBB252_8
.LBB252_25:
	s_nop 0
	s_sendmsg sendmsg(MSG_DEALLOC_VGPRS)
	s_endpgm
	.section	.rodata,"a",@progbits
	.p2align	6, 0x0
	.amdhsa_kernel _ZN2at6native12_GLOBAL__N_125multi_tensor_apply_kernelINS1_18TensorListMetadataILi2EEENS1_11CopyFunctorIfhLi2ELi1ELi1EEEJNS0_4CopyIfhEEEEEvT_T0_DpT1_
		.amdhsa_group_segment_fixed_size 0
		.amdhsa_private_segment_fixed_size 0
		.amdhsa_kernarg_size 3408
		.amdhsa_user_sgpr_count 15
		.amdhsa_user_sgpr_dispatch_ptr 0
		.amdhsa_user_sgpr_queue_ptr 0
		.amdhsa_user_sgpr_kernarg_segment_ptr 1
		.amdhsa_user_sgpr_dispatch_id 0
		.amdhsa_user_sgpr_private_segment_size 0
		.amdhsa_wavefront_size32 1
		.amdhsa_uses_dynamic_stack 0
		.amdhsa_enable_private_segment 0
		.amdhsa_system_sgpr_workgroup_id_x 1
		.amdhsa_system_sgpr_workgroup_id_y 0
		.amdhsa_system_sgpr_workgroup_id_z 0
		.amdhsa_system_sgpr_workgroup_info 0
		.amdhsa_system_vgpr_workitem_id 0
		.amdhsa_next_free_vgpr 32
		.amdhsa_next_free_sgpr 21
		.amdhsa_reserve_vcc 1
		.amdhsa_float_round_mode_32 0
		.amdhsa_float_round_mode_16_64 0
		.amdhsa_float_denorm_mode_32 3
		.amdhsa_float_denorm_mode_16_64 3
		.amdhsa_dx10_clamp 1
		.amdhsa_ieee_mode 1
		.amdhsa_fp16_overflow 0
		.amdhsa_workgroup_processor_mode 1
		.amdhsa_memory_ordered 1
		.amdhsa_forward_progress 0
		.amdhsa_shared_vgpr_count 0
		.amdhsa_exception_fp_ieee_invalid_op 0
		.amdhsa_exception_fp_denorm_src 0
		.amdhsa_exception_fp_ieee_div_zero 0
		.amdhsa_exception_fp_ieee_overflow 0
		.amdhsa_exception_fp_ieee_underflow 0
		.amdhsa_exception_fp_ieee_inexact 0
		.amdhsa_exception_int_div_zero 0
	.end_amdhsa_kernel
	.section	.text._ZN2at6native12_GLOBAL__N_125multi_tensor_apply_kernelINS1_18TensorListMetadataILi2EEENS1_11CopyFunctorIfhLi2ELi1ELi1EEEJNS0_4CopyIfhEEEEEvT_T0_DpT1_,"axG",@progbits,_ZN2at6native12_GLOBAL__N_125multi_tensor_apply_kernelINS1_18TensorListMetadataILi2EEENS1_11CopyFunctorIfhLi2ELi1ELi1EEEJNS0_4CopyIfhEEEEEvT_T0_DpT1_,comdat
.Lfunc_end252:
	.size	_ZN2at6native12_GLOBAL__N_125multi_tensor_apply_kernelINS1_18TensorListMetadataILi2EEENS1_11CopyFunctorIfhLi2ELi1ELi1EEEJNS0_4CopyIfhEEEEEvT_T0_DpT1_, .Lfunc_end252-_ZN2at6native12_GLOBAL__N_125multi_tensor_apply_kernelINS1_18TensorListMetadataILi2EEENS1_11CopyFunctorIfhLi2ELi1ELi1EEEJNS0_4CopyIfhEEEEEvT_T0_DpT1_
                                        ; -- End function
	.section	.AMDGPU.csdata,"",@progbits
; Kernel info:
; codeLenInByte = 1428
; NumSgprs: 23
; NumVgprs: 32
; ScratchSize: 0
; MemoryBound: 0
; FloatMode: 240
; IeeeMode: 1
; LDSByteSize: 0 bytes/workgroup (compile time only)
; SGPRBlocks: 2
; VGPRBlocks: 3
; NumSGPRsForWavesPerEU: 23
; NumVGPRsForWavesPerEU: 32
; Occupancy: 16
; WaveLimiterHint : 0
; COMPUTE_PGM_RSRC2:SCRATCH_EN: 0
; COMPUTE_PGM_RSRC2:USER_SGPR: 15
; COMPUTE_PGM_RSRC2:TRAP_HANDLER: 0
; COMPUTE_PGM_RSRC2:TGID_X_EN: 1
; COMPUTE_PGM_RSRC2:TGID_Y_EN: 0
; COMPUTE_PGM_RSRC2:TGID_Z_EN: 0
; COMPUTE_PGM_RSRC2:TIDIG_COMP_CNT: 0
	.section	.text._ZN2at6native12_GLOBAL__N_125multi_tensor_apply_kernelINS1_18TensorListMetadataILi2EEENS1_11CopyFunctorIfaLi2ELi1ELi1EEEJNS0_4CopyIfaEEEEEvT_T0_DpT1_,"axG",@progbits,_ZN2at6native12_GLOBAL__N_125multi_tensor_apply_kernelINS1_18TensorListMetadataILi2EEENS1_11CopyFunctorIfaLi2ELi1ELi1EEEJNS0_4CopyIfaEEEEEvT_T0_DpT1_,comdat
	.globl	_ZN2at6native12_GLOBAL__N_125multi_tensor_apply_kernelINS1_18TensorListMetadataILi2EEENS1_11CopyFunctorIfaLi2ELi1ELi1EEEJNS0_4CopyIfaEEEEEvT_T0_DpT1_ ; -- Begin function _ZN2at6native12_GLOBAL__N_125multi_tensor_apply_kernelINS1_18TensorListMetadataILi2EEENS1_11CopyFunctorIfaLi2ELi1ELi1EEEJNS0_4CopyIfaEEEEEvT_T0_DpT1_
	.p2align	8
	.type	_ZN2at6native12_GLOBAL__N_125multi_tensor_apply_kernelINS1_18TensorListMetadataILi2EEENS1_11CopyFunctorIfaLi2ELi1ELi1EEEJNS0_4CopyIfaEEEEEvT_T0_DpT1_,@function
_ZN2at6native12_GLOBAL__N_125multi_tensor_apply_kernelINS1_18TensorListMetadataILi2EEENS1_11CopyFunctorIfaLi2ELi1ELi1EEEJNS0_4CopyIfaEEEEEvT_T0_DpT1_: ; @_ZN2at6native12_GLOBAL__N_125multi_tensor_apply_kernelINS1_18TensorListMetadataILi2EEENS1_11CopyFunctorIfaLi2ELi1ELi1EEEJNS0_4CopyIfaEEEEEvT_T0_DpT1_
; %bb.0:
	v_mov_b32_e32 v1, s15
	s_add_u32 s2, s0, s15
	s_mul_hi_u32 s3, s15, 3
	s_mul_i32 s15, s15, 3
	s_addc_u32 s4, s1, 0
	global_load_u8 v1, v1, s[0:1] offset:1536
	s_add_u32 s2, s2, s15
	s_addc_u32 s3, s4, s3
	s_mov_b32 s15, 0
	s_load_b32 s10, s[2:3], 0x740
	s_mov_b32 s17, s15
	s_waitcnt lgkmcnt(0)
	s_ashr_i32 s11, s10, 31
	s_delay_alu instid0(SALU_CYCLE_1) | instskip(SKIP_2) | instid1(VALU_DEP_1)
	s_lshl_b64 s[8:9], s[10:11], 16
	s_waitcnt vmcnt(0)
	v_readfirstlane_b32 s5, v1
	s_lshl_b32 s2, s5, 3
	s_clause 0x2
	s_load_b64 s[6:7], s[0:1], s2 offset:0x0
	s_load_b64 s[12:13], s[0:1], s2 offset:0x200
	s_load_b64 s[4:5], s[0:1], s2 offset:0x400
	s_waitcnt lgkmcnt(0)
	s_add_u32 s3, s6, s8
	s_addc_u32 s18, s7, s9
	s_and_b32 s2, s12, 15
	s_and_b32 s16, s4, 3
	;; [unrolled: 1-line block ×3, first 2 shown]
	s_or_b32 s16, s16, s2
	s_mov_b32 s2, -1
	s_or_b64 s[14:15], s[14:15], s[16:17]
	s_sub_u32 s4, s4, s8
	s_subb_u32 s5, s5, s9
	s_cmp_eq_u64 s[14:15], 0
	s_cbranch_scc0 .LBB253_5
; %bb.1:
	v_dual_mov_b32 v2, 0 :: v_dual_lshlrev_b32 v1, 2, v0
	s_mov_b32 s19, exec_lo
	s_delay_alu instid0(VALU_DEP_1)
	v_cmpx_gt_i64_e64 s[4:5], v[1:2]
	s_cbranch_execz .LBB253_4
; %bb.2:
	s_load_b32 s2, s[0:1], 0xc5c
	v_lshlrev_b32_e32 v2, 4, v0
	s_lshl_b64 s[16:17], s[10:11], 18
	s_waitcnt lgkmcnt(0)
	s_and_b32 s2, s2, 0xffff
	s_delay_alu instid0(SALU_CYCLE_1) | instskip(SKIP_3) | instid1(VALU_DEP_1)
	s_lshl_b32 s14, s2, 2
	s_add_u32 s15, s12, s16
	s_addc_u32 s16, s13, s17
	v_add_co_u32 v2, s15, s15, v2
	v_add_co_ci_u32_e64 v3, null, s16, 0, s15
	s_mov_b32 s15, 0
	s_delay_alu instid0(VALU_DEP_2) | instskip(NEXT) | instid1(VALU_DEP_2)
	v_add_co_u32 v2, vcc_lo, v2, 8
	v_add_co_ci_u32_e32 v3, vcc_lo, 0, v3, vcc_lo
	s_lshl_b32 s20, s2, 4
	s_mov_b64 s[16:17], s[14:15]
.LBB253_3:                              ; =>This Inner Loop Header: Depth=1
	v_add_co_u32 v4, s2, s3, v1
	s_delay_alu instid0(VALU_DEP_1) | instskip(SKIP_2) | instid1(VALU_DEP_1)
	v_add_co_ci_u32_e64 v5, null, s18, 0, s2
	global_load_b32 v6, v[4:5], off
	v_add_co_u32 v4, s2, v1, s16
	v_add_co_ci_u32_e64 v5, null, 0, s17, s2
	s_delay_alu instid0(VALU_DEP_1) | instskip(SKIP_1) | instid1(VALU_DEP_1)
	v_cmp_le_i64_e32 vcc_lo, s[4:5], v[4:5]
	v_cmp_lt_u64_e64 s2, 0xffff, v[4:5]
	s_or_b32 s2, vcc_lo, s2
	s_add_u32 s16, s16, s14
	s_addc_u32 s17, s17, 0
	s_add_u32 s3, s3, s14
	s_addc_u32 s18, s18, 0
	s_and_b32 s2, exec_lo, s2
	s_delay_alu instid0(SALU_CYCLE_1)
	s_or_b32 s15, s2, s15
	s_waitcnt vmcnt(0)
	v_lshrrev_b32_e32 v4, 8, v6
	v_lshrrev_b32_e32 v5, 16, v6
	;; [unrolled: 1-line block ×3, first 2 shown]
	v_bfe_i32 v6, v6, 0, 8
	s_delay_alu instid0(VALU_DEP_4) | instskip(NEXT) | instid1(VALU_DEP_4)
	v_bfe_i32 v4, v4, 0, 8
	v_bfe_i32 v5, v5, 0, 8
	s_delay_alu instid0(VALU_DEP_4) | instskip(NEXT) | instid1(VALU_DEP_4)
	v_bfe_i32 v7, v7, 0, 8
	;; [unrolled: 3-line block ×4, first 2 shown]
	v_cvt_f32_i32_e32 v4, v6
	s_delay_alu instid0(VALU_DEP_4) | instskip(NEXT) | instid1(VALU_DEP_4)
	v_cvt_f32_i32_e32 v5, v8
	v_cvt_f32_i32_e32 v6, v9
	s_delay_alu instid0(VALU_DEP_4)
	v_cvt_f32_i32_e32 v7, v7
	global_store_b128 v[2:3], v[4:7], off offset:-8
	v_add_co_u32 v2, vcc_lo, v2, s20
	v_add_co_ci_u32_e32 v3, vcc_lo, 0, v3, vcc_lo
	s_and_not1_b32 exec_lo, exec_lo, s15
	s_cbranch_execnz .LBB253_3
.LBB253_4:
	s_or_b32 exec_lo, exec_lo, s19
	s_mov_b32 s2, 0
.LBB253_5:
	s_delay_alu instid0(SALU_CYCLE_1)
	s_and_not1_b32 vcc_lo, exec_lo, s2
	s_cbranch_vccnz .LBB253_25
; %bb.6:
	v_cmp_lt_i64_e64 s2, s[4:5], 1
	s_delay_alu instid0(VALU_DEP_1)
	s_and_b32 vcc_lo, exec_lo, s2
	s_cbranch_vccnz .LBB253_25
; %bb.7:
	s_load_b32 s0, s[0:1], 0xc5c
	v_cmp_gt_u64_e64 s1, 0x10000, s[4:5]
	v_add_co_u32 v3, s2, s8, v0
	v_lshlrev_b32_e32 v1, 2, v0
	v_add_co_ci_u32_e64 v4, null, s9, 0, s2
	s_delay_alu instid0(VALU_DEP_3) | instskip(NEXT) | instid1(VALU_DEP_2)
	v_add_co_u32 v13, vcc_lo, s6, v3
                                        ; implicit-def: $vgpr27
                                        ; implicit-def: $vgpr28
                                        ; implicit-def: $vgpr29
                                        ; implicit-def: $vgpr30
	v_add_co_ci_u32_e32 v14, vcc_lo, s7, v4, vcc_lo
	s_waitcnt lgkmcnt(0)
	s_and_b32 s0, s0, 0xffff
	s_and_b32 s1, s1, exec_lo
	s_cselect_b32 s3, s5, 0
	s_cselect_b32 s2, s4, 0x10000
	s_lshl_b64 s[10:11], s[10:11], 18
	s_lshl_b32 s14, s0, 1
	s_lshl_b32 s1, s0, 2
	s_add_u32 s12, s12, s10
	s_mul_i32 s15, s0, 3
	s_addc_u32 s11, s13, s11
	s_lshl_b32 s10, s0, 4
	v_add_co_u32 v1, s16, s12, v1
	s_add_u32 s13, s8, s15
	v_add_co_ci_u32_e64 v2, null, s11, 0, s16
	s_addc_u32 s16, s9, 0
	s_add_u32 s13, s6, s13
	s_addc_u32 s16, s7, s16
	s_add_u32 s8, s8, s14
	;; [unrolled: 2-line block ×3, first 2 shown]
	s_addc_u32 s9, s7, s9
	v_add_co_u32 v19, s8, s8, v0
	s_delay_alu instid0(VALU_DEP_1) | instskip(SKIP_1) | instid1(VALU_DEP_1)
	v_add_co_ci_u32_e64 v20, null, s9, 0, s8
	v_add_co_u32 v21, s9, s14, v0
	v_add_co_ci_u32_e64 v22, null, 0, 0, s9
	v_add_co_u32 v23, s9, v0, s0
	s_lshl_b32 s8, s0, 3
	v_add_co_u32 v15, s13, s13, v0
	s_delay_alu instid0(VALU_DEP_2)
	v_lshlrev_b32_e32 v5, 2, v23
	s_add_u32 s6, s6, s0
	v_add_co_ci_u32_e64 v16, null, s16, 0, s13
	v_add_co_u32 v17, s13, s15, v0
	s_addc_u32 s7, s7, 0
	v_add_co_u32 v25, vcc_lo, s6, v3
	v_add_co_u32 v3, s6, s12, v5
	v_add_co_ci_u32_e64 v18, null, 0, 0, s13
	v_add_co_ci_u32_e64 v24, null, 0, 0, s9
	v_add_co_ci_u32_e32 v26, vcc_lo, s7, v4, vcc_lo
	v_add_co_ci_u32_e64 v4, null, s11, 0, s6
	s_mul_i32 s9, s0, 12
	s_mov_b64 s[6:7], 0
	s_branch .LBB253_9
.LBB253_8:                              ;   in Loop: Header=BB253_9 Depth=1
	s_or_b32 exec_lo, exec_lo, s0
	s_add_u32 s6, s6, s1
	s_addc_u32 s7, s7, 0
	v_add_co_u32 v1, vcc_lo, v1, s10
	v_cmp_ge_i64_e64 s0, s[6:7], s[4:5]
	v_cmp_lt_u64_e64 s11, 0xffff, s[6:7]
	v_add_co_ci_u32_e32 v2, vcc_lo, 0, v2, vcc_lo
	v_add_co_u32 v3, vcc_lo, v3, s10
	v_add_co_ci_u32_e32 v4, vcc_lo, 0, v4, vcc_lo
	s_delay_alu instid0(VALU_DEP_4) | instskip(NEXT) | instid1(SALU_CYCLE_1)
	s_or_b32 s0, s0, s11
	s_and_b32 vcc_lo, exec_lo, s0
	s_cbranch_vccnz .LBB253_25
.LBB253_9:                              ; =>This Inner Loop Header: Depth=1
	v_add_co_u32 v5, s0, v0, s6
	s_delay_alu instid0(VALU_DEP_1) | instskip(NEXT) | instid1(VALU_DEP_1)
	v_add_co_ci_u32_e64 v6, null, 0, s7, s0
	v_cmp_gt_i64_e32 vcc_lo, s[4:5], v[5:6]
	v_cmp_gt_u64_e64 s0, 0x10000, v[5:6]
	s_delay_alu instid0(VALU_DEP_1) | instskip(NEXT) | instid1(SALU_CYCLE_1)
	s_and_b32 s11, vcc_lo, s0
	s_and_saveexec_b32 s0, s11
	s_cbranch_execz .LBB253_11
; %bb.10:                               ;   in Loop: Header=BB253_9 Depth=1
	v_add_co_u32 v7, vcc_lo, v13, s6
	v_add_co_ci_u32_e32 v8, vcc_lo, s7, v14, vcc_lo
	global_load_u8 v27, v[7:8], off
.LBB253_11:                             ;   in Loop: Header=BB253_9 Depth=1
	s_or_b32 exec_lo, exec_lo, s0
	v_add_co_u32 v7, vcc_lo, v23, s6
	v_add_co_ci_u32_e32 v8, vcc_lo, s7, v24, vcc_lo
	s_delay_alu instid0(VALU_DEP_1) | instskip(SKIP_1) | instid1(VALU_DEP_1)
	v_cmp_gt_i64_e32 vcc_lo, s[4:5], v[7:8]
	v_cmp_gt_u64_e64 s0, 0x10000, v[7:8]
	s_and_b32 s11, vcc_lo, s0
	s_delay_alu instid0(SALU_CYCLE_1)
	s_and_saveexec_b32 s0, s11
	s_cbranch_execz .LBB253_13
; %bb.12:                               ;   in Loop: Header=BB253_9 Depth=1
	v_add_co_u32 v9, vcc_lo, v25, s6
	v_add_co_ci_u32_e32 v10, vcc_lo, s7, v26, vcc_lo
	global_load_u8 v28, v[9:10], off
.LBB253_13:                             ;   in Loop: Header=BB253_9 Depth=1
	s_or_b32 exec_lo, exec_lo, s0
	v_add_co_u32 v9, vcc_lo, v21, s6
	v_add_co_ci_u32_e32 v10, vcc_lo, s7, v22, vcc_lo
	s_delay_alu instid0(VALU_DEP_1) | instskip(SKIP_1) | instid1(VALU_DEP_1)
	v_cmp_gt_i64_e32 vcc_lo, s[4:5], v[9:10]
	v_cmp_gt_u64_e64 s0, 0x10000, v[9:10]
	s_and_b32 s11, vcc_lo, s0
	s_delay_alu instid0(SALU_CYCLE_1)
	;; [unrolled: 15-line block ×3, first 2 shown]
	s_and_saveexec_b32 s0, s11
	s_cbranch_execnz .LBB253_20
; %bb.16:                               ;   in Loop: Header=BB253_9 Depth=1
	s_or_b32 exec_lo, exec_lo, s0
	s_delay_alu instid0(SALU_CYCLE_1)
	s_mov_b32 s0, exec_lo
	v_cmpx_gt_u64_e64 s[2:3], v[5:6]
	s_cbranch_execnz .LBB253_21
.LBB253_17:                             ;   in Loop: Header=BB253_9 Depth=1
	s_or_b32 exec_lo, exec_lo, s0
	s_delay_alu instid0(SALU_CYCLE_1)
	s_mov_b32 s0, exec_lo
	v_cmpx_gt_u64_e64 s[2:3], v[7:8]
	s_cbranch_execnz .LBB253_22
.LBB253_18:                             ;   in Loop: Header=BB253_9 Depth=1
	s_or_b32 exec_lo, exec_lo, s0
	s_delay_alu instid0(SALU_CYCLE_1)
	s_mov_b32 s0, exec_lo
	v_cmpx_gt_u64_e64 s[2:3], v[9:10]
	s_cbranch_execnz .LBB253_23
.LBB253_19:                             ;   in Loop: Header=BB253_9 Depth=1
	s_or_b32 exec_lo, exec_lo, s0
	s_delay_alu instid0(SALU_CYCLE_1)
	s_mov_b32 s0, exec_lo
	v_cmpx_gt_u64_e64 s[2:3], v[11:12]
	s_cbranch_execz .LBB253_8
	s_branch .LBB253_24
.LBB253_20:                             ;   in Loop: Header=BB253_9 Depth=1
	s_waitcnt vmcnt(0)
	v_add_co_u32 v30, vcc_lo, v15, s6
	v_add_co_ci_u32_e32 v31, vcc_lo, s7, v16, vcc_lo
	global_load_u8 v30, v[30:31], off
	s_or_b32 exec_lo, exec_lo, s0
	s_delay_alu instid0(SALU_CYCLE_1)
	s_mov_b32 s0, exec_lo
	v_cmpx_gt_u64_e64 s[2:3], v[5:6]
	s_cbranch_execz .LBB253_17
.LBB253_21:                             ;   in Loop: Header=BB253_9 Depth=1
	s_waitcnt vmcnt(0)
	v_bfe_i32 v5, v27, 0, 8
	s_delay_alu instid0(VALU_DEP_1) | instskip(NEXT) | instid1(VALU_DEP_1)
	v_bfe_i32 v5, v5, 0, 16
	v_cvt_f32_i32_e32 v5, v5
	global_store_b32 v[1:2], v5, off
	s_or_b32 exec_lo, exec_lo, s0
	s_delay_alu instid0(SALU_CYCLE_1)
	s_mov_b32 s0, exec_lo
	v_cmpx_gt_u64_e64 s[2:3], v[7:8]
	s_cbranch_execz .LBB253_18
.LBB253_22:                             ;   in Loop: Header=BB253_9 Depth=1
	s_waitcnt vmcnt(0)
	v_bfe_i32 v5, v28, 0, 8
	s_delay_alu instid0(VALU_DEP_1) | instskip(NEXT) | instid1(VALU_DEP_1)
	v_bfe_i32 v5, v5, 0, 16
	v_cvt_f32_i32_e32 v5, v5
	global_store_b32 v[3:4], v5, off
	s_or_b32 exec_lo, exec_lo, s0
	s_delay_alu instid0(SALU_CYCLE_1)
	s_mov_b32 s0, exec_lo
	v_cmpx_gt_u64_e64 s[2:3], v[9:10]
	s_cbranch_execz .LBB253_19
.LBB253_23:                             ;   in Loop: Header=BB253_9 Depth=1
	s_waitcnt vmcnt(0)
	v_bfe_i32 v5, v29, 0, 8
	s_delay_alu instid0(VALU_DEP_1) | instskip(NEXT) | instid1(VALU_DEP_1)
	v_bfe_i32 v5, v5, 0, 16
	v_cvt_f32_i32_e32 v7, v5
	v_add_co_u32 v5, vcc_lo, v1, s8
	v_add_co_ci_u32_e32 v6, vcc_lo, 0, v2, vcc_lo
	global_store_b32 v[5:6], v7, off
	s_or_b32 exec_lo, exec_lo, s0
	s_delay_alu instid0(SALU_CYCLE_1)
	s_mov_b32 s0, exec_lo
	v_cmpx_gt_u64_e64 s[2:3], v[11:12]
	s_cbranch_execz .LBB253_8
.LBB253_24:                             ;   in Loop: Header=BB253_9 Depth=1
	s_waitcnt vmcnt(0)
	v_bfe_i32 v5, v30, 0, 8
	s_delay_alu instid0(VALU_DEP_1) | instskip(NEXT) | instid1(VALU_DEP_1)
	v_bfe_i32 v5, v5, 0, 16
	v_cvt_f32_i32_e32 v7, v5
	v_add_co_u32 v5, vcc_lo, v1, s9
	v_add_co_ci_u32_e32 v6, vcc_lo, 0, v2, vcc_lo
	global_store_b32 v[5:6], v7, off
	s_branch .LBB253_8
.LBB253_25:
	s_nop 0
	s_sendmsg sendmsg(MSG_DEALLOC_VGPRS)
	s_endpgm
	.section	.rodata,"a",@progbits
	.p2align	6, 0x0
	.amdhsa_kernel _ZN2at6native12_GLOBAL__N_125multi_tensor_apply_kernelINS1_18TensorListMetadataILi2EEENS1_11CopyFunctorIfaLi2ELi1ELi1EEEJNS0_4CopyIfaEEEEEvT_T0_DpT1_
		.amdhsa_group_segment_fixed_size 0
		.amdhsa_private_segment_fixed_size 0
		.amdhsa_kernarg_size 3408
		.amdhsa_user_sgpr_count 15
		.amdhsa_user_sgpr_dispatch_ptr 0
		.amdhsa_user_sgpr_queue_ptr 0
		.amdhsa_user_sgpr_kernarg_segment_ptr 1
		.amdhsa_user_sgpr_dispatch_id 0
		.amdhsa_user_sgpr_private_segment_size 0
		.amdhsa_wavefront_size32 1
		.amdhsa_uses_dynamic_stack 0
		.amdhsa_enable_private_segment 0
		.amdhsa_system_sgpr_workgroup_id_x 1
		.amdhsa_system_sgpr_workgroup_id_y 0
		.amdhsa_system_sgpr_workgroup_id_z 0
		.amdhsa_system_sgpr_workgroup_info 0
		.amdhsa_system_vgpr_workitem_id 0
		.amdhsa_next_free_vgpr 32
		.amdhsa_next_free_sgpr 21
		.amdhsa_reserve_vcc 1
		.amdhsa_float_round_mode_32 0
		.amdhsa_float_round_mode_16_64 0
		.amdhsa_float_denorm_mode_32 3
		.amdhsa_float_denorm_mode_16_64 3
		.amdhsa_dx10_clamp 1
		.amdhsa_ieee_mode 1
		.amdhsa_fp16_overflow 0
		.amdhsa_workgroup_processor_mode 1
		.amdhsa_memory_ordered 1
		.amdhsa_forward_progress 0
		.amdhsa_shared_vgpr_count 0
		.amdhsa_exception_fp_ieee_invalid_op 0
		.amdhsa_exception_fp_denorm_src 0
		.amdhsa_exception_fp_ieee_div_zero 0
		.amdhsa_exception_fp_ieee_overflow 0
		.amdhsa_exception_fp_ieee_underflow 0
		.amdhsa_exception_fp_ieee_inexact 0
		.amdhsa_exception_int_div_zero 0
	.end_amdhsa_kernel
	.section	.text._ZN2at6native12_GLOBAL__N_125multi_tensor_apply_kernelINS1_18TensorListMetadataILi2EEENS1_11CopyFunctorIfaLi2ELi1ELi1EEEJNS0_4CopyIfaEEEEEvT_T0_DpT1_,"axG",@progbits,_ZN2at6native12_GLOBAL__N_125multi_tensor_apply_kernelINS1_18TensorListMetadataILi2EEENS1_11CopyFunctorIfaLi2ELi1ELi1EEEJNS0_4CopyIfaEEEEEvT_T0_DpT1_,comdat
.Lfunc_end253:
	.size	_ZN2at6native12_GLOBAL__N_125multi_tensor_apply_kernelINS1_18TensorListMetadataILi2EEENS1_11CopyFunctorIfaLi2ELi1ELi1EEEJNS0_4CopyIfaEEEEEvT_T0_DpT1_, .Lfunc_end253-_ZN2at6native12_GLOBAL__N_125multi_tensor_apply_kernelINS1_18TensorListMetadataILi2EEENS1_11CopyFunctorIfaLi2ELi1ELi1EEEJNS0_4CopyIfaEEEEEvT_T0_DpT1_
                                        ; -- End function
	.section	.AMDGPU.csdata,"",@progbits
; Kernel info:
; codeLenInByte = 1608
; NumSgprs: 23
; NumVgprs: 32
; ScratchSize: 0
; MemoryBound: 0
; FloatMode: 240
; IeeeMode: 1
; LDSByteSize: 0 bytes/workgroup (compile time only)
; SGPRBlocks: 2
; VGPRBlocks: 3
; NumSGPRsForWavesPerEU: 23
; NumVGPRsForWavesPerEU: 32
; Occupancy: 16
; WaveLimiterHint : 0
; COMPUTE_PGM_RSRC2:SCRATCH_EN: 0
; COMPUTE_PGM_RSRC2:USER_SGPR: 15
; COMPUTE_PGM_RSRC2:TRAP_HANDLER: 0
; COMPUTE_PGM_RSRC2:TGID_X_EN: 1
; COMPUTE_PGM_RSRC2:TGID_Y_EN: 0
; COMPUTE_PGM_RSRC2:TGID_Z_EN: 0
; COMPUTE_PGM_RSRC2:TIDIG_COMP_CNT: 0
	.section	.text._ZN2at6native12_GLOBAL__N_125multi_tensor_apply_kernelINS1_18TensorListMetadataILi2EEENS1_11CopyFunctorIflLi2ELi1ELi1EEEJNS0_4CopyIflEEEEEvT_T0_DpT1_,"axG",@progbits,_ZN2at6native12_GLOBAL__N_125multi_tensor_apply_kernelINS1_18TensorListMetadataILi2EEENS1_11CopyFunctorIflLi2ELi1ELi1EEEJNS0_4CopyIflEEEEEvT_T0_DpT1_,comdat
	.globl	_ZN2at6native12_GLOBAL__N_125multi_tensor_apply_kernelINS1_18TensorListMetadataILi2EEENS1_11CopyFunctorIflLi2ELi1ELi1EEEJNS0_4CopyIflEEEEEvT_T0_DpT1_ ; -- Begin function _ZN2at6native12_GLOBAL__N_125multi_tensor_apply_kernelINS1_18TensorListMetadataILi2EEENS1_11CopyFunctorIflLi2ELi1ELi1EEEJNS0_4CopyIflEEEEEvT_T0_DpT1_
	.p2align	8
	.type	_ZN2at6native12_GLOBAL__N_125multi_tensor_apply_kernelINS1_18TensorListMetadataILi2EEENS1_11CopyFunctorIflLi2ELi1ELi1EEEJNS0_4CopyIflEEEEEvT_T0_DpT1_,@function
_ZN2at6native12_GLOBAL__N_125multi_tensor_apply_kernelINS1_18TensorListMetadataILi2EEENS1_11CopyFunctorIflLi2ELi1ELi1EEEJNS0_4CopyIflEEEEEvT_T0_DpT1_: ; @_ZN2at6native12_GLOBAL__N_125multi_tensor_apply_kernelINS1_18TensorListMetadataILi2EEENS1_11CopyFunctorIflLi2ELi1ELi1EEEJNS0_4CopyIflEEEEEvT_T0_DpT1_
; %bb.0:
	v_mov_b32_e32 v1, s15
	s_add_u32 s2, s0, s15
	s_mul_hi_u32 s3, s15, 3
	s_mul_i32 s15, s15, 3
	s_addc_u32 s4, s1, 0
	global_load_u8 v1, v1, s[0:1] offset:1536
	s_add_u32 s2, s2, s15
	s_addc_u32 s3, s4, s3
	s_mov_b32 s15, 0
	s_load_b32 s8, s[2:3], 0x740
	s_waitcnt lgkmcnt(0)
	s_ashr_i32 s9, s8, 31
	s_delay_alu instid0(SALU_CYCLE_1) | instskip(SKIP_3) | instid1(VALU_DEP_1)
	s_lshl_b64 s[10:11], s[8:9], 19
	s_lshl_b64 s[16:17], s[8:9], 16
	s_waitcnt vmcnt(0)
	v_readfirstlane_b32 s5, v1
	s_lshl_b32 s4, s5, 3
	s_clause 0x2
	s_load_b64 s[2:3], s[0:1], s4 offset:0x0
	s_load_b64 s[6:7], s[0:1], s4 offset:0x200
	;; [unrolled: 1-line block ×3, first 2 shown]
	s_waitcnt lgkmcnt(0)
	s_add_u32 s12, s2, s10
	s_addc_u32 s13, s3, s11
	s_and_b32 s18, s6, 15
	s_and_b32 s19, s4, 3
	;; [unrolled: 1-line block ×3, first 2 shown]
	s_or_b32 s18, s19, s18
	s_mov_b32 s19, s15
	s_delay_alu instid0(SALU_CYCLE_1)
	s_or_b64 s[14:15], s[14:15], s[18:19]
	s_sub_u32 s4, s4, s16
	s_subb_u32 s5, s5, s17
	s_cmp_eq_u64 s[14:15], 0
	s_mov_b32 s14, -1
	s_cbranch_scc0 .LBB254_5
; %bb.1:
	v_dual_mov_b32 v2, 0 :: v_dual_lshlrev_b32 v1, 2, v0
	s_mov_b32 s14, exec_lo
	s_delay_alu instid0(VALU_DEP_1)
	v_cmpx_gt_i64_e64 s[4:5], v[1:2]
	s_cbranch_execz .LBB254_4
; %bb.2:
	s_load_b32 s15, s[0:1], 0xc5c
	v_lshlrev_b32_e32 v4, 4, v0
	v_lshlrev_b32_e32 v3, 5, v0
	s_waitcnt lgkmcnt(0)
	s_and_b32 s16, s15, 0xffff
	s_delay_alu instid0(SALU_CYCLE_1)
	s_lshl_b32 s15, s16, 2
	s_add_u32 s17, s2, s10
	s_addc_u32 s11, s3, s11
	s_lshl_b64 s[2:3], s[8:9], 18
	s_lshl_b32 s10, s16, 5
	s_add_u32 s2, s6, s2
	s_addc_u32 s3, s7, s3
	v_add_co_u32 v5, s2, s2, v4
	s_delay_alu instid0(VALU_DEP_1) | instskip(SKIP_1) | instid1(VALU_DEP_3)
	v_add_co_ci_u32_e64 v6, null, s3, 0, s2
	v_add_co_u32 v3, s2, s17, v3
	v_add_co_u32 v5, vcc_lo, v5, 8
	v_add_lshl_u32 v1, v0, s16, 2
	v_add_co_ci_u32_e64 v4, null, s11, 0, s2
	v_add_co_ci_u32_e32 v6, vcc_lo, 0, v6, vcc_lo
	s_mov_b32 s11, 0
	s_lshl_b32 s16, s16, 4
.LBB254_3:                              ; =>This Inner Loop Header: Depth=1
	s_clause 0x1
	global_load_b128 v[7:10], v[3:4], off
	global_load_b128 v[11:14], v[3:4], off offset:16
	v_cmp_le_i64_e32 vcc_lo, s[4:5], v[1:2]
	v_cmp_lt_u64_e64 s2, 0xffff, v[1:2]
	v_add_co_u32 v1, s3, v1, s15
	s_delay_alu instid0(VALU_DEP_1) | instskip(SKIP_1) | instid1(VALU_DEP_4)
	v_add_co_ci_u32_e64 v2, s3, 0, v2, s3
	v_add_co_u32 v3, s3, v3, s10
	s_or_b32 s2, vcc_lo, s2
	v_add_co_ci_u32_e64 v4, s3, 0, v4, s3
	s_and_b32 s2, exec_lo, s2
	s_delay_alu instid0(SALU_CYCLE_1)
	s_or_b32 s11, s2, s11
	s_waitcnt vmcnt(1)
	v_xor_b32_e32 v16, v7, v8
	v_xor_b32_e32 v18, v9, v10
	s_waitcnt vmcnt(0)
	v_xor_b32_e32 v20, v11, v12
	v_xor_b32_e32 v22, v13, v14
	v_cls_i32_e32 v15, v8
	v_cls_i32_e32 v17, v10
	;; [unrolled: 1-line block ×4, first 2 shown]
	v_ashrrev_i32_e32 v16, 31, v16
	v_ashrrev_i32_e32 v18, 31, v18
	;; [unrolled: 1-line block ×4, first 2 shown]
	v_add_nc_u32_e32 v15, -1, v15
	v_add_nc_u32_e32 v17, -1, v17
	;; [unrolled: 1-line block ×4, first 2 shown]
	v_add_nc_u32_e32 v16, 32, v16
	v_add_nc_u32_e32 v18, 32, v18
	;; [unrolled: 1-line block ×4, first 2 shown]
	s_delay_alu instid0(VALU_DEP_4) | instskip(NEXT) | instid1(VALU_DEP_4)
	v_min_u32_e32 v15, v15, v16
	v_min_u32_e32 v16, v17, v18
	s_delay_alu instid0(VALU_DEP_4) | instskip(NEXT) | instid1(VALU_DEP_4)
	v_min_u32_e32 v17, v19, v20
	v_min_u32_e32 v18, v21, v22
	s_delay_alu instid0(VALU_DEP_4) | instskip(NEXT) | instid1(VALU_DEP_4)
	v_lshlrev_b64 v[7:8], v15, v[7:8]
	v_lshlrev_b64 v[9:10], v16, v[9:10]
	s_delay_alu instid0(VALU_DEP_4) | instskip(NEXT) | instid1(VALU_DEP_4)
	v_lshlrev_b64 v[11:12], v17, v[11:12]
	v_lshlrev_b64 v[13:14], v18, v[13:14]
	v_sub_nc_u32_e32 v15, 32, v15
	v_sub_nc_u32_e32 v16, 32, v16
	v_min_u32_e32 v7, 1, v7
	v_min_u32_e32 v9, 1, v9
	v_min_u32_e32 v11, 1, v11
	v_min_u32_e32 v13, 1, v13
	v_sub_nc_u32_e32 v17, 32, v17
	v_or_b32_e32 v7, v8, v7
	v_or_b32_e32 v8, v10, v9
	v_or_b32_e32 v9, v12, v11
	v_or_b32_e32 v10, v14, v13
	v_sub_nc_u32_e32 v18, 32, v18
	v_cvt_f32_i32_e32 v7, v7
	v_cvt_f32_i32_e32 v8, v8
	v_cvt_f32_i32_e32 v9, v9
	v_cvt_f32_i32_e32 v10, v10
	s_delay_alu instid0(VALU_DEP_4) | instskip(NEXT) | instid1(VALU_DEP_4)
	v_ldexp_f32 v7, v7, v15
	v_ldexp_f32 v8, v8, v16
	s_delay_alu instid0(VALU_DEP_4) | instskip(NEXT) | instid1(VALU_DEP_4)
	v_ldexp_f32 v9, v9, v17
	v_ldexp_f32 v10, v10, v18
	global_store_b128 v[5:6], v[7:10], off offset:-8
	v_add_co_u32 v5, vcc_lo, v5, s16
	v_add_co_ci_u32_e32 v6, vcc_lo, 0, v6, vcc_lo
	s_and_not1_b32 exec_lo, exec_lo, s11
	s_cbranch_execnz .LBB254_3
.LBB254_4:
	s_or_b32 exec_lo, exec_lo, s14
	s_mov_b32 s14, 0
.LBB254_5:
	s_delay_alu instid0(SALU_CYCLE_1)
	s_and_not1_b32 vcc_lo, exec_lo, s14
	s_cbranch_vccnz .LBB254_25
; %bb.6:
	v_cmp_lt_i64_e64 s2, s[4:5], 1
	s_delay_alu instid0(VALU_DEP_1)
	s_and_b32 vcc_lo, exec_lo, s2
	s_cbranch_vccnz .LBB254_25
; %bb.7:
	s_load_b32 s0, s[0:1], 0xc5c
	v_cmp_gt_u64_e64 s1, 0x10000, s[4:5]
	v_dual_mov_b32 v2, 0 :: v_dual_lshlrev_b32 v5, 2, v0
	v_lshlrev_b32_e32 v1, 3, v0
                                        ; implicit-def: $vgpr9_vgpr10
                                        ; implicit-def: $vgpr11_vgpr12
                                        ; implicit-def: $vgpr13_vgpr14
                                        ; implicit-def: $vgpr15_vgpr16
	s_waitcnt lgkmcnt(0)
	s_and_b32 s0, s0, 0xffff
	s_delay_alu instid0(VALU_DEP_3)
	s_and_b32 s1, s1, exec_lo
	s_cselect_b32 s3, s5, 0
	s_cselect_b32 s2, s4, 0x10000
	s_lshl_b64 s[8:9], s[8:9], 18
	s_lshl_b32 s11, s0, 1
	s_lshl_b32 s1, s0, 2
	;; [unrolled: 1-line block ×3, first 2 shown]
	s_add_u32 s6, s6, s8
	s_addc_u32 s7, s7, s9
	v_add_co_u32 v5, s9, s6, v5
	s_delay_alu instid0(VALU_DEP_1) | instskip(SKIP_3) | instid1(VALU_DEP_2)
	v_add_co_ci_u32_e64 v6, null, s7, 0, s9
	v_add_co_u32 v26, s9, v0, s0
	s_mul_i32 s14, s0, 3
	v_mad_u64_u32 v[3:4], null, s0, 24, v[1:2]
	v_lshlrev_b32_e32 v7, 2, v26
	v_add_co_u32 v2, s8, s14, v0
	s_delay_alu instid0(VALU_DEP_1)
	v_add_co_ci_u32_e64 v25, null, 0, 0, s8
	s_lshl_b32 s8, s0, 4
	v_add_co_ci_u32_e64 v29, null, 0, 0, s9
	v_add_co_u32 v27, s14, s8, v1
	v_add_co_u32 v30, s9, s11, v0
	;; [unrolled: 1-line block ×3, first 2 shown]
	v_add_co_ci_u32_e64 v28, null, 0, 0, s14
	v_add_co_ci_u32_e64 v31, null, 0, 0, s9
	v_lshlrev_b32_e32 v32, 3, v26
	v_add_co_ci_u32_e64 v8, null, s7, 0, s6
	s_mul_i32 s9, s0, 12
	s_lshl_b32 s11, s0, 3
	s_mov_b64 s[6:7], 0
	s_branch .LBB254_9
.LBB254_8:                              ;   in Loop: Header=BB254_9 Depth=1
	s_or_b32 exec_lo, exec_lo, s0
	s_add_u32 s6, s6, s1
	s_addc_u32 s7, s7, 0
	v_add_co_u32 v5, vcc_lo, v5, s8
	v_cmp_ge_i64_e64 s0, s[6:7], s[4:5]
	v_cmp_lt_u64_e64 s14, 0xffff, s[6:7]
	v_add_co_ci_u32_e32 v6, vcc_lo, 0, v6, vcc_lo
	v_add_co_u32 v7, vcc_lo, v7, s8
	v_add_co_ci_u32_e32 v8, vcc_lo, 0, v8, vcc_lo
	s_delay_alu instid0(VALU_DEP_4)
	s_or_b32 s0, s0, s14
	s_add_u32 s12, s12, s10
	s_addc_u32 s13, s13, 0
	s_and_b32 vcc_lo, exec_lo, s0
	s_cbranch_vccnz .LBB254_25
.LBB254_9:                              ; =>This Inner Loop Header: Depth=1
	v_add_co_u32 v23, s0, v0, s6
	s_delay_alu instid0(VALU_DEP_1) | instskip(NEXT) | instid1(VALU_DEP_1)
	v_add_co_ci_u32_e64 v24, null, 0, s7, s0
	v_cmp_gt_i64_e32 vcc_lo, s[4:5], v[23:24]
	v_cmp_gt_u64_e64 s0, 0x10000, v[23:24]
	s_delay_alu instid0(VALU_DEP_1) | instskip(NEXT) | instid1(SALU_CYCLE_1)
	s_and_b32 s14, vcc_lo, s0
	s_and_saveexec_b32 s0, s14
	s_cbranch_execz .LBB254_11
; %bb.10:                               ;   in Loop: Header=BB254_9 Depth=1
	s_waitcnt vmcnt(0)
	v_add_co_u32 v15, s14, s12, v1
	s_delay_alu instid0(VALU_DEP_1)
	v_add_co_ci_u32_e64 v16, null, s13, 0, s14
	global_load_b64 v[15:16], v[15:16], off
.LBB254_11:                             ;   in Loop: Header=BB254_9 Depth=1
	s_or_b32 exec_lo, exec_lo, s0
	v_add_co_u32 v21, vcc_lo, v26, s6
	v_add_co_ci_u32_e32 v22, vcc_lo, s7, v29, vcc_lo
	s_delay_alu instid0(VALU_DEP_1) | instskip(SKIP_1) | instid1(VALU_DEP_1)
	v_cmp_gt_i64_e32 vcc_lo, s[4:5], v[21:22]
	v_cmp_gt_u64_e64 s0, 0x10000, v[21:22]
	s_and_b32 s14, vcc_lo, s0
	s_delay_alu instid0(SALU_CYCLE_1)
	s_and_saveexec_b32 s0, s14
	s_cbranch_execz .LBB254_13
; %bb.12:                               ;   in Loop: Header=BB254_9 Depth=1
	s_waitcnt vmcnt(0)
	v_add_co_u32 v13, s14, s12, v32
	s_delay_alu instid0(VALU_DEP_1)
	v_add_co_ci_u32_e64 v14, null, s13, 0, s14
	global_load_b64 v[13:14], v[13:14], off
.LBB254_13:                             ;   in Loop: Header=BB254_9 Depth=1
	s_or_b32 exec_lo, exec_lo, s0
	v_add_co_u32 v19, vcc_lo, v30, s6
	v_add_co_ci_u32_e32 v20, vcc_lo, s7, v31, vcc_lo
	s_delay_alu instid0(VALU_DEP_1) | instskip(SKIP_1) | instid1(VALU_DEP_1)
	v_cmp_gt_i64_e32 vcc_lo, s[4:5], v[19:20]
	v_cmp_gt_u64_e64 s0, 0x10000, v[19:20]
	s_and_b32 s14, vcc_lo, s0
	s_delay_alu instid0(SALU_CYCLE_1)
	s_and_saveexec_b32 s0, s14
	s_cbranch_execz .LBB254_15
; %bb.14:                               ;   in Loop: Header=BB254_9 Depth=1
	s_waitcnt vmcnt(0)
	v_add_co_u32 v11, vcc_lo, s12, v27
	v_add_co_ci_u32_e32 v12, vcc_lo, s13, v28, vcc_lo
	global_load_b64 v[11:12], v[11:12], off
.LBB254_15:                             ;   in Loop: Header=BB254_9 Depth=1
	s_or_b32 exec_lo, exec_lo, s0
	v_add_co_u32 v17, vcc_lo, v2, s6
	v_add_co_ci_u32_e32 v18, vcc_lo, s7, v25, vcc_lo
	s_delay_alu instid0(VALU_DEP_1) | instskip(SKIP_1) | instid1(VALU_DEP_1)
	v_cmp_gt_i64_e32 vcc_lo, s[4:5], v[17:18]
	v_cmp_gt_u64_e64 s0, 0x10000, v[17:18]
	s_and_b32 s14, vcc_lo, s0
	s_delay_alu instid0(SALU_CYCLE_1)
	s_and_saveexec_b32 s0, s14
	s_cbranch_execnz .LBB254_20
; %bb.16:                               ;   in Loop: Header=BB254_9 Depth=1
	s_or_b32 exec_lo, exec_lo, s0
	s_delay_alu instid0(SALU_CYCLE_1)
	s_mov_b32 s0, exec_lo
	v_cmpx_gt_u64_e64 s[2:3], v[23:24]
	s_cbranch_execnz .LBB254_21
.LBB254_17:                             ;   in Loop: Header=BB254_9 Depth=1
	s_or_b32 exec_lo, exec_lo, s0
	s_delay_alu instid0(SALU_CYCLE_1)
	s_mov_b32 s0, exec_lo
	v_cmpx_gt_u64_e64 s[2:3], v[21:22]
	s_cbranch_execnz .LBB254_22
.LBB254_18:                             ;   in Loop: Header=BB254_9 Depth=1
	s_or_b32 exec_lo, exec_lo, s0
	s_delay_alu instid0(SALU_CYCLE_1)
	s_mov_b32 s0, exec_lo
	v_cmpx_gt_u64_e64 s[2:3], v[19:20]
	s_cbranch_execnz .LBB254_23
.LBB254_19:                             ;   in Loop: Header=BB254_9 Depth=1
	s_or_b32 exec_lo, exec_lo, s0
	s_delay_alu instid0(SALU_CYCLE_1)
	s_mov_b32 s0, exec_lo
	v_cmpx_gt_u64_e64 s[2:3], v[17:18]
	s_cbranch_execz .LBB254_8
	s_branch .LBB254_24
.LBB254_20:                             ;   in Loop: Header=BB254_9 Depth=1
	s_waitcnt vmcnt(0)
	v_add_co_u32 v9, vcc_lo, s12, v3
	v_add_co_ci_u32_e32 v10, vcc_lo, s13, v4, vcc_lo
	global_load_b64 v[9:10], v[9:10], off
	s_or_b32 exec_lo, exec_lo, s0
	s_delay_alu instid0(SALU_CYCLE_1)
	s_mov_b32 s0, exec_lo
	v_cmpx_gt_u64_e64 s[2:3], v[23:24]
	s_cbranch_execz .LBB254_17
.LBB254_21:                             ;   in Loop: Header=BB254_9 Depth=1
	s_waitcnt vmcnt(0)
	v_xor_b32_e32 v23, v15, v16
	v_cls_i32_e32 v24, v16
	s_delay_alu instid0(VALU_DEP_2) | instskip(NEXT) | instid1(VALU_DEP_2)
	v_ashrrev_i32_e32 v23, 31, v23
	v_add_nc_u32_e32 v24, -1, v24
	s_delay_alu instid0(VALU_DEP_2) | instskip(NEXT) | instid1(VALU_DEP_1)
	v_add_nc_u32_e32 v23, 32, v23
	v_min_u32_e32 v33, v24, v23
	s_delay_alu instid0(VALU_DEP_1) | instskip(NEXT) | instid1(VALU_DEP_1)
	v_lshlrev_b64 v[23:24], v33, v[15:16]
	v_min_u32_e32 v23, 1, v23
	s_delay_alu instid0(VALU_DEP_1) | instskip(SKIP_1) | instid1(VALU_DEP_2)
	v_or_b32_e32 v23, v24, v23
	v_sub_nc_u32_e32 v24, 32, v33
	v_cvt_f32_i32_e32 v23, v23
	s_delay_alu instid0(VALU_DEP_1) | instskip(SKIP_2) | instid1(SALU_CYCLE_1)
	v_ldexp_f32 v23, v23, v24
	global_store_b32 v[5:6], v23, off
	s_or_b32 exec_lo, exec_lo, s0
	s_mov_b32 s0, exec_lo
	v_cmpx_gt_u64_e64 s[2:3], v[21:22]
	s_cbranch_execz .LBB254_18
.LBB254_22:                             ;   in Loop: Header=BB254_9 Depth=1
	s_waitcnt vmcnt(0)
	v_xor_b32_e32 v21, v13, v14
	v_cls_i32_e32 v22, v14
	s_delay_alu instid0(VALU_DEP_2) | instskip(NEXT) | instid1(VALU_DEP_2)
	v_ashrrev_i32_e32 v21, 31, v21
	v_add_nc_u32_e32 v22, -1, v22
	s_delay_alu instid0(VALU_DEP_2) | instskip(NEXT) | instid1(VALU_DEP_1)
	v_add_nc_u32_e32 v21, 32, v21
	v_min_u32_e32 v23, v22, v21
	s_delay_alu instid0(VALU_DEP_1) | instskip(NEXT) | instid1(VALU_DEP_1)
	v_lshlrev_b64 v[21:22], v23, v[13:14]
	v_min_u32_e32 v21, 1, v21
	s_delay_alu instid0(VALU_DEP_1) | instskip(SKIP_1) | instid1(VALU_DEP_2)
	v_or_b32_e32 v21, v22, v21
	v_sub_nc_u32_e32 v22, 32, v23
	v_cvt_f32_i32_e32 v21, v21
	s_delay_alu instid0(VALU_DEP_1) | instskip(SKIP_2) | instid1(SALU_CYCLE_1)
	v_ldexp_f32 v21, v21, v22
	global_store_b32 v[7:8], v21, off
	s_or_b32 exec_lo, exec_lo, s0
	s_mov_b32 s0, exec_lo
	v_cmpx_gt_u64_e64 s[2:3], v[19:20]
	s_cbranch_execz .LBB254_19
.LBB254_23:                             ;   in Loop: Header=BB254_9 Depth=1
	s_waitcnt vmcnt(0)
	v_xor_b32_e32 v19, v11, v12
	v_cls_i32_e32 v20, v12
	s_delay_alu instid0(VALU_DEP_2) | instskip(NEXT) | instid1(VALU_DEP_2)
	v_ashrrev_i32_e32 v19, 31, v19
	v_add_nc_u32_e32 v20, -1, v20
	s_delay_alu instid0(VALU_DEP_2) | instskip(NEXT) | instid1(VALU_DEP_1)
	v_add_nc_u32_e32 v19, 32, v19
	v_min_u32_e32 v21, v20, v19
	s_delay_alu instid0(VALU_DEP_1) | instskip(NEXT) | instid1(VALU_DEP_1)
	v_lshlrev_b64 v[19:20], v21, v[11:12]
	v_min_u32_e32 v19, 1, v19
	s_delay_alu instid0(VALU_DEP_1) | instskip(SKIP_1) | instid1(VALU_DEP_2)
	v_or_b32_e32 v19, v20, v19
	v_sub_nc_u32_e32 v20, 32, v21
	v_cvt_f32_i32_e32 v19, v19
	s_delay_alu instid0(VALU_DEP_1) | instskip(SKIP_4) | instid1(SALU_CYCLE_1)
	v_ldexp_f32 v21, v19, v20
	v_add_co_u32 v19, vcc_lo, v5, s11
	v_add_co_ci_u32_e32 v20, vcc_lo, 0, v6, vcc_lo
	global_store_b32 v[19:20], v21, off
	s_or_b32 exec_lo, exec_lo, s0
	s_mov_b32 s0, exec_lo
	v_cmpx_gt_u64_e64 s[2:3], v[17:18]
	s_cbranch_execz .LBB254_8
.LBB254_24:                             ;   in Loop: Header=BB254_9 Depth=1
	s_waitcnt vmcnt(0)
	v_xor_b32_e32 v17, v9, v10
	v_cls_i32_e32 v18, v10
	s_delay_alu instid0(VALU_DEP_2) | instskip(NEXT) | instid1(VALU_DEP_2)
	v_ashrrev_i32_e32 v17, 31, v17
	v_add_nc_u32_e32 v18, -1, v18
	s_delay_alu instid0(VALU_DEP_2) | instskip(NEXT) | instid1(VALU_DEP_1)
	v_add_nc_u32_e32 v17, 32, v17
	v_min_u32_e32 v19, v18, v17
	s_delay_alu instid0(VALU_DEP_1) | instskip(NEXT) | instid1(VALU_DEP_1)
	v_lshlrev_b64 v[17:18], v19, v[9:10]
	v_min_u32_e32 v17, 1, v17
	s_delay_alu instid0(VALU_DEP_1) | instskip(SKIP_1) | instid1(VALU_DEP_2)
	v_or_b32_e32 v17, v18, v17
	v_sub_nc_u32_e32 v18, 32, v19
	v_cvt_f32_i32_e32 v17, v17
	s_delay_alu instid0(VALU_DEP_1)
	v_ldexp_f32 v19, v17, v18
	v_add_co_u32 v17, vcc_lo, v5, s9
	v_add_co_ci_u32_e32 v18, vcc_lo, 0, v6, vcc_lo
	global_store_b32 v[17:18], v19, off
	s_branch .LBB254_8
.LBB254_25:
	s_nop 0
	s_sendmsg sendmsg(MSG_DEALLOC_VGPRS)
	s_endpgm
	.section	.rodata,"a",@progbits
	.p2align	6, 0x0
	.amdhsa_kernel _ZN2at6native12_GLOBAL__N_125multi_tensor_apply_kernelINS1_18TensorListMetadataILi2EEENS1_11CopyFunctorIflLi2ELi1ELi1EEEJNS0_4CopyIflEEEEEvT_T0_DpT1_
		.amdhsa_group_segment_fixed_size 0
		.amdhsa_private_segment_fixed_size 0
		.amdhsa_kernarg_size 3408
		.amdhsa_user_sgpr_count 15
		.amdhsa_user_sgpr_dispatch_ptr 0
		.amdhsa_user_sgpr_queue_ptr 0
		.amdhsa_user_sgpr_kernarg_segment_ptr 1
		.amdhsa_user_sgpr_dispatch_id 0
		.amdhsa_user_sgpr_private_segment_size 0
		.amdhsa_wavefront_size32 1
		.amdhsa_uses_dynamic_stack 0
		.amdhsa_enable_private_segment 0
		.amdhsa_system_sgpr_workgroup_id_x 1
		.amdhsa_system_sgpr_workgroup_id_y 0
		.amdhsa_system_sgpr_workgroup_id_z 0
		.amdhsa_system_sgpr_workgroup_info 0
		.amdhsa_system_vgpr_workitem_id 0
		.amdhsa_next_free_vgpr 34
		.amdhsa_next_free_sgpr 20
		.amdhsa_reserve_vcc 1
		.amdhsa_float_round_mode_32 0
		.amdhsa_float_round_mode_16_64 0
		.amdhsa_float_denorm_mode_32 3
		.amdhsa_float_denorm_mode_16_64 3
		.amdhsa_dx10_clamp 1
		.amdhsa_ieee_mode 1
		.amdhsa_fp16_overflow 0
		.amdhsa_workgroup_processor_mode 1
		.amdhsa_memory_ordered 1
		.amdhsa_forward_progress 0
		.amdhsa_shared_vgpr_count 0
		.amdhsa_exception_fp_ieee_invalid_op 0
		.amdhsa_exception_fp_denorm_src 0
		.amdhsa_exception_fp_ieee_div_zero 0
		.amdhsa_exception_fp_ieee_overflow 0
		.amdhsa_exception_fp_ieee_underflow 0
		.amdhsa_exception_fp_ieee_inexact 0
		.amdhsa_exception_int_div_zero 0
	.end_amdhsa_kernel
	.section	.text._ZN2at6native12_GLOBAL__N_125multi_tensor_apply_kernelINS1_18TensorListMetadataILi2EEENS1_11CopyFunctorIflLi2ELi1ELi1EEEJNS0_4CopyIflEEEEEvT_T0_DpT1_,"axG",@progbits,_ZN2at6native12_GLOBAL__N_125multi_tensor_apply_kernelINS1_18TensorListMetadataILi2EEENS1_11CopyFunctorIflLi2ELi1ELi1EEEJNS0_4CopyIflEEEEEvT_T0_DpT1_,comdat
.Lfunc_end254:
	.size	_ZN2at6native12_GLOBAL__N_125multi_tensor_apply_kernelINS1_18TensorListMetadataILi2EEENS1_11CopyFunctorIflLi2ELi1ELi1EEEJNS0_4CopyIflEEEEEvT_T0_DpT1_, .Lfunc_end254-_ZN2at6native12_GLOBAL__N_125multi_tensor_apply_kernelINS1_18TensorListMetadataILi2EEENS1_11CopyFunctorIflLi2ELi1ELi1EEEJNS0_4CopyIflEEEEEvT_T0_DpT1_
                                        ; -- End function
	.section	.AMDGPU.csdata,"",@progbits
; Kernel info:
; codeLenInByte = 1940
; NumSgprs: 22
; NumVgprs: 34
; ScratchSize: 0
; MemoryBound: 0
; FloatMode: 240
; IeeeMode: 1
; LDSByteSize: 0 bytes/workgroup (compile time only)
; SGPRBlocks: 2
; VGPRBlocks: 4
; NumSGPRsForWavesPerEU: 22
; NumVGPRsForWavesPerEU: 34
; Occupancy: 16
; WaveLimiterHint : 0
; COMPUTE_PGM_RSRC2:SCRATCH_EN: 0
; COMPUTE_PGM_RSRC2:USER_SGPR: 15
; COMPUTE_PGM_RSRC2:TRAP_HANDLER: 0
; COMPUTE_PGM_RSRC2:TGID_X_EN: 1
; COMPUTE_PGM_RSRC2:TGID_Y_EN: 0
; COMPUTE_PGM_RSRC2:TGID_Z_EN: 0
; COMPUTE_PGM_RSRC2:TIDIG_COMP_CNT: 0
	.section	.text._ZN2at6native12_GLOBAL__N_125multi_tensor_apply_kernelINS1_18TensorListMetadataILi2EEENS1_11CopyFunctorIfsLi2ELi1ELi1EEEJNS0_4CopyIfsEEEEEvT_T0_DpT1_,"axG",@progbits,_ZN2at6native12_GLOBAL__N_125multi_tensor_apply_kernelINS1_18TensorListMetadataILi2EEENS1_11CopyFunctorIfsLi2ELi1ELi1EEEJNS0_4CopyIfsEEEEEvT_T0_DpT1_,comdat
	.globl	_ZN2at6native12_GLOBAL__N_125multi_tensor_apply_kernelINS1_18TensorListMetadataILi2EEENS1_11CopyFunctorIfsLi2ELi1ELi1EEEJNS0_4CopyIfsEEEEEvT_T0_DpT1_ ; -- Begin function _ZN2at6native12_GLOBAL__N_125multi_tensor_apply_kernelINS1_18TensorListMetadataILi2EEENS1_11CopyFunctorIfsLi2ELi1ELi1EEEJNS0_4CopyIfsEEEEEvT_T0_DpT1_
	.p2align	8
	.type	_ZN2at6native12_GLOBAL__N_125multi_tensor_apply_kernelINS1_18TensorListMetadataILi2EEENS1_11CopyFunctorIfsLi2ELi1ELi1EEEJNS0_4CopyIfsEEEEEvT_T0_DpT1_,@function
_ZN2at6native12_GLOBAL__N_125multi_tensor_apply_kernelINS1_18TensorListMetadataILi2EEENS1_11CopyFunctorIfsLi2ELi1ELi1EEEJNS0_4CopyIfsEEEEEvT_T0_DpT1_: ; @_ZN2at6native12_GLOBAL__N_125multi_tensor_apply_kernelINS1_18TensorListMetadataILi2EEENS1_11CopyFunctorIfsLi2ELi1ELi1EEEJNS0_4CopyIfsEEEEEvT_T0_DpT1_
; %bb.0:
	v_mov_b32_e32 v1, s15
	s_add_u32 s2, s0, s15
	s_mul_hi_u32 s3, s15, 3
	s_mul_i32 s15, s15, 3
	s_addc_u32 s4, s1, 0
	global_load_u8 v1, v1, s[0:1] offset:1536
	s_add_u32 s2, s2, s15
	s_addc_u32 s3, s4, s3
	s_mov_b32 s15, 0
	s_load_b32 s8, s[2:3], 0x740
	s_waitcnt lgkmcnt(0)
	s_ashr_i32 s9, s8, 31
	s_delay_alu instid0(SALU_CYCLE_1) | instskip(SKIP_3) | instid1(VALU_DEP_1)
	s_lshl_b64 s[10:11], s[8:9], 17
	s_lshl_b64 s[16:17], s[8:9], 16
	s_waitcnt vmcnt(0)
	v_readfirstlane_b32 s5, v1
	s_lshl_b32 s4, s5, 3
	s_clause 0x2
	s_load_b64 s[2:3], s[0:1], s4 offset:0x0
	s_load_b64 s[6:7], s[0:1], s4 offset:0x200
	;; [unrolled: 1-line block ×3, first 2 shown]
	s_waitcnt lgkmcnt(0)
	s_add_u32 s12, s2, s10
	s_addc_u32 s13, s3, s11
	s_and_b32 s18, s6, 15
	s_and_b32 s19, s4, 3
	;; [unrolled: 1-line block ×3, first 2 shown]
	s_or_b32 s18, s19, s18
	s_mov_b32 s19, s15
	s_delay_alu instid0(SALU_CYCLE_1)
	s_or_b64 s[14:15], s[14:15], s[18:19]
	s_sub_u32 s4, s4, s16
	s_subb_u32 s5, s5, s17
	s_cmp_eq_u64 s[14:15], 0
	s_mov_b32 s14, -1
	s_cbranch_scc0 .LBB255_5
; %bb.1:
	v_dual_mov_b32 v2, 0 :: v_dual_lshlrev_b32 v1, 2, v0
	s_mov_b32 s14, exec_lo
	s_delay_alu instid0(VALU_DEP_1)
	v_cmpx_gt_i64_e64 s[4:5], v[1:2]
	s_cbranch_execz .LBB255_4
; %bb.2:
	s_load_b32 s15, s[0:1], 0xc5c
	v_lshlrev_b32_e32 v4, 4, v0
	v_lshlrev_b32_e32 v3, 3, v0
	s_waitcnt lgkmcnt(0)
	s_and_b32 s16, s15, 0xffff
	s_add_u32 s15, s2, s10
	s_addc_u32 s17, s3, s11
	s_lshl_b64 s[2:3], s[8:9], 18
	s_lshl_b32 s10, s16, 3
	s_lshl_b32 s11, s16, 2
	s_add_u32 s2, s6, s2
	s_addc_u32 s3, s7, s3
	v_add_co_u32 v5, s2, s2, v4
	s_delay_alu instid0(VALU_DEP_1) | instskip(SKIP_1) | instid1(VALU_DEP_3)
	v_add_co_ci_u32_e64 v6, null, s3, 0, s2
	v_add_co_u32 v3, s2, s15, v3
	v_add_co_u32 v5, vcc_lo, v5, 8
	v_add_lshl_u32 v1, v0, s16, 2
	v_add_co_ci_u32_e64 v4, null, s17, 0, s2
	v_add_co_ci_u32_e32 v6, vcc_lo, 0, v6, vcc_lo
	s_mov_b32 s15, 0
	s_lshl_b32 s16, s16, 4
	s_set_inst_prefetch_distance 0x1
	.p2align	6
.LBB255_3:                              ; =>This Inner Loop Header: Depth=1
	global_load_b64 v[7:8], v[3:4], off
	v_cmp_le_i64_e32 vcc_lo, s[4:5], v[1:2]
	v_cmp_lt_u64_e64 s2, 0xffff, v[1:2]
	v_add_co_u32 v3, s3, v3, s10
	s_delay_alu instid0(VALU_DEP_1) | instskip(SKIP_1) | instid1(VALU_DEP_4)
	v_add_co_ci_u32_e64 v4, s3, 0, v4, s3
	v_add_co_u32 v1, s3, v1, s11
	s_or_b32 s2, vcc_lo, s2
	v_add_co_ci_u32_e64 v2, s3, 0, v2, s3
	s_and_b32 s2, exec_lo, s2
	s_delay_alu instid0(SALU_CYCLE_1)
	s_or_b32 s15, s2, s15
	s_waitcnt vmcnt(0)
	v_bfe_i32 v9, v7, 0, 16
	v_ashrrev_i32_e32 v10, 16, v7
	v_bfe_i32 v11, v8, 0, 16
	v_ashrrev_i32_e32 v12, 16, v8
	s_delay_alu instid0(VALU_DEP_4) | instskip(NEXT) | instid1(VALU_DEP_4)
	v_cvt_f32_i32_e32 v7, v9
	v_cvt_f32_i32_e32 v8, v10
	s_delay_alu instid0(VALU_DEP_4) | instskip(NEXT) | instid1(VALU_DEP_4)
	v_cvt_f32_i32_e32 v9, v11
	v_cvt_f32_i32_e32 v10, v12
	global_store_b128 v[5:6], v[7:10], off offset:-8
	v_add_co_u32 v5, vcc_lo, v5, s16
	v_add_co_ci_u32_e32 v6, vcc_lo, 0, v6, vcc_lo
	s_and_not1_b32 exec_lo, exec_lo, s15
	s_cbranch_execnz .LBB255_3
.LBB255_4:
	s_set_inst_prefetch_distance 0x2
	s_or_b32 exec_lo, exec_lo, s14
	s_mov_b32 s14, 0
.LBB255_5:
	s_delay_alu instid0(SALU_CYCLE_1)
	s_and_not1_b32 vcc_lo, exec_lo, s14
	s_cbranch_vccnz .LBB255_25
; %bb.6:
	v_cmp_lt_i64_e64 s2, s[4:5], 1
	s_delay_alu instid0(VALU_DEP_1)
	s_and_b32 vcc_lo, exec_lo, s2
	s_cbranch_vccnz .LBB255_25
; %bb.7:
	s_load_b32 s0, s[0:1], 0xc5c
	v_cmp_gt_u64_e64 s1, 0x10000, s[4:5]
	v_dual_mov_b32 v2, 0 :: v_dual_lshlrev_b32 v1, 1, v0
	v_lshlrev_b32_e32 v5, 2, v0
                                        ; implicit-def: $vgpr9_vgpr10
	s_waitcnt lgkmcnt(0)
	s_and_b32 s0, s0, 0xffff
	s_delay_alu instid0(VALU_DEP_3)
	s_and_b32 s1, s1, exec_lo
	v_mad_u64_u32 v[3:4], null, s0, 6, v[1:2]
	v_add_co_u32 v2, s15, v0, s0
	s_cselect_b32 s3, s5, 0
	s_cselect_b32 s2, s4, 0x10000
	s_mul_i32 s14, s0, 3
	s_lshl_b64 s[8:9], s[8:9], 18
	s_lshl_b32 s11, s0, 1
	s_lshl_b32 s1, s0, 2
	;; [unrolled: 1-line block ×3, first 2 shown]
	s_add_u32 s6, s6, s8
	v_add_co_u32 v19, s8, s14, v0
	v_lshlrev_b32_e32 v7, 2, v2
	v_add_co_ci_u32_e64 v20, null, 0, 0, s8
	s_addc_u32 s7, s7, s9
	v_add_co_u32 v5, s8, s6, v5
	s_delay_alu instid0(VALU_DEP_1) | instskip(SKIP_1) | instid1(VALU_DEP_1)
	v_add_co_ci_u32_e64 v6, null, s7, 0, s8
	v_add_co_u32 v21, s8, s1, v1
	v_add_co_ci_u32_e64 v22, null, 0, 0, s8
	v_add_co_u32 v24, s8, s11, v0
	v_add_co_u32 v7, s6, s6, v7
	v_add_co_ci_u32_e64 v23, null, 0, 0, s15
	v_add_co_ci_u32_e64 v25, null, 0, 0, s8
	v_lshlrev_b32_e32 v26, 1, v2
	v_add_co_ci_u32_e64 v8, null, s7, 0, s6
	s_lshl_b32 s8, s0, 4
	s_mul_i32 s9, s0, 12
	s_mov_b64 s[6:7], 0
	s_branch .LBB255_9
.LBB255_8:                              ;   in Loop: Header=BB255_9 Depth=1
	s_or_b32 exec_lo, exec_lo, s0
	s_add_u32 s6, s6, s1
	s_addc_u32 s7, s7, 0
	v_add_co_u32 v5, vcc_lo, v5, s8
	v_cmp_ge_i64_e64 s0, s[6:7], s[4:5]
	v_cmp_lt_u64_e64 s11, 0xffff, s[6:7]
	v_add_co_ci_u32_e32 v6, vcc_lo, 0, v6, vcc_lo
	v_add_co_u32 v7, vcc_lo, v7, s8
	v_add_co_ci_u32_e32 v8, vcc_lo, 0, v8, vcc_lo
	s_delay_alu instid0(VALU_DEP_4)
	s_or_b32 s0, s0, s11
	s_add_u32 s12, s12, s10
	s_addc_u32 s13, s13, 0
	s_and_b32 vcc_lo, exec_lo, s0
	s_cbranch_vccnz .LBB255_25
.LBB255_9:                              ; =>This Inner Loop Header: Depth=1
	v_add_co_u32 v11, s0, v0, s6
	s_delay_alu instid0(VALU_DEP_1) | instskip(NEXT) | instid1(VALU_DEP_1)
	v_add_co_ci_u32_e64 v12, null, 0, s7, s0
	v_cmp_gt_i64_e32 vcc_lo, s[4:5], v[11:12]
	v_cmp_gt_u64_e64 s0, 0x10000, v[11:12]
	s_delay_alu instid0(VALU_DEP_1) | instskip(NEXT) | instid1(SALU_CYCLE_1)
	s_and_b32 s11, vcc_lo, s0
	s_and_saveexec_b32 s0, s11
	s_cbranch_execz .LBB255_11
; %bb.10:                               ;   in Loop: Header=BB255_9 Depth=1
	v_add_co_u32 v13, s11, s12, v1
	s_delay_alu instid0(VALU_DEP_1)
	v_add_co_ci_u32_e64 v14, null, s13, 0, s11
	global_load_d16_b16 v9, v[13:14], off
.LBB255_11:                             ;   in Loop: Header=BB255_9 Depth=1
	s_or_b32 exec_lo, exec_lo, s0
	v_add_co_u32 v13, vcc_lo, v2, s6
	v_add_co_ci_u32_e32 v14, vcc_lo, s7, v23, vcc_lo
	s_delay_alu instid0(VALU_DEP_1) | instskip(SKIP_1) | instid1(VALU_DEP_1)
	v_cmp_gt_i64_e32 vcc_lo, s[4:5], v[13:14]
	v_cmp_gt_u64_e64 s0, 0x10000, v[13:14]
	s_and_b32 s11, vcc_lo, s0
	s_delay_alu instid0(SALU_CYCLE_1)
	s_and_saveexec_b32 s0, s11
	s_cbranch_execz .LBB255_13
; %bb.12:                               ;   in Loop: Header=BB255_9 Depth=1
	v_add_co_u32 v15, s11, s12, v26
	s_delay_alu instid0(VALU_DEP_1)
	v_add_co_ci_u32_e64 v16, null, s13, 0, s11
	global_load_d16_hi_b16 v9, v[15:16], off
.LBB255_13:                             ;   in Loop: Header=BB255_9 Depth=1
	s_or_b32 exec_lo, exec_lo, s0
	v_add_co_u32 v15, vcc_lo, v24, s6
	v_add_co_ci_u32_e32 v16, vcc_lo, s7, v25, vcc_lo
	s_delay_alu instid0(VALU_DEP_1) | instskip(SKIP_1) | instid1(VALU_DEP_1)
	v_cmp_gt_i64_e32 vcc_lo, s[4:5], v[15:16]
	v_cmp_gt_u64_e64 s0, 0x10000, v[15:16]
	s_and_b32 s11, vcc_lo, s0
	s_delay_alu instid0(SALU_CYCLE_1)
	s_and_saveexec_b32 s0, s11
	s_cbranch_execz .LBB255_15
; %bb.14:                               ;   in Loop: Header=BB255_9 Depth=1
	v_add_co_u32 v17, vcc_lo, s12, v21
	v_add_co_ci_u32_e32 v18, vcc_lo, s13, v22, vcc_lo
	global_load_d16_b16 v10, v[17:18], off
.LBB255_15:                             ;   in Loop: Header=BB255_9 Depth=1
	s_or_b32 exec_lo, exec_lo, s0
	v_add_co_u32 v17, vcc_lo, v19, s6
	v_add_co_ci_u32_e32 v18, vcc_lo, s7, v20, vcc_lo
	s_delay_alu instid0(VALU_DEP_1) | instskip(SKIP_1) | instid1(VALU_DEP_1)
	v_cmp_gt_i64_e32 vcc_lo, s[4:5], v[17:18]
	v_cmp_gt_u64_e64 s0, 0x10000, v[17:18]
	s_and_b32 s11, vcc_lo, s0
	s_delay_alu instid0(SALU_CYCLE_1)
	s_and_saveexec_b32 s0, s11
	s_cbranch_execnz .LBB255_20
; %bb.16:                               ;   in Loop: Header=BB255_9 Depth=1
	s_or_b32 exec_lo, exec_lo, s0
	s_delay_alu instid0(SALU_CYCLE_1)
	s_mov_b32 s0, exec_lo
	v_cmpx_gt_u64_e64 s[2:3], v[11:12]
	s_cbranch_execnz .LBB255_21
.LBB255_17:                             ;   in Loop: Header=BB255_9 Depth=1
	s_or_b32 exec_lo, exec_lo, s0
	s_delay_alu instid0(SALU_CYCLE_1)
	s_mov_b32 s0, exec_lo
	v_cmpx_gt_u64_e64 s[2:3], v[13:14]
	s_cbranch_execnz .LBB255_22
.LBB255_18:                             ;   in Loop: Header=BB255_9 Depth=1
	s_or_b32 exec_lo, exec_lo, s0
	s_delay_alu instid0(SALU_CYCLE_1)
	s_mov_b32 s0, exec_lo
	v_cmpx_gt_u64_e64 s[2:3], v[15:16]
	s_cbranch_execnz .LBB255_23
.LBB255_19:                             ;   in Loop: Header=BB255_9 Depth=1
	s_or_b32 exec_lo, exec_lo, s0
	s_delay_alu instid0(SALU_CYCLE_1)
	s_mov_b32 s0, exec_lo
	v_cmpx_gt_u64_e64 s[2:3], v[17:18]
	s_cbranch_execz .LBB255_8
	s_branch .LBB255_24
.LBB255_20:                             ;   in Loop: Header=BB255_9 Depth=1
	v_add_co_u32 v27, vcc_lo, s12, v3
	v_add_co_ci_u32_e32 v28, vcc_lo, s13, v4, vcc_lo
	global_load_d16_hi_b16 v10, v[27:28], off
	s_or_b32 exec_lo, exec_lo, s0
	s_delay_alu instid0(SALU_CYCLE_1)
	s_mov_b32 s0, exec_lo
	v_cmpx_gt_u64_e64 s[2:3], v[11:12]
	s_cbranch_execz .LBB255_17
.LBB255_21:                             ;   in Loop: Header=BB255_9 Depth=1
	s_waitcnt vmcnt(0)
	v_bfe_i32 v11, v9, 0, 16
	s_delay_alu instid0(VALU_DEP_1) | instskip(SKIP_2) | instid1(SALU_CYCLE_1)
	v_cvt_f32_i32_e32 v11, v11
	global_store_b32 v[5:6], v11, off
	s_or_b32 exec_lo, exec_lo, s0
	s_mov_b32 s0, exec_lo
	v_cmpx_gt_u64_e64 s[2:3], v[13:14]
	s_cbranch_execz .LBB255_18
.LBB255_22:                             ;   in Loop: Header=BB255_9 Depth=1
	s_waitcnt vmcnt(0)
	v_ashrrev_i32_e32 v11, 16, v9
	s_delay_alu instid0(VALU_DEP_1) | instskip(SKIP_2) | instid1(SALU_CYCLE_1)
	v_cvt_f32_i32_e32 v11, v11
	global_store_b32 v[7:8], v11, off
	s_or_b32 exec_lo, exec_lo, s0
	s_mov_b32 s0, exec_lo
	v_cmpx_gt_u64_e64 s[2:3], v[15:16]
	s_cbranch_execz .LBB255_19
.LBB255_23:                             ;   in Loop: Header=BB255_9 Depth=1
	s_waitcnt vmcnt(0)
	v_bfe_i32 v11, v10, 0, 16
	s_delay_alu instid0(VALU_DEP_1) | instskip(SKIP_4) | instid1(SALU_CYCLE_1)
	v_cvt_f32_i32_e32 v13, v11
	v_add_co_u32 v11, vcc_lo, v5, s10
	v_add_co_ci_u32_e32 v12, vcc_lo, 0, v6, vcc_lo
	global_store_b32 v[11:12], v13, off
	s_or_b32 exec_lo, exec_lo, s0
	s_mov_b32 s0, exec_lo
	v_cmpx_gt_u64_e64 s[2:3], v[17:18]
	s_cbranch_execz .LBB255_8
.LBB255_24:                             ;   in Loop: Header=BB255_9 Depth=1
	s_waitcnt vmcnt(0)
	v_ashrrev_i32_e32 v11, 16, v10
	s_delay_alu instid0(VALU_DEP_1)
	v_cvt_f32_i32_e32 v13, v11
	v_add_co_u32 v11, vcc_lo, v5, s9
	v_add_co_ci_u32_e32 v12, vcc_lo, 0, v6, vcc_lo
	global_store_b32 v[11:12], v13, off
	s_branch .LBB255_8
.LBB255_25:
	s_nop 0
	s_sendmsg sendmsg(MSG_DEALLOC_VGPRS)
	s_endpgm
	.section	.rodata,"a",@progbits
	.p2align	6, 0x0
	.amdhsa_kernel _ZN2at6native12_GLOBAL__N_125multi_tensor_apply_kernelINS1_18TensorListMetadataILi2EEENS1_11CopyFunctorIfsLi2ELi1ELi1EEEJNS0_4CopyIfsEEEEEvT_T0_DpT1_
		.amdhsa_group_segment_fixed_size 0
		.amdhsa_private_segment_fixed_size 0
		.amdhsa_kernarg_size 3408
		.amdhsa_user_sgpr_count 15
		.amdhsa_user_sgpr_dispatch_ptr 0
		.amdhsa_user_sgpr_queue_ptr 0
		.amdhsa_user_sgpr_kernarg_segment_ptr 1
		.amdhsa_user_sgpr_dispatch_id 0
		.amdhsa_user_sgpr_private_segment_size 0
		.amdhsa_wavefront_size32 1
		.amdhsa_uses_dynamic_stack 0
		.amdhsa_enable_private_segment 0
		.amdhsa_system_sgpr_workgroup_id_x 1
		.amdhsa_system_sgpr_workgroup_id_y 0
		.amdhsa_system_sgpr_workgroup_id_z 0
		.amdhsa_system_sgpr_workgroup_info 0
		.amdhsa_system_vgpr_workitem_id 0
		.amdhsa_next_free_vgpr 29
		.amdhsa_next_free_sgpr 20
		.amdhsa_reserve_vcc 1
		.amdhsa_float_round_mode_32 0
		.amdhsa_float_round_mode_16_64 0
		.amdhsa_float_denorm_mode_32 3
		.amdhsa_float_denorm_mode_16_64 3
		.amdhsa_dx10_clamp 1
		.amdhsa_ieee_mode 1
		.amdhsa_fp16_overflow 0
		.amdhsa_workgroup_processor_mode 1
		.amdhsa_memory_ordered 1
		.amdhsa_forward_progress 0
		.amdhsa_shared_vgpr_count 0
		.amdhsa_exception_fp_ieee_invalid_op 0
		.amdhsa_exception_fp_denorm_src 0
		.amdhsa_exception_fp_ieee_div_zero 0
		.amdhsa_exception_fp_ieee_overflow 0
		.amdhsa_exception_fp_ieee_underflow 0
		.amdhsa_exception_fp_ieee_inexact 0
		.amdhsa_exception_int_div_zero 0
	.end_amdhsa_kernel
	.section	.text._ZN2at6native12_GLOBAL__N_125multi_tensor_apply_kernelINS1_18TensorListMetadataILi2EEENS1_11CopyFunctorIfsLi2ELi1ELi1EEEJNS0_4CopyIfsEEEEEvT_T0_DpT1_,"axG",@progbits,_ZN2at6native12_GLOBAL__N_125multi_tensor_apply_kernelINS1_18TensorListMetadataILi2EEENS1_11CopyFunctorIfsLi2ELi1ELi1EEEJNS0_4CopyIfsEEEEEvT_T0_DpT1_,comdat
.Lfunc_end255:
	.size	_ZN2at6native12_GLOBAL__N_125multi_tensor_apply_kernelINS1_18TensorListMetadataILi2EEENS1_11CopyFunctorIfsLi2ELi1ELi1EEEJNS0_4CopyIfsEEEEEvT_T0_DpT1_, .Lfunc_end255-_ZN2at6native12_GLOBAL__N_125multi_tensor_apply_kernelINS1_18TensorListMetadataILi2EEENS1_11CopyFunctorIfsLi2ELi1ELi1EEEJNS0_4CopyIfsEEEEEvT_T0_DpT1_
                                        ; -- End function
	.section	.AMDGPU.csdata,"",@progbits
; Kernel info:
; codeLenInByte = 1456
; NumSgprs: 22
; NumVgprs: 29
; ScratchSize: 0
; MemoryBound: 0
; FloatMode: 240
; IeeeMode: 1
; LDSByteSize: 0 bytes/workgroup (compile time only)
; SGPRBlocks: 2
; VGPRBlocks: 3
; NumSGPRsForWavesPerEU: 22
; NumVGPRsForWavesPerEU: 29
; Occupancy: 16
; WaveLimiterHint : 0
; COMPUTE_PGM_RSRC2:SCRATCH_EN: 0
; COMPUTE_PGM_RSRC2:USER_SGPR: 15
; COMPUTE_PGM_RSRC2:TRAP_HANDLER: 0
; COMPUTE_PGM_RSRC2:TGID_X_EN: 1
; COMPUTE_PGM_RSRC2:TGID_Y_EN: 0
; COMPUTE_PGM_RSRC2:TGID_Z_EN: 0
; COMPUTE_PGM_RSRC2:TIDIG_COMP_CNT: 0
	.section	.text._ZN2at6native12_GLOBAL__N_125multi_tensor_apply_kernelINS1_18TensorListMetadataILi2EEENS1_11CopyFunctorIfiLi2ELi1ELi1EEEJNS0_4CopyIfiEEEEEvT_T0_DpT1_,"axG",@progbits,_ZN2at6native12_GLOBAL__N_125multi_tensor_apply_kernelINS1_18TensorListMetadataILi2EEENS1_11CopyFunctorIfiLi2ELi1ELi1EEEJNS0_4CopyIfiEEEEEvT_T0_DpT1_,comdat
	.globl	_ZN2at6native12_GLOBAL__N_125multi_tensor_apply_kernelINS1_18TensorListMetadataILi2EEENS1_11CopyFunctorIfiLi2ELi1ELi1EEEJNS0_4CopyIfiEEEEEvT_T0_DpT1_ ; -- Begin function _ZN2at6native12_GLOBAL__N_125multi_tensor_apply_kernelINS1_18TensorListMetadataILi2EEENS1_11CopyFunctorIfiLi2ELi1ELi1EEEJNS0_4CopyIfiEEEEEvT_T0_DpT1_
	.p2align	8
	.type	_ZN2at6native12_GLOBAL__N_125multi_tensor_apply_kernelINS1_18TensorListMetadataILi2EEENS1_11CopyFunctorIfiLi2ELi1ELi1EEEJNS0_4CopyIfiEEEEEvT_T0_DpT1_,@function
_ZN2at6native12_GLOBAL__N_125multi_tensor_apply_kernelINS1_18TensorListMetadataILi2EEENS1_11CopyFunctorIfiLi2ELi1ELi1EEEJNS0_4CopyIfiEEEEEvT_T0_DpT1_: ; @_ZN2at6native12_GLOBAL__N_125multi_tensor_apply_kernelINS1_18TensorListMetadataILi2EEENS1_11CopyFunctorIfiLi2ELi1ELi1EEEJNS0_4CopyIfiEEEEEvT_T0_DpT1_
; %bb.0:
	v_mov_b32_e32 v1, s15
	s_add_u32 s2, s0, s15
	s_mul_hi_u32 s3, s15, 3
	s_mul_i32 s15, s15, 3
	s_addc_u32 s4, s1, 0
	global_load_u8 v1, v1, s[0:1] offset:1536
	s_add_u32 s2, s2, s15
	s_addc_u32 s3, s4, s3
	s_mov_b32 s17, 0
	s_load_b32 s2, s[2:3], 0x740
	s_mov_b32 s19, s17
	s_mov_b32 s21, s17
	s_waitcnt vmcnt(0)
	v_readfirstlane_b32 s5, v1
	s_delay_alu instid0(VALU_DEP_1)
	s_lshl_b32 s3, s5, 3
	s_clause 0x2
	s_load_b64 s[10:11], s[0:1], s3 offset:0x0
	s_load_b64 s[12:13], s[0:1], s3 offset:0x200
	;; [unrolled: 1-line block ×3, first 2 shown]
	s_waitcnt lgkmcnt(0)
	s_ashr_i32 s3, s2, 31
	s_delay_alu instid0(SALU_CYCLE_1)
	s_lshl_b64 s[4:5], s[2:3], 18
	s_lshl_b64 s[2:3], s[2:3], 16
	s_add_u32 s8, s10, s4
	s_addc_u32 s9, s11, s5
	s_add_u32 s14, s12, s4
	s_addc_u32 s15, s13, s5
	s_and_b32 s20, s6, 3
	s_and_b32 s18, s14, 15
	s_and_b32 s16, s8, 15
	s_or_b64 s[18:19], s[18:19], s[20:21]
	s_delay_alu instid0(SALU_CYCLE_1)
	s_or_b64 s[16:17], s[16:17], s[18:19]
	s_sub_u32 s6, s6, s2
	s_subb_u32 s7, s7, s3
	s_cmp_eq_u64 s[16:17], 0
	s_mov_b32 s2, -1
	s_cbranch_scc0 .LBB256_5
; %bb.1:
	v_dual_mov_b32 v2, 0 :: v_dual_lshlrev_b32 v1, 2, v0
	s_mov_b32 s16, exec_lo
	s_delay_alu instid0(VALU_DEP_1)
	v_cmpx_gt_i64_e64 s[6:7], v[1:2]
	s_cbranch_execz .LBB256_4
; %bb.2:
	s_load_b32 s2, s[0:1], 0xc5c
	v_lshlrev_b32_e32 v3, 4, v0
	s_mov_b32 s17, 0
	s_waitcnt lgkmcnt(0)
	s_and_b32 s2, s2, 0xffff
	s_delay_alu instid0(SALU_CYCLE_1)
	v_add_lshl_u32 v1, v0, s2, 2
	s_lshl_b32 s18, s2, 2
	s_lshl_b32 s19, s2, 4
	s_set_inst_prefetch_distance 0x1
	.p2align	6
.LBB256_3:                              ; =>This Inner Loop Header: Depth=1
	v_add_co_u32 v4, s2, s8, v3
	s_delay_alu instid0(VALU_DEP_1)
	v_add_co_ci_u32_e64 v5, null, s9, 0, s2
	v_cmp_le_i64_e32 vcc_lo, s[6:7], v[1:2]
	v_cmp_lt_u64_e64 s2, 0xffff, v[1:2]
	v_add_co_u32 v8, s3, s14, v3
	global_load_b128 v[4:7], v[4:5], off
	v_add_co_ci_u32_e64 v9, null, s15, 0, s3
	s_or_b32 s2, vcc_lo, s2
	s_add_u32 s8, s8, s19
	v_add_co_u32 v1, s3, v1, s18
	s_addc_u32 s9, s9, 0
	s_add_u32 s14, s14, s19
	v_add_co_ci_u32_e64 v2, s3, 0, v2, s3
	s_addc_u32 s15, s15, 0
	s_and_b32 s2, exec_lo, s2
	s_delay_alu instid0(SALU_CYCLE_1)
	s_or_b32 s17, s2, s17
	s_waitcnt vmcnt(0)
	v_cvt_f32_i32_e32 v4, v4
	v_cvt_f32_i32_e32 v5, v5
	;; [unrolled: 1-line block ×4, first 2 shown]
	global_store_b128 v[8:9], v[4:7], off
	s_and_not1_b32 exec_lo, exec_lo, s17
	s_cbranch_execnz .LBB256_3
.LBB256_4:
	s_set_inst_prefetch_distance 0x2
	s_or_b32 exec_lo, exec_lo, s16
	s_mov_b32 s2, 0
.LBB256_5:
	s_delay_alu instid0(SALU_CYCLE_1)
	s_and_not1_b32 vcc_lo, exec_lo, s2
	s_cbranch_vccnz .LBB256_25
; %bb.6:
	v_cmp_lt_i64_e64 s2, s[6:7], 1
	s_delay_alu instid0(VALU_DEP_1)
	s_and_b32 vcc_lo, exec_lo, s2
	s_cbranch_vccnz .LBB256_25
; %bb.7:
	s_load_b32 s0, s[0:1], 0xc5c
	v_dual_mov_b32 v1, 0 :: v_dual_lshlrev_b32 v2, 2, v0
	v_cmp_gt_u64_e64 s2, 0x10000, s[6:7]
	s_mov_b32 s3, 0
                                        ; implicit-def: $vgpr24
                                        ; implicit-def: $vgpr25
                                        ; implicit-def: $vgpr26
                                        ; implicit-def: $vgpr27
	s_delay_alu instid0(VALU_DEP_2) | instskip(NEXT) | instid1(VALU_DEP_3)
	v_mov_b32_e32 v3, v1
	v_add_co_u32 v8, s1, s10, v2
	s_delay_alu instid0(VALU_DEP_1) | instskip(SKIP_1) | instid1(VALU_DEP_1)
	v_add_co_ci_u32_e64 v9, null, s11, 0, s1
	v_add_co_u32 v10, s1, s12, v2
	v_add_co_ci_u32_e64 v11, null, s13, 0, s1
	s_waitcnt lgkmcnt(0)
	s_and_b32 s1, s0, 0xffff
	s_and_b32 s0, s2, exec_lo
	v_mad_u64_u32 v[4:5], null, s1, 12, v[2:3]
	s_cselect_b32 s9, s7, 0
	s_cselect_b32 s8, s6, 0x10000
	s_lshl_b32 s0, s1, 3
	s_lshl_b32 s2, s1, 2
	v_add_co_u32 v2, s0, s0, v2
	s_delay_alu instid0(VALU_DEP_2) | instskip(NEXT) | instid1(VALU_DEP_3)
	v_add_co_u32 v12, vcc_lo, s10, v4
	v_add_co_ci_u32_e32 v13, vcc_lo, s11, v5, vcc_lo
	v_add_co_u32 v14, vcc_lo, s12, v4
	v_add_lshl_u32 v4, v0, s1, 2
	v_add_co_ci_u32_e64 v3, null, 0, 0, s0
	v_add_co_ci_u32_e32 v15, vcc_lo, s13, v5, vcc_lo
	v_add_co_u32 v16, vcc_lo, s10, v2
	s_delay_alu instid0(VALU_DEP_4) | instskip(NEXT) | instid1(VALU_DEP_4)
	v_add_co_u32 v20, s0, s10, v4
	v_add_co_ci_u32_e32 v17, vcc_lo, s11, v3, vcc_lo
	v_add_co_u32 v18, vcc_lo, s12, v2
	v_add_co_ci_u32_e64 v21, null, s11, 0, s0
	v_add_co_u32 v22, s0, s12, v4
	v_add_co_ci_u32_e32 v19, vcc_lo, s13, v3, vcc_lo
	v_add_co_ci_u32_e64 v23, null, s13, 0, s0
	s_lshl_b32 s14, s1, 1
	s_mul_i32 s15, s1, 3
	s_lshl_b32 s12, s1, 4
	s_mov_b64 s[10:11], s[2:3]
	s_branch .LBB256_9
.LBB256_8:                              ;   in Loop: Header=BB256_9 Depth=1
	s_or_b32 exec_lo, exec_lo, s0
	v_add_co_u32 v8, vcc_lo, v8, s12
	v_add_co_ci_u32_e32 v9, vcc_lo, 0, v9, vcc_lo
	v_add_co_u32 v10, vcc_lo, v10, s12
	v_add_co_ci_u32_e32 v11, vcc_lo, 0, v11, vcc_lo
	;; [unrolled: 2-line block ×7, first 2 shown]
	v_cmp_ge_i64_e64 s0, s[10:11], s[6:7]
	v_cmp_lt_u64_e64 s3, 0xffff, s[10:11]
	v_add_co_u32 v20, vcc_lo, v20, s12
	v_add_co_ci_u32_e32 v21, vcc_lo, 0, v21, vcc_lo
	v_add_co_u32 v22, vcc_lo, v22, s12
	v_add_co_ci_u32_e32 v23, vcc_lo, 0, v23, vcc_lo
	s_or_b32 s0, s0, s3
	s_add_u32 s10, s10, s2
	s_addc_u32 s11, s11, 0
	s_and_b32 vcc_lo, exec_lo, s0
	s_cbranch_vccnz .LBB256_25
.LBB256_9:                              ; =>This Inner Loop Header: Depth=1
	v_cmp_gt_i64_e32 vcc_lo, s[6:7], v[0:1]
	v_cmp_gt_u64_e64 s0, 0x10000, v[0:1]
	s_delay_alu instid0(VALU_DEP_1) | instskip(NEXT) | instid1(SALU_CYCLE_1)
	s_and_b32 s3, vcc_lo, s0
	s_and_saveexec_b32 s0, s3
	s_cbranch_execz .LBB256_11
; %bb.10:                               ;   in Loop: Header=BB256_9 Depth=1
	v_add_co_u32 v2, vcc_lo, v8, s4
	v_add_co_ci_u32_e32 v3, vcc_lo, s5, v9, vcc_lo
	global_load_b32 v27, v[2:3], off
.LBB256_11:                             ;   in Loop: Header=BB256_9 Depth=1
	s_or_b32 exec_lo, exec_lo, s0
	v_add_co_u32 v2, vcc_lo, s1, v0
	v_add_co_ci_u32_e32 v3, vcc_lo, 0, v1, vcc_lo
	s_delay_alu instid0(VALU_DEP_1) | instskip(SKIP_1) | instid1(VALU_DEP_1)
	v_cmp_gt_i64_e32 vcc_lo, s[6:7], v[2:3]
	v_cmp_gt_u64_e64 s0, 0x10000, v[2:3]
	s_and_b32 s3, vcc_lo, s0
	s_delay_alu instid0(SALU_CYCLE_1)
	s_and_saveexec_b32 s0, s3
	s_cbranch_execz .LBB256_13
; %bb.12:                               ;   in Loop: Header=BB256_9 Depth=1
	v_add_co_u32 v4, vcc_lo, v20, s4
	v_add_co_ci_u32_e32 v5, vcc_lo, s5, v21, vcc_lo
	global_load_b32 v26, v[4:5], off
.LBB256_13:                             ;   in Loop: Header=BB256_9 Depth=1
	s_or_b32 exec_lo, exec_lo, s0
	v_add_co_u32 v4, vcc_lo, s14, v0
	v_add_co_ci_u32_e32 v5, vcc_lo, 0, v1, vcc_lo
	s_delay_alu instid0(VALU_DEP_1) | instskip(SKIP_1) | instid1(VALU_DEP_1)
	v_cmp_gt_i64_e32 vcc_lo, s[6:7], v[4:5]
	v_cmp_gt_u64_e64 s0, 0x10000, v[4:5]
	s_and_b32 s3, vcc_lo, s0
	s_delay_alu instid0(SALU_CYCLE_1)
	;; [unrolled: 15-line block ×3, first 2 shown]
	s_and_saveexec_b32 s0, s3
	s_cbranch_execnz .LBB256_20
; %bb.16:                               ;   in Loop: Header=BB256_9 Depth=1
	s_or_b32 exec_lo, exec_lo, s0
	s_delay_alu instid0(SALU_CYCLE_1)
	s_mov_b32 s0, exec_lo
	v_cmpx_gt_u64_e64 s[8:9], v[0:1]
	s_cbranch_execnz .LBB256_21
.LBB256_17:                             ;   in Loop: Header=BB256_9 Depth=1
	s_or_b32 exec_lo, exec_lo, s0
	s_delay_alu instid0(SALU_CYCLE_1)
	s_mov_b32 s0, exec_lo
	v_cmpx_gt_u64_e64 s[8:9], v[2:3]
	s_cbranch_execnz .LBB256_22
.LBB256_18:                             ;   in Loop: Header=BB256_9 Depth=1
	s_or_b32 exec_lo, exec_lo, s0
	s_delay_alu instid0(SALU_CYCLE_1)
	s_mov_b32 s0, exec_lo
	v_cmpx_gt_u64_e64 s[8:9], v[4:5]
	s_cbranch_execnz .LBB256_23
.LBB256_19:                             ;   in Loop: Header=BB256_9 Depth=1
	s_or_b32 exec_lo, exec_lo, s0
	s_delay_alu instid0(SALU_CYCLE_1)
	s_mov_b32 s0, exec_lo
	v_cmpx_gt_u64_e64 s[8:9], v[6:7]
	s_cbranch_execz .LBB256_8
	s_branch .LBB256_24
.LBB256_20:                             ;   in Loop: Header=BB256_9 Depth=1
	v_add_co_u32 v28, vcc_lo, v12, s4
	v_add_co_ci_u32_e32 v29, vcc_lo, s5, v13, vcc_lo
	global_load_b32 v24, v[28:29], off
	s_or_b32 exec_lo, exec_lo, s0
	s_delay_alu instid0(SALU_CYCLE_1)
	s_mov_b32 s0, exec_lo
	v_cmpx_gt_u64_e64 s[8:9], v[0:1]
	s_cbranch_execz .LBB256_17
.LBB256_21:                             ;   in Loop: Header=BB256_9 Depth=1
	v_add_co_u32 v28, vcc_lo, v10, s4
	v_add_co_ci_u32_e32 v29, vcc_lo, s5, v11, vcc_lo
	s_waitcnt vmcnt(0)
	v_cvt_f32_i32_e32 v30, v27
	global_store_b32 v[28:29], v30, off
	s_or_b32 exec_lo, exec_lo, s0
	s_delay_alu instid0(SALU_CYCLE_1)
	s_mov_b32 s0, exec_lo
	v_cmpx_gt_u64_e64 s[8:9], v[2:3]
	s_cbranch_execz .LBB256_18
.LBB256_22:                             ;   in Loop: Header=BB256_9 Depth=1
	v_add_co_u32 v2, vcc_lo, v22, s4
	s_waitcnt vmcnt(0)
	v_cvt_f32_i32_e32 v28, v26
	v_add_co_ci_u32_e32 v3, vcc_lo, s5, v23, vcc_lo
	global_store_b32 v[2:3], v28, off
	s_or_b32 exec_lo, exec_lo, s0
	s_delay_alu instid0(SALU_CYCLE_1)
	s_mov_b32 s0, exec_lo
	v_cmpx_gt_u64_e64 s[8:9], v[4:5]
	s_cbranch_execz .LBB256_19
.LBB256_23:                             ;   in Loop: Header=BB256_9 Depth=1
	v_add_co_u32 v2, vcc_lo, v18, s4
	s_waitcnt vmcnt(0)
	v_cvt_f32_i32_e32 v4, v25
	v_add_co_ci_u32_e32 v3, vcc_lo, s5, v19, vcc_lo
	global_store_b32 v[2:3], v4, off
	s_or_b32 exec_lo, exec_lo, s0
	s_delay_alu instid0(SALU_CYCLE_1)
	s_mov_b32 s0, exec_lo
	v_cmpx_gt_u64_e64 s[8:9], v[6:7]
	s_cbranch_execz .LBB256_8
.LBB256_24:                             ;   in Loop: Header=BB256_9 Depth=1
	v_add_co_u32 v2, vcc_lo, v14, s4
	s_waitcnt vmcnt(0)
	v_cvt_f32_i32_e32 v4, v24
	v_add_co_ci_u32_e32 v3, vcc_lo, s5, v15, vcc_lo
	global_store_b32 v[2:3], v4, off
	s_branch .LBB256_8
.LBB256_25:
	s_nop 0
	s_sendmsg sendmsg(MSG_DEALLOC_VGPRS)
	s_endpgm
	.section	.rodata,"a",@progbits
	.p2align	6, 0x0
	.amdhsa_kernel _ZN2at6native12_GLOBAL__N_125multi_tensor_apply_kernelINS1_18TensorListMetadataILi2EEENS1_11CopyFunctorIfiLi2ELi1ELi1EEEJNS0_4CopyIfiEEEEEvT_T0_DpT1_
		.amdhsa_group_segment_fixed_size 0
		.amdhsa_private_segment_fixed_size 0
		.amdhsa_kernarg_size 3408
		.amdhsa_user_sgpr_count 15
		.amdhsa_user_sgpr_dispatch_ptr 0
		.amdhsa_user_sgpr_queue_ptr 0
		.amdhsa_user_sgpr_kernarg_segment_ptr 1
		.amdhsa_user_sgpr_dispatch_id 0
		.amdhsa_user_sgpr_private_segment_size 0
		.amdhsa_wavefront_size32 1
		.amdhsa_uses_dynamic_stack 0
		.amdhsa_enable_private_segment 0
		.amdhsa_system_sgpr_workgroup_id_x 1
		.amdhsa_system_sgpr_workgroup_id_y 0
		.amdhsa_system_sgpr_workgroup_id_z 0
		.amdhsa_system_sgpr_workgroup_info 0
		.amdhsa_system_vgpr_workitem_id 0
		.amdhsa_next_free_vgpr 31
		.amdhsa_next_free_sgpr 22
		.amdhsa_reserve_vcc 1
		.amdhsa_float_round_mode_32 0
		.amdhsa_float_round_mode_16_64 0
		.amdhsa_float_denorm_mode_32 3
		.amdhsa_float_denorm_mode_16_64 3
		.amdhsa_dx10_clamp 1
		.amdhsa_ieee_mode 1
		.amdhsa_fp16_overflow 0
		.amdhsa_workgroup_processor_mode 1
		.amdhsa_memory_ordered 1
		.amdhsa_forward_progress 0
		.amdhsa_shared_vgpr_count 0
		.amdhsa_exception_fp_ieee_invalid_op 0
		.amdhsa_exception_fp_denorm_src 0
		.amdhsa_exception_fp_ieee_div_zero 0
		.amdhsa_exception_fp_ieee_overflow 0
		.amdhsa_exception_fp_ieee_underflow 0
		.amdhsa_exception_fp_ieee_inexact 0
		.amdhsa_exception_int_div_zero 0
	.end_amdhsa_kernel
	.section	.text._ZN2at6native12_GLOBAL__N_125multi_tensor_apply_kernelINS1_18TensorListMetadataILi2EEENS1_11CopyFunctorIfiLi2ELi1ELi1EEEJNS0_4CopyIfiEEEEEvT_T0_DpT1_,"axG",@progbits,_ZN2at6native12_GLOBAL__N_125multi_tensor_apply_kernelINS1_18TensorListMetadataILi2EEENS1_11CopyFunctorIfiLi2ELi1ELi1EEEJNS0_4CopyIfiEEEEEvT_T0_DpT1_,comdat
.Lfunc_end256:
	.size	_ZN2at6native12_GLOBAL__N_125multi_tensor_apply_kernelINS1_18TensorListMetadataILi2EEENS1_11CopyFunctorIfiLi2ELi1ELi1EEEJNS0_4CopyIfiEEEEEvT_T0_DpT1_, .Lfunc_end256-_ZN2at6native12_GLOBAL__N_125multi_tensor_apply_kernelINS1_18TensorListMetadataILi2EEENS1_11CopyFunctorIfiLi2ELi1ELi1EEEJNS0_4CopyIfiEEEEEvT_T0_DpT1_
                                        ; -- End function
	.section	.AMDGPU.csdata,"",@progbits
; Kernel info:
; codeLenInByte = 1444
; NumSgprs: 24
; NumVgprs: 31
; ScratchSize: 0
; MemoryBound: 0
; FloatMode: 240
; IeeeMode: 1
; LDSByteSize: 0 bytes/workgroup (compile time only)
; SGPRBlocks: 2
; VGPRBlocks: 3
; NumSGPRsForWavesPerEU: 24
; NumVGPRsForWavesPerEU: 31
; Occupancy: 16
; WaveLimiterHint : 0
; COMPUTE_PGM_RSRC2:SCRATCH_EN: 0
; COMPUTE_PGM_RSRC2:USER_SGPR: 15
; COMPUTE_PGM_RSRC2:TRAP_HANDLER: 0
; COMPUTE_PGM_RSRC2:TGID_X_EN: 1
; COMPUTE_PGM_RSRC2:TGID_Y_EN: 0
; COMPUTE_PGM_RSRC2:TGID_Z_EN: 0
; COMPUTE_PGM_RSRC2:TIDIG_COMP_CNT: 0
	.section	.text._ZN2at6native12_GLOBAL__N_125multi_tensor_apply_kernelINS1_18TensorListMetadataILi2EEENS1_11CopyFunctorIfdLi2ELi1ELi1EEEJNS0_4CopyIfdEEEEEvT_T0_DpT1_,"axG",@progbits,_ZN2at6native12_GLOBAL__N_125multi_tensor_apply_kernelINS1_18TensorListMetadataILi2EEENS1_11CopyFunctorIfdLi2ELi1ELi1EEEJNS0_4CopyIfdEEEEEvT_T0_DpT1_,comdat
	.globl	_ZN2at6native12_GLOBAL__N_125multi_tensor_apply_kernelINS1_18TensorListMetadataILi2EEENS1_11CopyFunctorIfdLi2ELi1ELi1EEEJNS0_4CopyIfdEEEEEvT_T0_DpT1_ ; -- Begin function _ZN2at6native12_GLOBAL__N_125multi_tensor_apply_kernelINS1_18TensorListMetadataILi2EEENS1_11CopyFunctorIfdLi2ELi1ELi1EEEJNS0_4CopyIfdEEEEEvT_T0_DpT1_
	.p2align	8
	.type	_ZN2at6native12_GLOBAL__N_125multi_tensor_apply_kernelINS1_18TensorListMetadataILi2EEENS1_11CopyFunctorIfdLi2ELi1ELi1EEEJNS0_4CopyIfdEEEEEvT_T0_DpT1_,@function
_ZN2at6native12_GLOBAL__N_125multi_tensor_apply_kernelINS1_18TensorListMetadataILi2EEENS1_11CopyFunctorIfdLi2ELi1ELi1EEEJNS0_4CopyIfdEEEEEvT_T0_DpT1_: ; @_ZN2at6native12_GLOBAL__N_125multi_tensor_apply_kernelINS1_18TensorListMetadataILi2EEENS1_11CopyFunctorIfdLi2ELi1ELi1EEEJNS0_4CopyIfdEEEEEvT_T0_DpT1_
; %bb.0:
	v_mov_b32_e32 v1, s15
	s_add_u32 s2, s0, s15
	s_mul_hi_u32 s3, s15, 3
	s_mul_i32 s15, s15, 3
	s_addc_u32 s4, s1, 0
	global_load_u8 v1, v1, s[0:1] offset:1536
	s_add_u32 s2, s2, s15
	s_addc_u32 s3, s4, s3
	s_mov_b32 s15, 0
	s_load_b32 s8, s[2:3], 0x740
	s_waitcnt lgkmcnt(0)
	s_ashr_i32 s9, s8, 31
	s_delay_alu instid0(SALU_CYCLE_1) | instskip(SKIP_3) | instid1(VALU_DEP_1)
	s_lshl_b64 s[10:11], s[8:9], 19
	s_lshl_b64 s[16:17], s[8:9], 16
	s_waitcnt vmcnt(0)
	v_readfirstlane_b32 s5, v1
	s_lshl_b32 s4, s5, 3
	s_clause 0x2
	s_load_b64 s[2:3], s[0:1], s4 offset:0x0
	s_load_b64 s[6:7], s[0:1], s4 offset:0x200
	;; [unrolled: 1-line block ×3, first 2 shown]
	s_waitcnt lgkmcnt(0)
	s_add_u32 s12, s2, s10
	s_addc_u32 s13, s3, s11
	s_and_b32 s18, s6, 15
	s_and_b32 s19, s4, 3
	;; [unrolled: 1-line block ×3, first 2 shown]
	s_or_b32 s18, s19, s18
	s_mov_b32 s19, s15
	s_delay_alu instid0(SALU_CYCLE_1)
	s_or_b64 s[14:15], s[14:15], s[18:19]
	s_sub_u32 s4, s4, s16
	s_subb_u32 s5, s5, s17
	s_cmp_eq_u64 s[14:15], 0
	s_mov_b32 s14, -1
	s_cbranch_scc0 .LBB257_5
; %bb.1:
	v_dual_mov_b32 v2, 0 :: v_dual_lshlrev_b32 v1, 2, v0
	s_mov_b32 s14, exec_lo
	s_delay_alu instid0(VALU_DEP_1)
	v_cmpx_gt_i64_e64 s[4:5], v[1:2]
	s_cbranch_execz .LBB257_4
; %bb.2:
	s_load_b32 s15, s[0:1], 0xc5c
	v_lshlrev_b32_e32 v4, 4, v0
	v_lshlrev_b32_e32 v3, 5, v0
	s_waitcnt lgkmcnt(0)
	s_and_b32 s16, s15, 0xffff
	s_delay_alu instid0(SALU_CYCLE_1)
	s_lshl_b32 s15, s16, 2
	s_add_u32 s17, s2, s10
	s_addc_u32 s11, s3, s11
	s_lshl_b64 s[2:3], s[8:9], 18
	s_lshl_b32 s10, s16, 5
	s_add_u32 s2, s6, s2
	s_addc_u32 s3, s7, s3
	v_add_co_u32 v5, s2, s2, v4
	s_delay_alu instid0(VALU_DEP_1) | instskip(SKIP_1) | instid1(VALU_DEP_3)
	v_add_co_ci_u32_e64 v6, null, s3, 0, s2
	v_add_co_u32 v3, s2, s17, v3
	v_add_co_u32 v5, vcc_lo, v5, 8
	v_add_lshl_u32 v1, v0, s16, 2
	v_add_co_ci_u32_e64 v4, null, s11, 0, s2
	v_add_co_ci_u32_e32 v6, vcc_lo, 0, v6, vcc_lo
	s_mov_b32 s11, 0
	s_lshl_b32 s16, s16, 4
	.p2align	6
.LBB257_3:                              ; =>This Inner Loop Header: Depth=1
	s_clause 0x1
	global_load_b128 v[7:10], v[3:4], off
	global_load_b128 v[11:14], v[3:4], off offset:16
	v_cmp_le_i64_e32 vcc_lo, s[4:5], v[1:2]
	v_cmp_lt_u64_e64 s2, 0xffff, v[1:2]
	v_add_co_u32 v1, s3, v1, s15
	s_delay_alu instid0(VALU_DEP_1) | instskip(SKIP_1) | instid1(VALU_DEP_4)
	v_add_co_ci_u32_e64 v2, s3, 0, v2, s3
	v_add_co_u32 v3, s3, v3, s10
	s_or_b32 s2, vcc_lo, s2
	v_add_co_ci_u32_e64 v4, s3, 0, v4, s3
	s_and_b32 s2, exec_lo, s2
	s_delay_alu instid0(SALU_CYCLE_1)
	s_or_b32 s11, s2, s11
	s_waitcnt vmcnt(1)
	v_cvt_f32_f64_e32 v7, v[7:8]
	v_cvt_f32_f64_e32 v8, v[9:10]
	s_waitcnt vmcnt(0)
	v_cvt_f32_f64_e32 v9, v[11:12]
	v_cvt_f32_f64_e32 v10, v[13:14]
	global_store_b128 v[5:6], v[7:10], off offset:-8
	v_add_co_u32 v5, vcc_lo, v5, s16
	v_add_co_ci_u32_e32 v6, vcc_lo, 0, v6, vcc_lo
	s_and_not1_b32 exec_lo, exec_lo, s11
	s_cbranch_execnz .LBB257_3
.LBB257_4:
	s_or_b32 exec_lo, exec_lo, s14
	s_mov_b32 s14, 0
.LBB257_5:
	s_delay_alu instid0(SALU_CYCLE_1)
	s_and_not1_b32 vcc_lo, exec_lo, s14
	s_cbranch_vccnz .LBB257_25
; %bb.6:
	v_cmp_lt_i64_e64 s2, s[4:5], 1
	s_delay_alu instid0(VALU_DEP_1)
	s_and_b32 vcc_lo, exec_lo, s2
	s_cbranch_vccnz .LBB257_25
; %bb.7:
	s_load_b32 s0, s[0:1], 0xc5c
	v_cmp_gt_u64_e64 s1, 0x10000, s[4:5]
	v_dual_mov_b32 v2, 0 :: v_dual_lshlrev_b32 v5, 2, v0
	v_lshlrev_b32_e32 v1, 3, v0
                                        ; implicit-def: $vgpr9_vgpr10
                                        ; implicit-def: $vgpr11_vgpr12
                                        ; implicit-def: $vgpr13_vgpr14
                                        ; implicit-def: $vgpr15_vgpr16
	s_waitcnt lgkmcnt(0)
	s_and_b32 s0, s0, 0xffff
	s_delay_alu instid0(VALU_DEP_3)
	s_and_b32 s1, s1, exec_lo
	s_cselect_b32 s3, s5, 0
	s_cselect_b32 s2, s4, 0x10000
	s_lshl_b64 s[8:9], s[8:9], 18
	s_lshl_b32 s11, s0, 1
	s_lshl_b32 s1, s0, 2
	;; [unrolled: 1-line block ×3, first 2 shown]
	s_add_u32 s6, s6, s8
	s_addc_u32 s7, s7, s9
	v_add_co_u32 v5, s9, s6, v5
	s_delay_alu instid0(VALU_DEP_1) | instskip(SKIP_3) | instid1(VALU_DEP_2)
	v_add_co_ci_u32_e64 v6, null, s7, 0, s9
	v_add_co_u32 v26, s9, v0, s0
	s_mul_i32 s14, s0, 3
	v_mad_u64_u32 v[3:4], null, s0, 24, v[1:2]
	v_lshlrev_b32_e32 v7, 2, v26
	v_add_co_u32 v2, s8, s14, v0
	s_delay_alu instid0(VALU_DEP_1)
	v_add_co_ci_u32_e64 v25, null, 0, 0, s8
	s_lshl_b32 s8, s0, 4
	v_add_co_ci_u32_e64 v29, null, 0, 0, s9
	v_add_co_u32 v27, s14, s8, v1
	v_add_co_u32 v30, s9, s11, v0
	;; [unrolled: 1-line block ×3, first 2 shown]
	v_add_co_ci_u32_e64 v28, null, 0, 0, s14
	v_add_co_ci_u32_e64 v31, null, 0, 0, s9
	v_lshlrev_b32_e32 v32, 3, v26
	v_add_co_ci_u32_e64 v8, null, s7, 0, s6
	s_mul_i32 s9, s0, 12
	s_lshl_b32 s11, s0, 3
	s_mov_b64 s[6:7], 0
	s_branch .LBB257_9
.LBB257_8:                              ;   in Loop: Header=BB257_9 Depth=1
	s_or_b32 exec_lo, exec_lo, s0
	s_add_u32 s6, s6, s1
	s_addc_u32 s7, s7, 0
	v_add_co_u32 v5, vcc_lo, v5, s8
	v_cmp_ge_i64_e64 s0, s[6:7], s[4:5]
	v_cmp_lt_u64_e64 s14, 0xffff, s[6:7]
	v_add_co_ci_u32_e32 v6, vcc_lo, 0, v6, vcc_lo
	v_add_co_u32 v7, vcc_lo, v7, s8
	v_add_co_ci_u32_e32 v8, vcc_lo, 0, v8, vcc_lo
	s_delay_alu instid0(VALU_DEP_4)
	s_or_b32 s0, s0, s14
	s_add_u32 s12, s12, s10
	s_addc_u32 s13, s13, 0
	s_and_b32 vcc_lo, exec_lo, s0
	s_cbranch_vccnz .LBB257_25
.LBB257_9:                              ; =>This Inner Loop Header: Depth=1
	v_add_co_u32 v17, s0, v0, s6
	s_delay_alu instid0(VALU_DEP_1) | instskip(NEXT) | instid1(VALU_DEP_1)
	v_add_co_ci_u32_e64 v18, null, 0, s7, s0
	v_cmp_gt_i64_e32 vcc_lo, s[4:5], v[17:18]
	v_cmp_gt_u64_e64 s0, 0x10000, v[17:18]
	s_delay_alu instid0(VALU_DEP_1) | instskip(NEXT) | instid1(SALU_CYCLE_1)
	s_and_b32 s14, vcc_lo, s0
	s_and_saveexec_b32 s0, s14
	s_cbranch_execz .LBB257_11
; %bb.10:                               ;   in Loop: Header=BB257_9 Depth=1
	s_waitcnt vmcnt(0)
	v_add_co_u32 v15, s14, s12, v1
	s_delay_alu instid0(VALU_DEP_1)
	v_add_co_ci_u32_e64 v16, null, s13, 0, s14
	global_load_b64 v[15:16], v[15:16], off
.LBB257_11:                             ;   in Loop: Header=BB257_9 Depth=1
	s_or_b32 exec_lo, exec_lo, s0
	v_add_co_u32 v19, vcc_lo, v26, s6
	v_add_co_ci_u32_e32 v20, vcc_lo, s7, v29, vcc_lo
	s_delay_alu instid0(VALU_DEP_1) | instskip(SKIP_1) | instid1(VALU_DEP_1)
	v_cmp_gt_i64_e32 vcc_lo, s[4:5], v[19:20]
	v_cmp_gt_u64_e64 s0, 0x10000, v[19:20]
	s_and_b32 s14, vcc_lo, s0
	s_delay_alu instid0(SALU_CYCLE_1)
	s_and_saveexec_b32 s0, s14
	s_cbranch_execz .LBB257_13
; %bb.12:                               ;   in Loop: Header=BB257_9 Depth=1
	s_waitcnt vmcnt(0)
	v_add_co_u32 v13, s14, s12, v32
	s_delay_alu instid0(VALU_DEP_1)
	v_add_co_ci_u32_e64 v14, null, s13, 0, s14
	global_load_b64 v[13:14], v[13:14], off
.LBB257_13:                             ;   in Loop: Header=BB257_9 Depth=1
	s_or_b32 exec_lo, exec_lo, s0
	v_add_co_u32 v21, vcc_lo, v30, s6
	v_add_co_ci_u32_e32 v22, vcc_lo, s7, v31, vcc_lo
	s_delay_alu instid0(VALU_DEP_1) | instskip(SKIP_1) | instid1(VALU_DEP_1)
	v_cmp_gt_i64_e32 vcc_lo, s[4:5], v[21:22]
	v_cmp_gt_u64_e64 s0, 0x10000, v[21:22]
	s_and_b32 s14, vcc_lo, s0
	s_delay_alu instid0(SALU_CYCLE_1)
	s_and_saveexec_b32 s0, s14
	s_cbranch_execz .LBB257_15
; %bb.14:                               ;   in Loop: Header=BB257_9 Depth=1
	s_waitcnt vmcnt(0)
	v_add_co_u32 v11, vcc_lo, s12, v27
	v_add_co_ci_u32_e32 v12, vcc_lo, s13, v28, vcc_lo
	global_load_b64 v[11:12], v[11:12], off
.LBB257_15:                             ;   in Loop: Header=BB257_9 Depth=1
	s_or_b32 exec_lo, exec_lo, s0
	v_add_co_u32 v23, vcc_lo, v2, s6
	v_add_co_ci_u32_e32 v24, vcc_lo, s7, v25, vcc_lo
	s_delay_alu instid0(VALU_DEP_1) | instskip(SKIP_1) | instid1(VALU_DEP_1)
	v_cmp_gt_i64_e32 vcc_lo, s[4:5], v[23:24]
	v_cmp_gt_u64_e64 s0, 0x10000, v[23:24]
	s_and_b32 s14, vcc_lo, s0
	s_delay_alu instid0(SALU_CYCLE_1)
	s_and_saveexec_b32 s0, s14
	s_cbranch_execnz .LBB257_20
; %bb.16:                               ;   in Loop: Header=BB257_9 Depth=1
	s_or_b32 exec_lo, exec_lo, s0
	s_delay_alu instid0(SALU_CYCLE_1)
	s_mov_b32 s0, exec_lo
	v_cmpx_gt_u64_e64 s[2:3], v[17:18]
	s_cbranch_execnz .LBB257_21
.LBB257_17:                             ;   in Loop: Header=BB257_9 Depth=1
	s_or_b32 exec_lo, exec_lo, s0
	s_delay_alu instid0(SALU_CYCLE_1)
	s_mov_b32 s0, exec_lo
	v_cmpx_gt_u64_e64 s[2:3], v[19:20]
	s_cbranch_execnz .LBB257_22
.LBB257_18:                             ;   in Loop: Header=BB257_9 Depth=1
	s_or_b32 exec_lo, exec_lo, s0
	s_delay_alu instid0(SALU_CYCLE_1)
	s_mov_b32 s0, exec_lo
	v_cmpx_gt_u64_e64 s[2:3], v[21:22]
	s_cbranch_execnz .LBB257_23
.LBB257_19:                             ;   in Loop: Header=BB257_9 Depth=1
	s_or_b32 exec_lo, exec_lo, s0
	s_delay_alu instid0(SALU_CYCLE_1)
	s_mov_b32 s0, exec_lo
	v_cmpx_gt_u64_e64 s[2:3], v[23:24]
	s_cbranch_execz .LBB257_8
	s_branch .LBB257_24
.LBB257_20:                             ;   in Loop: Header=BB257_9 Depth=1
	s_waitcnt vmcnt(0)
	v_add_co_u32 v9, vcc_lo, s12, v3
	v_add_co_ci_u32_e32 v10, vcc_lo, s13, v4, vcc_lo
	global_load_b64 v[9:10], v[9:10], off
	s_or_b32 exec_lo, exec_lo, s0
	s_delay_alu instid0(SALU_CYCLE_1)
	s_mov_b32 s0, exec_lo
	v_cmpx_gt_u64_e64 s[2:3], v[17:18]
	s_cbranch_execz .LBB257_17
.LBB257_21:                             ;   in Loop: Header=BB257_9 Depth=1
	s_waitcnt vmcnt(0)
	v_cvt_f32_f64_e32 v17, v[15:16]
	global_store_b32 v[5:6], v17, off
	s_or_b32 exec_lo, exec_lo, s0
	s_delay_alu instid0(SALU_CYCLE_1)
	s_mov_b32 s0, exec_lo
	v_cmpx_gt_u64_e64 s[2:3], v[19:20]
	s_cbranch_execz .LBB257_18
.LBB257_22:                             ;   in Loop: Header=BB257_9 Depth=1
	s_waitcnt vmcnt(0)
	v_cvt_f32_f64_e32 v17, v[13:14]
	global_store_b32 v[7:8], v17, off
	s_or_b32 exec_lo, exec_lo, s0
	s_delay_alu instid0(SALU_CYCLE_1)
	s_mov_b32 s0, exec_lo
	v_cmpx_gt_u64_e64 s[2:3], v[21:22]
	s_cbranch_execz .LBB257_19
.LBB257_23:                             ;   in Loop: Header=BB257_9 Depth=1
	s_waitcnt vmcnt(0)
	v_cvt_f32_f64_e32 v19, v[11:12]
	v_add_co_u32 v17, vcc_lo, v5, s11
	v_add_co_ci_u32_e32 v18, vcc_lo, 0, v6, vcc_lo
	global_store_b32 v[17:18], v19, off
	s_or_b32 exec_lo, exec_lo, s0
	s_delay_alu instid0(SALU_CYCLE_1)
	s_mov_b32 s0, exec_lo
	v_cmpx_gt_u64_e64 s[2:3], v[23:24]
	s_cbranch_execz .LBB257_8
.LBB257_24:                             ;   in Loop: Header=BB257_9 Depth=1
	s_waitcnt vmcnt(0)
	v_cvt_f32_f64_e32 v19, v[9:10]
	v_add_co_u32 v17, vcc_lo, v5, s9
	v_add_co_ci_u32_e32 v18, vcc_lo, 0, v6, vcc_lo
	global_store_b32 v[17:18], v19, off
	s_branch .LBB257_8
.LBB257_25:
	s_nop 0
	s_sendmsg sendmsg(MSG_DEALLOC_VGPRS)
	s_endpgm
	.section	.rodata,"a",@progbits
	.p2align	6, 0x0
	.amdhsa_kernel _ZN2at6native12_GLOBAL__N_125multi_tensor_apply_kernelINS1_18TensorListMetadataILi2EEENS1_11CopyFunctorIfdLi2ELi1ELi1EEEJNS0_4CopyIfdEEEEEvT_T0_DpT1_
		.amdhsa_group_segment_fixed_size 0
		.amdhsa_private_segment_fixed_size 0
		.amdhsa_kernarg_size 3408
		.amdhsa_user_sgpr_count 15
		.amdhsa_user_sgpr_dispatch_ptr 0
		.amdhsa_user_sgpr_queue_ptr 0
		.amdhsa_user_sgpr_kernarg_segment_ptr 1
		.amdhsa_user_sgpr_dispatch_id 0
		.amdhsa_user_sgpr_private_segment_size 0
		.amdhsa_wavefront_size32 1
		.amdhsa_uses_dynamic_stack 0
		.amdhsa_enable_private_segment 0
		.amdhsa_system_sgpr_workgroup_id_x 1
		.amdhsa_system_sgpr_workgroup_id_y 0
		.amdhsa_system_sgpr_workgroup_id_z 0
		.amdhsa_system_sgpr_workgroup_info 0
		.amdhsa_system_vgpr_workitem_id 0
		.amdhsa_next_free_vgpr 33
		.amdhsa_next_free_sgpr 20
		.amdhsa_reserve_vcc 1
		.amdhsa_float_round_mode_32 0
		.amdhsa_float_round_mode_16_64 0
		.amdhsa_float_denorm_mode_32 3
		.amdhsa_float_denorm_mode_16_64 3
		.amdhsa_dx10_clamp 1
		.amdhsa_ieee_mode 1
		.amdhsa_fp16_overflow 0
		.amdhsa_workgroup_processor_mode 1
		.amdhsa_memory_ordered 1
		.amdhsa_forward_progress 0
		.amdhsa_shared_vgpr_count 0
		.amdhsa_exception_fp_ieee_invalid_op 0
		.amdhsa_exception_fp_denorm_src 0
		.amdhsa_exception_fp_ieee_div_zero 0
		.amdhsa_exception_fp_ieee_overflow 0
		.amdhsa_exception_fp_ieee_underflow 0
		.amdhsa_exception_fp_ieee_inexact 0
		.amdhsa_exception_int_div_zero 0
	.end_amdhsa_kernel
	.section	.text._ZN2at6native12_GLOBAL__N_125multi_tensor_apply_kernelINS1_18TensorListMetadataILi2EEENS1_11CopyFunctorIfdLi2ELi1ELi1EEEJNS0_4CopyIfdEEEEEvT_T0_DpT1_,"axG",@progbits,_ZN2at6native12_GLOBAL__N_125multi_tensor_apply_kernelINS1_18TensorListMetadataILi2EEENS1_11CopyFunctorIfdLi2ELi1ELi1EEEJNS0_4CopyIfdEEEEEvT_T0_DpT1_,comdat
.Lfunc_end257:
	.size	_ZN2at6native12_GLOBAL__N_125multi_tensor_apply_kernelINS1_18TensorListMetadataILi2EEENS1_11CopyFunctorIfdLi2ELi1ELi1EEEJNS0_4CopyIfdEEEEEvT_T0_DpT1_, .Lfunc_end257-_ZN2at6native12_GLOBAL__N_125multi_tensor_apply_kernelINS1_18TensorListMetadataILi2EEENS1_11CopyFunctorIfdLi2ELi1ELi1EEEJNS0_4CopyIfdEEEEEvT_T0_DpT1_
                                        ; -- End function
	.section	.AMDGPU.csdata,"",@progbits
; Kernel info:
; codeLenInByte = 1432
; NumSgprs: 22
; NumVgprs: 33
; ScratchSize: 0
; MemoryBound: 0
; FloatMode: 240
; IeeeMode: 1
; LDSByteSize: 0 bytes/workgroup (compile time only)
; SGPRBlocks: 2
; VGPRBlocks: 4
; NumSGPRsForWavesPerEU: 22
; NumVGPRsForWavesPerEU: 33
; Occupancy: 16
; WaveLimiterHint : 0
; COMPUTE_PGM_RSRC2:SCRATCH_EN: 0
; COMPUTE_PGM_RSRC2:USER_SGPR: 15
; COMPUTE_PGM_RSRC2:TRAP_HANDLER: 0
; COMPUTE_PGM_RSRC2:TGID_X_EN: 1
; COMPUTE_PGM_RSRC2:TGID_Y_EN: 0
; COMPUTE_PGM_RSRC2:TGID_Z_EN: 0
; COMPUTE_PGM_RSRC2:TIDIG_COMP_CNT: 0
	.section	.text._ZN2at6native12_GLOBAL__N_125multi_tensor_apply_kernelINS1_18TensorListMetadataILi2EEENS1_14UnaryOpFunctorIfLi2ELi1ELi1EEEJNS0_4CopyIffEEEEEvT_T0_DpT1_,"axG",@progbits,_ZN2at6native12_GLOBAL__N_125multi_tensor_apply_kernelINS1_18TensorListMetadataILi2EEENS1_14UnaryOpFunctorIfLi2ELi1ELi1EEEJNS0_4CopyIffEEEEEvT_T0_DpT1_,comdat
	.globl	_ZN2at6native12_GLOBAL__N_125multi_tensor_apply_kernelINS1_18TensorListMetadataILi2EEENS1_14UnaryOpFunctorIfLi2ELi1ELi1EEEJNS0_4CopyIffEEEEEvT_T0_DpT1_ ; -- Begin function _ZN2at6native12_GLOBAL__N_125multi_tensor_apply_kernelINS1_18TensorListMetadataILi2EEENS1_14UnaryOpFunctorIfLi2ELi1ELi1EEEJNS0_4CopyIffEEEEEvT_T0_DpT1_
	.p2align	8
	.type	_ZN2at6native12_GLOBAL__N_125multi_tensor_apply_kernelINS1_18TensorListMetadataILi2EEENS1_14UnaryOpFunctorIfLi2ELi1ELi1EEEJNS0_4CopyIffEEEEEvT_T0_DpT1_,@function
_ZN2at6native12_GLOBAL__N_125multi_tensor_apply_kernelINS1_18TensorListMetadataILi2EEENS1_14UnaryOpFunctorIfLi2ELi1ELi1EEEJNS0_4CopyIffEEEEEvT_T0_DpT1_: ; @_ZN2at6native12_GLOBAL__N_125multi_tensor_apply_kernelINS1_18TensorListMetadataILi2EEENS1_14UnaryOpFunctorIfLi2ELi1ELi1EEEJNS0_4CopyIffEEEEEvT_T0_DpT1_
; %bb.0:
	v_mov_b32_e32 v1, s15
	s_add_u32 s2, s0, s15
	s_mul_hi_u32 s3, s15, 3
	s_mul_i32 s15, s15, 3
	s_addc_u32 s4, s1, 0
	global_load_u8 v1, v1, s[0:1] offset:1536
	s_add_u32 s2, s2, s15
	s_addc_u32 s3, s4, s3
	s_mov_b32 s17, 0
	s_load_b32 s2, s[2:3], 0x740
	s_mov_b32 s19, s17
	s_mov_b32 s21, s17
	s_waitcnt vmcnt(0)
	v_readfirstlane_b32 s5, v1
	s_delay_alu instid0(VALU_DEP_1)
	s_lshl_b32 s3, s5, 3
	s_clause 0x2
	s_load_b64 s[10:11], s[0:1], s3 offset:0x0
	s_load_b64 s[12:13], s[0:1], s3 offset:0x200
	;; [unrolled: 1-line block ×3, first 2 shown]
	s_waitcnt lgkmcnt(0)
	s_ashr_i32 s3, s2, 31
	s_delay_alu instid0(SALU_CYCLE_1) | instskip(NEXT) | instid1(SALU_CYCLE_1)
	s_lshl_b64 s[4:5], s[2:3], 18
	s_add_u32 s8, s10, s4
	s_addc_u32 s9, s11, s5
	s_and_b32 s16, s8, 15
	s_add_u32 s14, s12, s4
	s_addc_u32 s15, s13, s5
	s_and_b32 s18, s6, 3
	s_and_b32 s20, s14, 15
	s_or_b64 s[16:17], s[16:17], s[18:19]
	s_lshl_b64 s[2:3], s[2:3], 16
	s_or_b64 s[16:17], s[20:21], s[16:17]
	s_sub_u32 s6, s6, s2
	s_subb_u32 s7, s7, s3
	s_cmp_eq_u64 s[16:17], 0
	s_mov_b32 s2, -1
	s_cbranch_scc0 .LBB258_5
; %bb.1:
	v_dual_mov_b32 v2, 0 :: v_dual_lshlrev_b32 v1, 2, v0
	s_mov_b32 s16, exec_lo
	s_delay_alu instid0(VALU_DEP_1)
	v_cmpx_gt_i64_e64 s[6:7], v[1:2]
	s_cbranch_execz .LBB258_4
; %bb.2:
	s_load_b32 s2, s[0:1], 0xc5c
	v_lshlrev_b32_e32 v3, 4, v0
	s_mov_b32 s17, 0
	s_waitcnt lgkmcnt(0)
	s_and_b32 s2, s2, 0xffff
	s_delay_alu instid0(SALU_CYCLE_1)
	v_add_lshl_u32 v1, v0, s2, 2
	s_lshl_b32 s18, s2, 2
	s_lshl_b32 s19, s2, 4
	.p2align	6
.LBB258_3:                              ; =>This Inner Loop Header: Depth=1
	v_add_co_u32 v4, s2, s8, v3
	s_delay_alu instid0(VALU_DEP_1)
	v_add_co_ci_u32_e64 v5, null, s9, 0, s2
	v_cmp_le_i64_e32 vcc_lo, s[6:7], v[1:2]
	v_cmp_lt_u64_e64 s2, 0xffff, v[1:2]
	v_add_co_u32 v8, s3, s14, v3
	global_load_b128 v[4:7], v[4:5], off
	v_add_co_ci_u32_e64 v9, null, s15, 0, s3
	s_or_b32 s2, vcc_lo, s2
	s_add_u32 s8, s8, s19
	v_add_co_u32 v1, s3, v1, s18
	s_addc_u32 s9, s9, 0
	s_add_u32 s14, s14, s19
	v_add_co_ci_u32_e64 v2, s3, 0, v2, s3
	s_addc_u32 s15, s15, 0
	s_and_b32 s2, exec_lo, s2
	s_delay_alu instid0(SALU_CYCLE_1)
	s_or_b32 s17, s2, s17
	s_waitcnt vmcnt(0)
	global_store_b128 v[8:9], v[4:7], off
	s_and_not1_b32 exec_lo, exec_lo, s17
	s_cbranch_execnz .LBB258_3
.LBB258_4:
	s_or_b32 exec_lo, exec_lo, s16
	s_mov_b32 s2, 0
.LBB258_5:
	s_delay_alu instid0(SALU_CYCLE_1)
	s_and_not1_b32 vcc_lo, exec_lo, s2
	s_cbranch_vccnz .LBB258_25
; %bb.6:
	v_cmp_lt_i64_e64 s2, s[6:7], 1
	s_delay_alu instid0(VALU_DEP_1)
	s_and_b32 vcc_lo, exec_lo, s2
	s_cbranch_vccnz .LBB258_25
; %bb.7:
	s_load_b32 s0, s[0:1], 0xc5c
	v_dual_mov_b32 v10, 0 :: v_dual_lshlrev_b32 v9, 2, v0
	v_cmp_gt_u64_e64 s1, 0x10000, s[6:7]
	s_delay_alu instid0(VALU_DEP_2) | instskip(NEXT) | instid1(VALU_DEP_1)
	v_add_co_u32 v1, s2, s10, v9
	v_add_co_ci_u32_e64 v2, null, s11, 0, s2
	v_add_co_u32 v3, s2, s12, v9
	s_delay_alu instid0(VALU_DEP_1)
	v_add_co_ci_u32_e64 v4, null, s13, 0, s2
	s_waitcnt lgkmcnt(0)
	s_and_b32 s0, s0, 0xffff
	s_and_b32 s1, s1, exec_lo
	v_mad_u64_u32 v[7:8], null, s0, 12, v[9:10]
	s_cselect_b32 s9, s7, 0
	s_cselect_b32 s8, s6, 0x10000
	s_mul_i32 s2, s0, 3
	s_lshl_b32 s3, s0, 3
	s_lshl_b32 s1, s0, 1
	v_add_co_u32 v14, s3, s3, v9
	v_add_co_u32 v9, s2, s2, v0
	s_delay_alu instid0(VALU_DEP_1) | instskip(SKIP_3) | instid1(VALU_DEP_3)
	v_add_co_ci_u32_e64 v10, null, 0, 0, s2
	v_add_co_u32 v13, s2, v0, s0
	v_add_co_u32 v5, vcc_lo, s10, v7
	v_add_co_ci_u32_e32 v6, vcc_lo, s11, v8, vcc_lo
	v_lshlrev_b32_e32 v21, 2, v13
	v_add_co_u32 v7, vcc_lo, s12, v7
	v_add_co_ci_u32_e64 v15, null, 0, 0, s3
	v_add_co_ci_u32_e32 v8, vcc_lo, s13, v8, vcc_lo
	v_add_co_u32 v17, s1, s1, v0
	v_add_co_u32 v11, vcc_lo, s10, v14
	v_add_co_ci_u32_e64 v18, null, 0, 0, s1
	v_add_co_u32 v19, s1, s10, v21
	v_add_co_ci_u32_e32 v12, vcc_lo, s11, v15, vcc_lo
	v_add_co_u32 v14, vcc_lo, s12, v14
	v_add_co_ci_u32_e64 v20, null, s11, 0, s1
	v_add_co_u32 v21, s1, s12, v21
	v_add_co_ci_u32_e32 v15, vcc_lo, s13, v15, vcc_lo
	v_add_co_ci_u32_e64 v16, null, 0, 0, s2
	v_add_co_ci_u32_e64 v22, null, s13, 0, s1
	s_lshl_b32 s12, s0, 2
	s_lshl_b32 s13, s0, 4
	s_mov_b64 s[10:11], 0
	s_branch .LBB258_9
.LBB258_8:                              ;   in Loop: Header=BB258_9 Depth=1
	s_or_b32 exec_lo, exec_lo, s0
	v_add_co_u32 v1, vcc_lo, v1, s13
	v_add_co_ci_u32_e32 v2, vcc_lo, 0, v2, vcc_lo
	v_add_co_u32 v3, vcc_lo, v3, s13
	v_add_co_ci_u32_e32 v4, vcc_lo, 0, v4, vcc_lo
	;; [unrolled: 2-line block ×5, first 2 shown]
	s_add_u32 s10, s10, s12
	v_add_co_u32 v14, vcc_lo, v14, s13
	s_addc_u32 s11, s11, 0
	v_add_co_ci_u32_e32 v15, vcc_lo, 0, v15, vcc_lo
	v_cmp_ge_i64_e64 s0, s[10:11], s[6:7]
	v_cmp_lt_u64_e64 s1, 0xffff, s[10:11]
	v_add_co_u32 v19, vcc_lo, v19, s13
	v_add_co_ci_u32_e32 v20, vcc_lo, 0, v20, vcc_lo
	v_add_co_u32 v21, vcc_lo, v21, s13
	v_add_co_ci_u32_e32 v22, vcc_lo, 0, v22, vcc_lo
	s_or_b32 s0, s0, s1
	s_delay_alu instid0(SALU_CYCLE_1)
	s_and_b32 vcc_lo, exec_lo, s0
	s_cbranch_vccnz .LBB258_25
.LBB258_9:                              ; =>This Inner Loop Header: Depth=1
	s_waitcnt vmcnt(0)
	v_add_co_u32 v23, s0, v0, s10
	s_delay_alu instid0(VALU_DEP_1) | instskip(NEXT) | instid1(VALU_DEP_1)
	v_add_co_ci_u32_e64 v24, null, 0, s11, s0
	v_cmp_gt_u64_e32 vcc_lo, s[8:9], v[23:24]
	v_mov_b32_e32 v23, 0
	s_and_saveexec_b32 s1, vcc_lo
	s_cbranch_execz .LBB258_11
; %bb.10:                               ;   in Loop: Header=BB258_9 Depth=1
	v_add_co_u32 v23, s0, v1, s4
	s_delay_alu instid0(VALU_DEP_1)
	v_add_co_ci_u32_e64 v24, s0, s5, v2, s0
	global_load_b32 v23, v[23:24], off
.LBB258_11:                             ;   in Loop: Header=BB258_9 Depth=1
	s_or_b32 exec_lo, exec_lo, s1
	v_add_co_u32 v24, s0, v13, s10
	s_delay_alu instid0(VALU_DEP_1) | instskip(NEXT) | instid1(VALU_DEP_1)
	v_add_co_ci_u32_e64 v25, s0, s11, v16, s0
	v_cmp_gt_u64_e64 s0, s[8:9], v[24:25]
	v_mov_b32_e32 v25, 0
	s_delay_alu instid0(VALU_DEP_2)
	s_and_saveexec_b32 s2, s0
	s_cbranch_execz .LBB258_13
; %bb.12:                               ;   in Loop: Header=BB258_9 Depth=1
	v_add_co_u32 v24, s1, v19, s4
	s_delay_alu instid0(VALU_DEP_1)
	v_add_co_ci_u32_e64 v25, s1, s5, v20, s1
	global_load_b32 v25, v[24:25], off
.LBB258_13:                             ;   in Loop: Header=BB258_9 Depth=1
	s_or_b32 exec_lo, exec_lo, s2
	v_add_co_u32 v26, s1, v17, s10
	s_delay_alu instid0(VALU_DEP_1) | instskip(SKIP_1) | instid1(VALU_DEP_2)
	v_add_co_ci_u32_e64 v27, s1, s11, v18, s1
	v_mov_b32_e32 v24, 0
	v_cmp_gt_u64_e64 s1, s[8:9], v[26:27]
	v_mov_b32_e32 v26, 0
	s_delay_alu instid0(VALU_DEP_2)
	s_and_saveexec_b32 s3, s1
	s_cbranch_execz .LBB258_15
; %bb.14:                               ;   in Loop: Header=BB258_9 Depth=1
	v_add_co_u32 v26, s2, v11, s4
	s_delay_alu instid0(VALU_DEP_1)
	v_add_co_ci_u32_e64 v27, s2, s5, v12, s2
	global_load_b32 v26, v[26:27], off
.LBB258_15:                             ;   in Loop: Header=BB258_9 Depth=1
	s_or_b32 exec_lo, exec_lo, s3
	v_add_co_u32 v27, s2, v9, s10
	s_delay_alu instid0(VALU_DEP_1) | instskip(NEXT) | instid1(VALU_DEP_1)
	v_add_co_ci_u32_e64 v28, s2, s11, v10, s2
	v_cmp_gt_u64_e64 s2, s[8:9], v[27:28]
	s_delay_alu instid0(VALU_DEP_1)
	s_and_saveexec_b32 s14, s2
	s_cbranch_execnz .LBB258_20
; %bb.16:                               ;   in Loop: Header=BB258_9 Depth=1
	s_or_b32 exec_lo, exec_lo, s14
	s_and_saveexec_b32 s3, vcc_lo
	s_cbranch_execnz .LBB258_21
.LBB258_17:                             ;   in Loop: Header=BB258_9 Depth=1
	s_or_b32 exec_lo, exec_lo, s3
	s_and_saveexec_b32 s3, s0
	s_cbranch_execnz .LBB258_22
.LBB258_18:                             ;   in Loop: Header=BB258_9 Depth=1
	s_or_b32 exec_lo, exec_lo, s3
	s_and_saveexec_b32 s0, s1
	s_cbranch_execnz .LBB258_23
.LBB258_19:                             ;   in Loop: Header=BB258_9 Depth=1
	s_or_b32 exec_lo, exec_lo, s0
	s_and_saveexec_b32 s0, s2
	s_cbranch_execz .LBB258_8
	s_branch .LBB258_24
.LBB258_20:                             ;   in Loop: Header=BB258_9 Depth=1
	v_add_co_u32 v27, s3, v5, s4
	s_delay_alu instid0(VALU_DEP_1)
	v_add_co_ci_u32_e64 v28, s3, s5, v6, s3
	global_load_b32 v24, v[27:28], off
	s_or_b32 exec_lo, exec_lo, s14
	s_and_saveexec_b32 s3, vcc_lo
	s_cbranch_execz .LBB258_17
.LBB258_21:                             ;   in Loop: Header=BB258_9 Depth=1
	v_add_co_u32 v27, vcc_lo, v3, s4
	v_add_co_ci_u32_e32 v28, vcc_lo, s5, v4, vcc_lo
	s_waitcnt vmcnt(0)
	global_store_b32 v[27:28], v23, off
	s_or_b32 exec_lo, exec_lo, s3
	s_and_saveexec_b32 s3, s0
	s_cbranch_execz .LBB258_18
.LBB258_22:                             ;   in Loop: Header=BB258_9 Depth=1
	v_add_co_u32 v27, vcc_lo, v21, s4
	v_add_co_ci_u32_e32 v28, vcc_lo, s5, v22, vcc_lo
	s_waitcnt vmcnt(0)
	global_store_b32 v[27:28], v25, off
	s_or_b32 exec_lo, exec_lo, s3
	s_and_saveexec_b32 s0, s1
	s_cbranch_execz .LBB258_19
.LBB258_23:                             ;   in Loop: Header=BB258_9 Depth=1
	v_add_co_u32 v27, vcc_lo, v14, s4
	v_add_co_ci_u32_e32 v28, vcc_lo, s5, v15, vcc_lo
	s_waitcnt vmcnt(0)
	global_store_b32 v[27:28], v26, off
	s_or_b32 exec_lo, exec_lo, s0
	s_and_saveexec_b32 s0, s2
	s_cbranch_execz .LBB258_8
.LBB258_24:                             ;   in Loop: Header=BB258_9 Depth=1
	s_waitcnt vmcnt(0)
	v_add_co_u32 v25, vcc_lo, v7, s4
	v_add_co_ci_u32_e32 v26, vcc_lo, s5, v8, vcc_lo
	global_store_b32 v[25:26], v24, off
	s_branch .LBB258_8
.LBB258_25:
	s_nop 0
	s_sendmsg sendmsg(MSG_DEALLOC_VGPRS)
	s_endpgm
	.section	.rodata,"a",@progbits
	.p2align	6, 0x0
	.amdhsa_kernel _ZN2at6native12_GLOBAL__N_125multi_tensor_apply_kernelINS1_18TensorListMetadataILi2EEENS1_14UnaryOpFunctorIfLi2ELi1ELi1EEEJNS0_4CopyIffEEEEEvT_T0_DpT1_
		.amdhsa_group_segment_fixed_size 0
		.amdhsa_private_segment_fixed_size 0
		.amdhsa_kernarg_size 3408
		.amdhsa_user_sgpr_count 15
		.amdhsa_user_sgpr_dispatch_ptr 0
		.amdhsa_user_sgpr_queue_ptr 0
		.amdhsa_user_sgpr_kernarg_segment_ptr 1
		.amdhsa_user_sgpr_dispatch_id 0
		.amdhsa_user_sgpr_private_segment_size 0
		.amdhsa_wavefront_size32 1
		.amdhsa_uses_dynamic_stack 0
		.amdhsa_enable_private_segment 0
		.amdhsa_system_sgpr_workgroup_id_x 1
		.amdhsa_system_sgpr_workgroup_id_y 0
		.amdhsa_system_sgpr_workgroup_id_z 0
		.amdhsa_system_sgpr_workgroup_info 0
		.amdhsa_system_vgpr_workitem_id 0
		.amdhsa_next_free_vgpr 29
		.amdhsa_next_free_sgpr 22
		.amdhsa_reserve_vcc 1
		.amdhsa_float_round_mode_32 0
		.amdhsa_float_round_mode_16_64 0
		.amdhsa_float_denorm_mode_32 3
		.amdhsa_float_denorm_mode_16_64 3
		.amdhsa_dx10_clamp 1
		.amdhsa_ieee_mode 1
		.amdhsa_fp16_overflow 0
		.amdhsa_workgroup_processor_mode 1
		.amdhsa_memory_ordered 1
		.amdhsa_forward_progress 0
		.amdhsa_shared_vgpr_count 0
		.amdhsa_exception_fp_ieee_invalid_op 0
		.amdhsa_exception_fp_denorm_src 0
		.amdhsa_exception_fp_ieee_div_zero 0
		.amdhsa_exception_fp_ieee_overflow 0
		.amdhsa_exception_fp_ieee_underflow 0
		.amdhsa_exception_fp_ieee_inexact 0
		.amdhsa_exception_int_div_zero 0
	.end_amdhsa_kernel
	.section	.text._ZN2at6native12_GLOBAL__N_125multi_tensor_apply_kernelINS1_18TensorListMetadataILi2EEENS1_14UnaryOpFunctorIfLi2ELi1ELi1EEEJNS0_4CopyIffEEEEEvT_T0_DpT1_,"axG",@progbits,_ZN2at6native12_GLOBAL__N_125multi_tensor_apply_kernelINS1_18TensorListMetadataILi2EEENS1_14UnaryOpFunctorIfLi2ELi1ELi1EEEJNS0_4CopyIffEEEEEvT_T0_DpT1_,comdat
.Lfunc_end258:
	.size	_ZN2at6native12_GLOBAL__N_125multi_tensor_apply_kernelINS1_18TensorListMetadataILi2EEENS1_14UnaryOpFunctorIfLi2ELi1ELi1EEEJNS0_4CopyIffEEEEEvT_T0_DpT1_, .Lfunc_end258-_ZN2at6native12_GLOBAL__N_125multi_tensor_apply_kernelINS1_18TensorListMetadataILi2EEENS1_14UnaryOpFunctorIfLi2ELi1ELi1EEEJNS0_4CopyIffEEEEEvT_T0_DpT1_
                                        ; -- End function
	.section	.AMDGPU.csdata,"",@progbits
; Kernel info:
; codeLenInByte = 1356
; NumSgprs: 24
; NumVgprs: 29
; ScratchSize: 0
; MemoryBound: 0
; FloatMode: 240
; IeeeMode: 1
; LDSByteSize: 0 bytes/workgroup (compile time only)
; SGPRBlocks: 2
; VGPRBlocks: 3
; NumSGPRsForWavesPerEU: 24
; NumVGPRsForWavesPerEU: 29
; Occupancy: 16
; WaveLimiterHint : 0
; COMPUTE_PGM_RSRC2:SCRATCH_EN: 0
; COMPUTE_PGM_RSRC2:USER_SGPR: 15
; COMPUTE_PGM_RSRC2:TRAP_HANDLER: 0
; COMPUTE_PGM_RSRC2:TGID_X_EN: 1
; COMPUTE_PGM_RSRC2:TGID_Y_EN: 0
; COMPUTE_PGM_RSRC2:TGID_Z_EN: 0
; COMPUTE_PGM_RSRC2:TIDIG_COMP_CNT: 0
	.section	.text._ZN2at6native12_GLOBAL__N_125multi_tensor_apply_kernelINS1_18TensorListMetadataILi2EEENS1_11CopyFunctorIfN3c107complexIdEELi2ELi1ELi1EEEJNS0_4CopyIfS8_EEEEEvT_T0_DpT1_,"axG",@progbits,_ZN2at6native12_GLOBAL__N_125multi_tensor_apply_kernelINS1_18TensorListMetadataILi2EEENS1_11CopyFunctorIfN3c107complexIdEELi2ELi1ELi1EEEJNS0_4CopyIfS8_EEEEEvT_T0_DpT1_,comdat
	.globl	_ZN2at6native12_GLOBAL__N_125multi_tensor_apply_kernelINS1_18TensorListMetadataILi2EEENS1_11CopyFunctorIfN3c107complexIdEELi2ELi1ELi1EEEJNS0_4CopyIfS8_EEEEEvT_T0_DpT1_ ; -- Begin function _ZN2at6native12_GLOBAL__N_125multi_tensor_apply_kernelINS1_18TensorListMetadataILi2EEENS1_11CopyFunctorIfN3c107complexIdEELi2ELi1ELi1EEEJNS0_4CopyIfS8_EEEEEvT_T0_DpT1_
	.p2align	8
	.type	_ZN2at6native12_GLOBAL__N_125multi_tensor_apply_kernelINS1_18TensorListMetadataILi2EEENS1_11CopyFunctorIfN3c107complexIdEELi2ELi1ELi1EEEJNS0_4CopyIfS8_EEEEEvT_T0_DpT1_,@function
_ZN2at6native12_GLOBAL__N_125multi_tensor_apply_kernelINS1_18TensorListMetadataILi2EEENS1_11CopyFunctorIfN3c107complexIdEELi2ELi1ELi1EEEJNS0_4CopyIfS8_EEEEEvT_T0_DpT1_: ; @_ZN2at6native12_GLOBAL__N_125multi_tensor_apply_kernelINS1_18TensorListMetadataILi2EEENS1_11CopyFunctorIfN3c107complexIdEELi2ELi1ELi1EEEJNS0_4CopyIfS8_EEEEEvT_T0_DpT1_
; %bb.0:
	v_mov_b32_e32 v1, s15
	s_add_u32 s2, s0, s15
	s_mul_hi_u32 s3, s15, 3
	s_mul_i32 s15, s15, 3
	s_addc_u32 s4, s1, 0
	global_load_u8 v1, v1, s[0:1] offset:1536
	s_add_u32 s2, s2, s15
	s_addc_u32 s3, s4, s3
	s_mov_b32 s15, 0
	s_load_b32 s8, s[2:3], 0x740
	s_waitcnt lgkmcnt(0)
	s_ashr_i32 s9, s8, 31
	s_delay_alu instid0(SALU_CYCLE_1) | instskip(SKIP_3) | instid1(VALU_DEP_1)
	s_lshl_b64 s[10:11], s[8:9], 20
	s_lshl_b64 s[16:17], s[8:9], 16
	s_waitcnt vmcnt(0)
	v_readfirstlane_b32 s5, v1
	s_lshl_b32 s4, s5, 3
	s_clause 0x2
	s_load_b64 s[2:3], s[0:1], s4 offset:0x0
	s_load_b64 s[6:7], s[0:1], s4 offset:0x200
	;; [unrolled: 1-line block ×3, first 2 shown]
	s_waitcnt lgkmcnt(0)
	s_add_u32 s12, s2, s10
	s_addc_u32 s13, s3, s11
	s_and_b32 s18, s6, 15
	s_and_b32 s19, s4, 3
	;; [unrolled: 1-line block ×3, first 2 shown]
	s_or_b32 s18, s19, s18
	s_mov_b32 s19, s15
	s_delay_alu instid0(SALU_CYCLE_1)
	s_or_b64 s[14:15], s[14:15], s[18:19]
	s_sub_u32 s4, s4, s16
	s_subb_u32 s5, s5, s17
	s_cmp_eq_u64 s[14:15], 0
	s_mov_b32 s14, -1
	s_cbranch_scc0 .LBB259_5
; %bb.1:
	v_dual_mov_b32 v2, 0 :: v_dual_lshlrev_b32 v1, 2, v0
	s_mov_b32 s14, exec_lo
	s_delay_alu instid0(VALU_DEP_1)
	v_cmpx_gt_i64_e64 s[4:5], v[1:2]
	s_cbranch_execz .LBB259_4
; %bb.2:
	s_load_b32 s15, s[0:1], 0xc5c
	v_lshlrev_b32_e32 v4, 4, v0
	v_lshlrev_b32_e32 v3, 6, v0
	s_waitcnt lgkmcnt(0)
	s_and_b32 s16, s15, 0xffff
	s_delay_alu instid0(SALU_CYCLE_1)
	s_lshl_b32 s15, s16, 2
	s_add_u32 s17, s2, s10
	s_addc_u32 s11, s3, s11
	s_lshl_b64 s[2:3], s[8:9], 18
	s_lshl_b32 s10, s16, 6
	s_add_u32 s2, s6, s2
	s_addc_u32 s3, s7, s3
	v_add_co_u32 v5, s2, s2, v4
	s_delay_alu instid0(VALU_DEP_1) | instskip(SKIP_1) | instid1(VALU_DEP_3)
	v_add_co_ci_u32_e64 v6, null, s3, 0, s2
	v_add_co_u32 v3, s2, s17, v3
	v_add_co_u32 v5, vcc_lo, v5, 8
	v_add_lshl_u32 v1, v0, s16, 2
	v_add_co_ci_u32_e64 v4, null, s11, 0, s2
	v_add_co_ci_u32_e32 v6, vcc_lo, 0, v6, vcc_lo
	s_mov_b32 s11, 0
	s_lshl_b32 s16, s16, 4
	s_set_inst_prefetch_distance 0x1
	.p2align	6
.LBB259_3:                              ; =>This Inner Loop Header: Depth=1
	s_clause 0x3
	global_load_b64 v[7:8], v[3:4], off
	global_load_b64 v[9:10], v[3:4], off offset:16
	global_load_b64 v[11:12], v[3:4], off offset:32
	;; [unrolled: 1-line block ×3, first 2 shown]
	v_cmp_le_i64_e32 vcc_lo, s[4:5], v[1:2]
	v_cmp_lt_u64_e64 s2, 0xffff, v[1:2]
	v_add_co_u32 v1, s3, v1, s15
	s_delay_alu instid0(VALU_DEP_1) | instskip(SKIP_1) | instid1(VALU_DEP_4)
	v_add_co_ci_u32_e64 v2, s3, 0, v2, s3
	v_add_co_u32 v3, s3, v3, s10
	s_or_b32 s2, vcc_lo, s2
	v_add_co_ci_u32_e64 v4, s3, 0, v4, s3
	s_and_b32 s2, exec_lo, s2
	s_delay_alu instid0(SALU_CYCLE_1)
	s_or_b32 s11, s2, s11
	s_waitcnt vmcnt(3)
	v_cvt_f32_f64_e32 v7, v[7:8]
	s_waitcnt vmcnt(2)
	v_cvt_f32_f64_e32 v8, v[9:10]
	;; [unrolled: 2-line block ×4, first 2 shown]
	global_store_b128 v[5:6], v[7:10], off offset:-8
	v_add_co_u32 v5, vcc_lo, v5, s16
	v_add_co_ci_u32_e32 v6, vcc_lo, 0, v6, vcc_lo
	s_and_not1_b32 exec_lo, exec_lo, s11
	s_cbranch_execnz .LBB259_3
.LBB259_4:
	s_set_inst_prefetch_distance 0x2
	s_or_b32 exec_lo, exec_lo, s14
	s_mov_b32 s14, 0
.LBB259_5:
	s_delay_alu instid0(SALU_CYCLE_1)
	s_and_not1_b32 vcc_lo, exec_lo, s14
	s_cbranch_vccnz .LBB259_25
; %bb.6:
	v_cmp_lt_i64_e64 s2, s[4:5], 1
	s_delay_alu instid0(VALU_DEP_1)
	s_and_b32 vcc_lo, exec_lo, s2
	s_cbranch_vccnz .LBB259_25
; %bb.7:
	s_load_b32 s0, s[0:1], 0xc5c
	v_cmp_gt_u64_e64 s1, 0x10000, s[4:5]
	v_dual_mov_b32 v2, 0 :: v_dual_lshlrev_b32 v1, 4, v0
	v_lshlrev_b32_e32 v5, 2, v0
	v_mov_b32_e32 v9, 0
	v_mov_b32_e32 v10, 0
	s_delay_alu instid0(VALU_DEP_1)
	v_dual_mov_b32 v12, v10 :: v_dual_mov_b32 v11, v9
	v_dual_mov_b32 v14, v10 :: v_dual_mov_b32 v13, v9
	;; [unrolled: 1-line block ×3, first 2 shown]
	s_waitcnt lgkmcnt(0)
	s_and_b32 s0, s0, 0xffff
	s_and_b32 s1, s1, exec_lo
	s_cselect_b32 s3, s5, 0
	s_cselect_b32 s2, s4, 0x10000
	s_lshl_b64 s[8:9], s[8:9], 18
	s_lshl_b32 s11, s0, 1
	s_lshl_b32 s1, s0, 2
	;; [unrolled: 1-line block ×3, first 2 shown]
	s_mul_i32 s14, s0, 3
	s_add_u32 s6, s6, s8
	v_mad_u64_u32 v[3:4], null, s0, 48, v[1:2]
	v_add_co_u32 v2, s8, s14, v0
	s_addc_u32 s7, s7, s9
	v_add_co_u32 v5, s14, s6, v5
	s_delay_alu instid0(VALU_DEP_1) | instskip(SKIP_3) | instid1(VALU_DEP_2)
	v_add_co_ci_u32_e64 v6, null, s7, 0, s14
	v_add_co_u32 v26, s14, v0, s0
	s_lshl_b32 s9, s0, 5
	v_add_co_ci_u32_e64 v25, null, 0, 0, s8
	v_lshlrev_b32_e32 v7, 2, v26
	v_add_co_u32 v27, s9, s9, v1
	s_delay_alu instid0(VALU_DEP_1) | instskip(SKIP_1) | instid1(VALU_DEP_4)
	v_add_co_ci_u32_e64 v28, null, 0, 0, s9
	v_add_co_u32 v30, s9, s11, v0
	v_add_co_u32 v7, s6, s6, v7
	v_add_co_ci_u32_e64 v29, null, 0, 0, s14
	v_add_co_ci_u32_e64 v31, null, 0, 0, s9
	v_lshlrev_b32_e32 v32, 4, v26
	v_add_co_ci_u32_e64 v8, null, s7, 0, s6
	s_lshl_b32 s8, s0, 4
	s_mul_i32 s9, s0, 12
	s_lshl_b32 s11, s0, 3
	s_mov_b64 s[6:7], 0
	s_branch .LBB259_9
.LBB259_8:                              ;   in Loop: Header=BB259_9 Depth=1
	s_or_b32 exec_lo, exec_lo, s0
	s_add_u32 s6, s6, s1
	s_addc_u32 s7, s7, 0
	v_add_co_u32 v5, vcc_lo, v5, s8
	v_cmp_ge_i64_e64 s0, s[6:7], s[4:5]
	v_cmp_lt_u64_e64 s14, 0xffff, s[6:7]
	v_add_co_ci_u32_e32 v6, vcc_lo, 0, v6, vcc_lo
	v_add_co_u32 v7, vcc_lo, v7, s8
	v_add_co_ci_u32_e32 v8, vcc_lo, 0, v8, vcc_lo
	s_delay_alu instid0(VALU_DEP_4)
	s_or_b32 s0, s0, s14
	s_add_u32 s12, s12, s10
	s_addc_u32 s13, s13, 0
	s_and_b32 vcc_lo, exec_lo, s0
	s_cbranch_vccnz .LBB259_25
.LBB259_9:                              ; =>This Inner Loop Header: Depth=1
	v_add_co_u32 v17, s0, v0, s6
	s_delay_alu instid0(VALU_DEP_1) | instskip(NEXT) | instid1(VALU_DEP_1)
	v_add_co_ci_u32_e64 v18, null, 0, s7, s0
	v_cmp_gt_i64_e32 vcc_lo, s[4:5], v[17:18]
	v_cmp_gt_u64_e64 s0, 0x10000, v[17:18]
	s_delay_alu instid0(VALU_DEP_1) | instskip(NEXT) | instid1(SALU_CYCLE_1)
	s_and_b32 s14, vcc_lo, s0
	s_and_saveexec_b32 s0, s14
	s_cbranch_execz .LBB259_11
; %bb.10:                               ;   in Loop: Header=BB259_9 Depth=1
	s_waitcnt vmcnt(0)
	v_add_co_u32 v15, s14, s12, v1
	s_delay_alu instid0(VALU_DEP_1)
	v_add_co_ci_u32_e64 v16, null, s13, 0, s14
	global_load_b64 v[15:16], v[15:16], off
.LBB259_11:                             ;   in Loop: Header=BB259_9 Depth=1
	s_or_b32 exec_lo, exec_lo, s0
	v_add_co_u32 v19, vcc_lo, v26, s6
	v_add_co_ci_u32_e32 v20, vcc_lo, s7, v29, vcc_lo
	s_delay_alu instid0(VALU_DEP_1) | instskip(SKIP_1) | instid1(VALU_DEP_1)
	v_cmp_gt_i64_e32 vcc_lo, s[4:5], v[19:20]
	v_cmp_gt_u64_e64 s0, 0x10000, v[19:20]
	s_and_b32 s14, vcc_lo, s0
	s_delay_alu instid0(SALU_CYCLE_1)
	s_and_saveexec_b32 s0, s14
	s_cbranch_execz .LBB259_13
; %bb.12:                               ;   in Loop: Header=BB259_9 Depth=1
	s_waitcnt vmcnt(0)
	v_add_co_u32 v13, s14, s12, v32
	s_delay_alu instid0(VALU_DEP_1)
	v_add_co_ci_u32_e64 v14, null, s13, 0, s14
	global_load_b64 v[13:14], v[13:14], off
.LBB259_13:                             ;   in Loop: Header=BB259_9 Depth=1
	s_or_b32 exec_lo, exec_lo, s0
	v_add_co_u32 v21, vcc_lo, v30, s6
	v_add_co_ci_u32_e32 v22, vcc_lo, s7, v31, vcc_lo
	s_delay_alu instid0(VALU_DEP_1) | instskip(SKIP_1) | instid1(VALU_DEP_1)
	v_cmp_gt_i64_e32 vcc_lo, s[4:5], v[21:22]
	v_cmp_gt_u64_e64 s0, 0x10000, v[21:22]
	s_and_b32 s14, vcc_lo, s0
	s_delay_alu instid0(SALU_CYCLE_1)
	s_and_saveexec_b32 s0, s14
	s_cbranch_execz .LBB259_15
; %bb.14:                               ;   in Loop: Header=BB259_9 Depth=1
	s_waitcnt vmcnt(0)
	v_add_co_u32 v11, vcc_lo, s12, v27
	v_add_co_ci_u32_e32 v12, vcc_lo, s13, v28, vcc_lo
	global_load_b64 v[11:12], v[11:12], off
.LBB259_15:                             ;   in Loop: Header=BB259_9 Depth=1
	s_or_b32 exec_lo, exec_lo, s0
	v_add_co_u32 v23, vcc_lo, v2, s6
	v_add_co_ci_u32_e32 v24, vcc_lo, s7, v25, vcc_lo
	s_delay_alu instid0(VALU_DEP_1) | instskip(SKIP_1) | instid1(VALU_DEP_1)
	v_cmp_gt_i64_e32 vcc_lo, s[4:5], v[23:24]
	v_cmp_gt_u64_e64 s0, 0x10000, v[23:24]
	s_and_b32 s14, vcc_lo, s0
	s_delay_alu instid0(SALU_CYCLE_1)
	s_and_saveexec_b32 s0, s14
	s_cbranch_execnz .LBB259_20
; %bb.16:                               ;   in Loop: Header=BB259_9 Depth=1
	s_or_b32 exec_lo, exec_lo, s0
	s_delay_alu instid0(SALU_CYCLE_1)
	s_mov_b32 s0, exec_lo
	v_cmpx_gt_u64_e64 s[2:3], v[17:18]
	s_cbranch_execnz .LBB259_21
.LBB259_17:                             ;   in Loop: Header=BB259_9 Depth=1
	s_or_b32 exec_lo, exec_lo, s0
	s_delay_alu instid0(SALU_CYCLE_1)
	s_mov_b32 s0, exec_lo
	v_cmpx_gt_u64_e64 s[2:3], v[19:20]
	s_cbranch_execnz .LBB259_22
.LBB259_18:                             ;   in Loop: Header=BB259_9 Depth=1
	s_or_b32 exec_lo, exec_lo, s0
	s_delay_alu instid0(SALU_CYCLE_1)
	s_mov_b32 s0, exec_lo
	v_cmpx_gt_u64_e64 s[2:3], v[21:22]
	s_cbranch_execnz .LBB259_23
.LBB259_19:                             ;   in Loop: Header=BB259_9 Depth=1
	s_or_b32 exec_lo, exec_lo, s0
	s_delay_alu instid0(SALU_CYCLE_1)
	s_mov_b32 s0, exec_lo
	v_cmpx_gt_u64_e64 s[2:3], v[23:24]
	s_cbranch_execz .LBB259_8
	s_branch .LBB259_24
.LBB259_20:                             ;   in Loop: Header=BB259_9 Depth=1
	s_waitcnt vmcnt(0)
	v_add_co_u32 v9, vcc_lo, s12, v3
	v_add_co_ci_u32_e32 v10, vcc_lo, s13, v4, vcc_lo
	global_load_b64 v[9:10], v[9:10], off
	s_or_b32 exec_lo, exec_lo, s0
	s_delay_alu instid0(SALU_CYCLE_1)
	s_mov_b32 s0, exec_lo
	v_cmpx_gt_u64_e64 s[2:3], v[17:18]
	s_cbranch_execz .LBB259_17
.LBB259_21:                             ;   in Loop: Header=BB259_9 Depth=1
	s_waitcnt vmcnt(0)
	v_cvt_f32_f64_e32 v17, v[15:16]
	global_store_b32 v[5:6], v17, off
	s_or_b32 exec_lo, exec_lo, s0
	s_delay_alu instid0(SALU_CYCLE_1)
	s_mov_b32 s0, exec_lo
	v_cmpx_gt_u64_e64 s[2:3], v[19:20]
	s_cbranch_execz .LBB259_18
.LBB259_22:                             ;   in Loop: Header=BB259_9 Depth=1
	s_waitcnt vmcnt(0)
	v_cvt_f32_f64_e32 v17, v[13:14]
	global_store_b32 v[7:8], v17, off
	s_or_b32 exec_lo, exec_lo, s0
	s_delay_alu instid0(SALU_CYCLE_1)
	s_mov_b32 s0, exec_lo
	v_cmpx_gt_u64_e64 s[2:3], v[21:22]
	s_cbranch_execz .LBB259_19
.LBB259_23:                             ;   in Loop: Header=BB259_9 Depth=1
	s_waitcnt vmcnt(0)
	v_cvt_f32_f64_e32 v19, v[11:12]
	v_add_co_u32 v17, vcc_lo, v5, s11
	v_add_co_ci_u32_e32 v18, vcc_lo, 0, v6, vcc_lo
	global_store_b32 v[17:18], v19, off
	s_or_b32 exec_lo, exec_lo, s0
	s_delay_alu instid0(SALU_CYCLE_1)
	s_mov_b32 s0, exec_lo
	v_cmpx_gt_u64_e64 s[2:3], v[23:24]
	s_cbranch_execz .LBB259_8
.LBB259_24:                             ;   in Loop: Header=BB259_9 Depth=1
	s_waitcnt vmcnt(0)
	v_cvt_f32_f64_e32 v19, v[9:10]
	v_add_co_u32 v17, vcc_lo, v5, s9
	v_add_co_ci_u32_e32 v18, vcc_lo, 0, v6, vcc_lo
	global_store_b32 v[17:18], v19, off
	s_branch .LBB259_8
.LBB259_25:
	s_nop 0
	s_sendmsg sendmsg(MSG_DEALLOC_VGPRS)
	s_endpgm
	.section	.rodata,"a",@progbits
	.p2align	6, 0x0
	.amdhsa_kernel _ZN2at6native12_GLOBAL__N_125multi_tensor_apply_kernelINS1_18TensorListMetadataILi2EEENS1_11CopyFunctorIfN3c107complexIdEELi2ELi1ELi1EEEJNS0_4CopyIfS8_EEEEEvT_T0_DpT1_
		.amdhsa_group_segment_fixed_size 0
		.amdhsa_private_segment_fixed_size 0
		.amdhsa_kernarg_size 3408
		.amdhsa_user_sgpr_count 15
		.amdhsa_user_sgpr_dispatch_ptr 0
		.amdhsa_user_sgpr_queue_ptr 0
		.amdhsa_user_sgpr_kernarg_segment_ptr 1
		.amdhsa_user_sgpr_dispatch_id 0
		.amdhsa_user_sgpr_private_segment_size 0
		.amdhsa_wavefront_size32 1
		.amdhsa_uses_dynamic_stack 0
		.amdhsa_enable_private_segment 0
		.amdhsa_system_sgpr_workgroup_id_x 1
		.amdhsa_system_sgpr_workgroup_id_y 0
		.amdhsa_system_sgpr_workgroup_id_z 0
		.amdhsa_system_sgpr_workgroup_info 0
		.amdhsa_system_vgpr_workitem_id 0
		.amdhsa_next_free_vgpr 33
		.amdhsa_next_free_sgpr 20
		.amdhsa_reserve_vcc 1
		.amdhsa_float_round_mode_32 0
		.amdhsa_float_round_mode_16_64 0
		.amdhsa_float_denorm_mode_32 3
		.amdhsa_float_denorm_mode_16_64 3
		.amdhsa_dx10_clamp 1
		.amdhsa_ieee_mode 1
		.amdhsa_fp16_overflow 0
		.amdhsa_workgroup_processor_mode 1
		.amdhsa_memory_ordered 1
		.amdhsa_forward_progress 0
		.amdhsa_shared_vgpr_count 0
		.amdhsa_exception_fp_ieee_invalid_op 0
		.amdhsa_exception_fp_denorm_src 0
		.amdhsa_exception_fp_ieee_div_zero 0
		.amdhsa_exception_fp_ieee_overflow 0
		.amdhsa_exception_fp_ieee_underflow 0
		.amdhsa_exception_fp_ieee_inexact 0
		.amdhsa_exception_int_div_zero 0
	.end_amdhsa_kernel
	.section	.text._ZN2at6native12_GLOBAL__N_125multi_tensor_apply_kernelINS1_18TensorListMetadataILi2EEENS1_11CopyFunctorIfN3c107complexIdEELi2ELi1ELi1EEEJNS0_4CopyIfS8_EEEEEvT_T0_DpT1_,"axG",@progbits,_ZN2at6native12_GLOBAL__N_125multi_tensor_apply_kernelINS1_18TensorListMetadataILi2EEENS1_11CopyFunctorIfN3c107complexIdEELi2ELi1ELi1EEEJNS0_4CopyIfS8_EEEEEvT_T0_DpT1_,comdat
.Lfunc_end259:
	.size	_ZN2at6native12_GLOBAL__N_125multi_tensor_apply_kernelINS1_18TensorListMetadataILi2EEENS1_11CopyFunctorIfN3c107complexIdEELi2ELi1ELi1EEEJNS0_4CopyIfS8_EEEEEvT_T0_DpT1_, .Lfunc_end259-_ZN2at6native12_GLOBAL__N_125multi_tensor_apply_kernelINS1_18TensorListMetadataILi2EEENS1_11CopyFunctorIfN3c107complexIdEELi2ELi1ELi1EEEJNS0_4CopyIfS8_EEEEEvT_T0_DpT1_
                                        ; -- End function
	.section	.AMDGPU.csdata,"",@progbits
; Kernel info:
; codeLenInByte = 1500
; NumSgprs: 22
; NumVgprs: 33
; ScratchSize: 0
; MemoryBound: 0
; FloatMode: 240
; IeeeMode: 1
; LDSByteSize: 0 bytes/workgroup (compile time only)
; SGPRBlocks: 2
; VGPRBlocks: 4
; NumSGPRsForWavesPerEU: 22
; NumVGPRsForWavesPerEU: 33
; Occupancy: 16
; WaveLimiterHint : 0
; COMPUTE_PGM_RSRC2:SCRATCH_EN: 0
; COMPUTE_PGM_RSRC2:USER_SGPR: 15
; COMPUTE_PGM_RSRC2:TRAP_HANDLER: 0
; COMPUTE_PGM_RSRC2:TGID_X_EN: 1
; COMPUTE_PGM_RSRC2:TGID_Y_EN: 0
; COMPUTE_PGM_RSRC2:TGID_Z_EN: 0
; COMPUTE_PGM_RSRC2:TIDIG_COMP_CNT: 0
	.section	.text._ZN2at6native12_GLOBAL__N_125multi_tensor_apply_kernelINS1_18TensorListMetadataILi2EEENS1_11CopyFunctorIfN3c107complexIfEELi2ELi1ELi1EEEJNS0_4CopyIfS8_EEEEEvT_T0_DpT1_,"axG",@progbits,_ZN2at6native12_GLOBAL__N_125multi_tensor_apply_kernelINS1_18TensorListMetadataILi2EEENS1_11CopyFunctorIfN3c107complexIfEELi2ELi1ELi1EEEJNS0_4CopyIfS8_EEEEEvT_T0_DpT1_,comdat
	.globl	_ZN2at6native12_GLOBAL__N_125multi_tensor_apply_kernelINS1_18TensorListMetadataILi2EEENS1_11CopyFunctorIfN3c107complexIfEELi2ELi1ELi1EEEJNS0_4CopyIfS8_EEEEEvT_T0_DpT1_ ; -- Begin function _ZN2at6native12_GLOBAL__N_125multi_tensor_apply_kernelINS1_18TensorListMetadataILi2EEENS1_11CopyFunctorIfN3c107complexIfEELi2ELi1ELi1EEEJNS0_4CopyIfS8_EEEEEvT_T0_DpT1_
	.p2align	8
	.type	_ZN2at6native12_GLOBAL__N_125multi_tensor_apply_kernelINS1_18TensorListMetadataILi2EEENS1_11CopyFunctorIfN3c107complexIfEELi2ELi1ELi1EEEJNS0_4CopyIfS8_EEEEEvT_T0_DpT1_,@function
_ZN2at6native12_GLOBAL__N_125multi_tensor_apply_kernelINS1_18TensorListMetadataILi2EEENS1_11CopyFunctorIfN3c107complexIfEELi2ELi1ELi1EEEJNS0_4CopyIfS8_EEEEEvT_T0_DpT1_: ; @_ZN2at6native12_GLOBAL__N_125multi_tensor_apply_kernelINS1_18TensorListMetadataILi2EEENS1_11CopyFunctorIfN3c107complexIfEELi2ELi1ELi1EEEJNS0_4CopyIfS8_EEEEEvT_T0_DpT1_
; %bb.0:
	v_mov_b32_e32 v1, s15
	s_add_u32 s2, s0, s15
	s_mul_hi_u32 s3, s15, 3
	s_mul_i32 s15, s15, 3
	s_addc_u32 s4, s1, 0
	global_load_u8 v1, v1, s[0:1] offset:1536
	s_add_u32 s2, s2, s15
	s_addc_u32 s3, s4, s3
	s_mov_b32 s15, 0
	s_load_b32 s8, s[2:3], 0x740
	s_waitcnt lgkmcnt(0)
	s_ashr_i32 s9, s8, 31
	s_delay_alu instid0(SALU_CYCLE_1) | instskip(SKIP_3) | instid1(VALU_DEP_1)
	s_lshl_b64 s[10:11], s[8:9], 19
	s_lshl_b64 s[16:17], s[8:9], 16
	s_waitcnt vmcnt(0)
	v_readfirstlane_b32 s5, v1
	s_lshl_b32 s4, s5, 3
	s_clause 0x2
	s_load_b64 s[2:3], s[0:1], s4 offset:0x0
	s_load_b64 s[6:7], s[0:1], s4 offset:0x200
	;; [unrolled: 1-line block ×3, first 2 shown]
	s_waitcnt lgkmcnt(0)
	s_add_u32 s12, s2, s10
	s_addc_u32 s13, s3, s11
	s_and_b32 s18, s6, 15
	s_and_b32 s19, s4, 3
	;; [unrolled: 1-line block ×3, first 2 shown]
	s_or_b32 s18, s19, s18
	s_mov_b32 s19, s15
	s_delay_alu instid0(SALU_CYCLE_1)
	s_or_b64 s[14:15], s[14:15], s[18:19]
	s_sub_u32 s4, s4, s16
	s_subb_u32 s5, s5, s17
	s_cmp_eq_u64 s[14:15], 0
	s_mov_b32 s14, -1
	s_cbranch_scc0 .LBB260_5
; %bb.1:
	v_dual_mov_b32 v2, 0 :: v_dual_lshlrev_b32 v1, 2, v0
	s_mov_b32 s14, exec_lo
	s_delay_alu instid0(VALU_DEP_1)
	v_cmpx_gt_i64_e64 s[4:5], v[1:2]
	s_cbranch_execz .LBB260_4
; %bb.2:
	s_load_b32 s15, s[0:1], 0xc5c
	v_lshlrev_b32_e32 v4, 4, v0
	v_lshlrev_b32_e32 v3, 5, v0
	s_waitcnt lgkmcnt(0)
	s_and_b32 s16, s15, 0xffff
	s_delay_alu instid0(SALU_CYCLE_1)
	s_lshl_b32 s15, s16, 2
	s_add_u32 s17, s2, s10
	s_addc_u32 s11, s3, s11
	s_lshl_b64 s[2:3], s[8:9], 18
	s_lshl_b32 s10, s16, 5
	s_add_u32 s2, s6, s2
	s_addc_u32 s3, s7, s3
	v_add_co_u32 v5, s2, s2, v4
	s_delay_alu instid0(VALU_DEP_1) | instskip(SKIP_1) | instid1(VALU_DEP_3)
	v_add_co_ci_u32_e64 v6, null, s3, 0, s2
	v_add_co_u32 v3, s2, s17, v3
	v_add_co_u32 v5, vcc_lo, v5, 8
	v_add_lshl_u32 v1, v0, s16, 2
	v_add_co_ci_u32_e64 v4, null, s11, 0, s2
	v_add_co_ci_u32_e32 v6, vcc_lo, 0, v6, vcc_lo
	s_mov_b32 s11, 0
	s_lshl_b32 s16, s16, 4
	.p2align	6
.LBB260_3:                              ; =>This Inner Loop Header: Depth=1
	s_clause 0x3
	global_load_b32 v7, v[3:4], off
	global_load_b32 v8, v[3:4], off offset:8
	global_load_b32 v9, v[3:4], off offset:16
	;; [unrolled: 1-line block ×3, first 2 shown]
	v_cmp_le_i64_e32 vcc_lo, s[4:5], v[1:2]
	v_cmp_lt_u64_e64 s2, 0xffff, v[1:2]
	v_add_co_u32 v1, s3, v1, s15
	s_delay_alu instid0(VALU_DEP_1) | instskip(SKIP_1) | instid1(VALU_DEP_4)
	v_add_co_ci_u32_e64 v2, s3, 0, v2, s3
	v_add_co_u32 v3, s3, v3, s10
	s_or_b32 s2, vcc_lo, s2
	v_add_co_ci_u32_e64 v4, s3, 0, v4, s3
	s_and_b32 s2, exec_lo, s2
	s_delay_alu instid0(SALU_CYCLE_1)
	s_or_b32 s11, s2, s11
	s_waitcnt vmcnt(0)
	global_store_b128 v[5:6], v[7:10], off offset:-8
	v_add_co_u32 v5, vcc_lo, v5, s16
	v_add_co_ci_u32_e32 v6, vcc_lo, 0, v6, vcc_lo
	s_and_not1_b32 exec_lo, exec_lo, s11
	s_cbranch_execnz .LBB260_3
.LBB260_4:
	s_or_b32 exec_lo, exec_lo, s14
	s_mov_b32 s14, 0
.LBB260_5:
	s_delay_alu instid0(SALU_CYCLE_1)
	s_and_not1_b32 vcc_lo, exec_lo, s14
	s_cbranch_vccnz .LBB260_25
; %bb.6:
	v_cmp_lt_i64_e64 s2, s[4:5], 1
	s_delay_alu instid0(VALU_DEP_1)
	s_and_b32 vcc_lo, exec_lo, s2
	s_cbranch_vccnz .LBB260_25
; %bb.7:
	s_load_b32 s0, s[0:1], 0xc5c
	v_cmp_gt_u64_e64 s1, 0x10000, s[4:5]
	v_dual_mov_b32 v2, 0 :: v_dual_lshlrev_b32 v1, 3, v0
	s_delay_alu instid0(VALU_DEP_1)
	v_dual_mov_b32 v26, v2 :: v_dual_lshlrev_b32 v5, 2, v0
	v_mov_b32_e32 v27, v2
	v_mov_b32_e32 v28, v2
	s_waitcnt lgkmcnt(0)
	s_and_b32 s0, s0, 0xffff
	s_and_b32 s1, s1, exec_lo
	s_cselect_b32 s3, s5, 0
	s_cselect_b32 s2, s4, 0x10000
	s_lshl_b64 s[8:9], s[8:9], 18
	s_lshl_b32 s11, s0, 1
	s_lshl_b32 s1, s0, 2
	;; [unrolled: 1-line block ×3, first 2 shown]
	s_add_u32 s6, s6, s8
	s_addc_u32 s7, s7, s9
	v_add_co_u32 v5, s9, s6, v5
	s_delay_alu instid0(VALU_DEP_1) | instskip(SKIP_3) | instid1(VALU_DEP_2)
	v_add_co_ci_u32_e64 v6, null, s7, 0, s9
	v_add_co_u32 v19, s9, v0, s0
	s_mul_i32 s14, s0, 3
	v_mad_u64_u32 v[3:4], null, s0, 24, v[1:2]
	v_lshlrev_b32_e32 v7, 2, v19
	v_add_co_u32 v17, s8, s14, v0
	s_delay_alu instid0(VALU_DEP_1)
	v_add_co_ci_u32_e64 v18, null, 0, 0, s8
	s_lshl_b32 s8, s0, 4
	v_add_co_ci_u32_e64 v22, null, 0, 0, s9
	v_add_co_u32 v20, s14, s8, v1
	v_add_co_u32 v23, s9, s11, v0
	v_add_co_u32 v7, s6, s6, v7
	v_add_co_ci_u32_e64 v21, null, 0, 0, s14
	v_add_co_ci_u32_e64 v24, null, 0, 0, s9
	v_lshlrev_b32_e32 v25, 3, v19
	v_add_co_ci_u32_e64 v8, null, s7, 0, s6
	s_mul_i32 s9, s0, 12
	s_lshl_b32 s11, s0, 3
	s_mov_b64 s[6:7], 0
	s_branch .LBB260_9
.LBB260_8:                              ;   in Loop: Header=BB260_9 Depth=1
	s_or_b32 exec_lo, exec_lo, s0
	s_add_u32 s6, s6, s1
	s_addc_u32 s7, s7, 0
	v_add_co_u32 v5, vcc_lo, v5, s8
	v_cmp_ge_i64_e64 s0, s[6:7], s[4:5]
	v_cmp_lt_u64_e64 s14, 0xffff, s[6:7]
	v_add_co_ci_u32_e32 v6, vcc_lo, 0, v6, vcc_lo
	v_add_co_u32 v7, vcc_lo, v7, s8
	v_add_co_ci_u32_e32 v8, vcc_lo, 0, v8, vcc_lo
	s_delay_alu instid0(VALU_DEP_4)
	s_or_b32 s0, s0, s14
	s_add_u32 s12, s12, s10
	s_addc_u32 s13, s13, 0
	s_and_b32 vcc_lo, exec_lo, s0
	s_cbranch_vccnz .LBB260_25
.LBB260_9:                              ; =>This Inner Loop Header: Depth=1
	v_add_co_u32 v9, s0, v0, s6
	s_delay_alu instid0(VALU_DEP_1) | instskip(NEXT) | instid1(VALU_DEP_1)
	v_add_co_ci_u32_e64 v10, null, 0, s7, s0
	v_cmp_gt_i64_e32 vcc_lo, s[4:5], v[9:10]
	v_cmp_gt_u64_e64 s0, 0x10000, v[9:10]
	s_delay_alu instid0(VALU_DEP_1) | instskip(NEXT) | instid1(SALU_CYCLE_1)
	s_and_b32 s14, vcc_lo, s0
	s_and_saveexec_b32 s0, s14
	s_cbranch_execz .LBB260_11
; %bb.10:                               ;   in Loop: Header=BB260_9 Depth=1
	v_add_co_u32 v11, s14, s12, v1
	s_delay_alu instid0(VALU_DEP_1)
	v_add_co_ci_u32_e64 v12, null, s13, 0, s14
	global_load_b32 v28, v[11:12], off
.LBB260_11:                             ;   in Loop: Header=BB260_9 Depth=1
	s_or_b32 exec_lo, exec_lo, s0
	v_add_co_u32 v11, vcc_lo, v19, s6
	v_add_co_ci_u32_e32 v12, vcc_lo, s7, v22, vcc_lo
	s_delay_alu instid0(VALU_DEP_1) | instskip(SKIP_1) | instid1(VALU_DEP_1)
	v_cmp_gt_i64_e32 vcc_lo, s[4:5], v[11:12]
	v_cmp_gt_u64_e64 s0, 0x10000, v[11:12]
	s_and_b32 s14, vcc_lo, s0
	s_delay_alu instid0(SALU_CYCLE_1)
	s_and_saveexec_b32 s0, s14
	s_cbranch_execz .LBB260_13
; %bb.12:                               ;   in Loop: Header=BB260_9 Depth=1
	v_add_co_u32 v13, s14, s12, v25
	s_delay_alu instid0(VALU_DEP_1)
	v_add_co_ci_u32_e64 v14, null, s13, 0, s14
	global_load_b32 v27, v[13:14], off
.LBB260_13:                             ;   in Loop: Header=BB260_9 Depth=1
	s_or_b32 exec_lo, exec_lo, s0
	v_add_co_u32 v13, vcc_lo, v23, s6
	v_add_co_ci_u32_e32 v14, vcc_lo, s7, v24, vcc_lo
	s_delay_alu instid0(VALU_DEP_1) | instskip(SKIP_1) | instid1(VALU_DEP_1)
	v_cmp_gt_i64_e32 vcc_lo, s[4:5], v[13:14]
	v_cmp_gt_u64_e64 s0, 0x10000, v[13:14]
	s_and_b32 s14, vcc_lo, s0
	s_delay_alu instid0(SALU_CYCLE_1)
	s_and_saveexec_b32 s0, s14
	s_cbranch_execz .LBB260_15
; %bb.14:                               ;   in Loop: Header=BB260_9 Depth=1
	v_add_co_u32 v15, vcc_lo, s12, v20
	v_add_co_ci_u32_e32 v16, vcc_lo, s13, v21, vcc_lo
	global_load_b32 v26, v[15:16], off
.LBB260_15:                             ;   in Loop: Header=BB260_9 Depth=1
	s_or_b32 exec_lo, exec_lo, s0
	v_add_co_u32 v15, vcc_lo, v17, s6
	v_add_co_ci_u32_e32 v16, vcc_lo, s7, v18, vcc_lo
	s_delay_alu instid0(VALU_DEP_1) | instskip(SKIP_1) | instid1(VALU_DEP_1)
	v_cmp_gt_i64_e32 vcc_lo, s[4:5], v[15:16]
	v_cmp_gt_u64_e64 s0, 0x10000, v[15:16]
	s_and_b32 s14, vcc_lo, s0
	s_delay_alu instid0(SALU_CYCLE_1)
	s_and_saveexec_b32 s0, s14
	s_cbranch_execnz .LBB260_20
; %bb.16:                               ;   in Loop: Header=BB260_9 Depth=1
	s_or_b32 exec_lo, exec_lo, s0
	s_delay_alu instid0(SALU_CYCLE_1)
	s_mov_b32 s0, exec_lo
	v_cmpx_gt_u64_e64 s[2:3], v[9:10]
	s_cbranch_execnz .LBB260_21
.LBB260_17:                             ;   in Loop: Header=BB260_9 Depth=1
	s_or_b32 exec_lo, exec_lo, s0
	s_delay_alu instid0(SALU_CYCLE_1)
	s_mov_b32 s0, exec_lo
	v_cmpx_gt_u64_e64 s[2:3], v[11:12]
	s_cbranch_execnz .LBB260_22
.LBB260_18:                             ;   in Loop: Header=BB260_9 Depth=1
	s_or_b32 exec_lo, exec_lo, s0
	s_delay_alu instid0(SALU_CYCLE_1)
	s_mov_b32 s0, exec_lo
	v_cmpx_gt_u64_e64 s[2:3], v[13:14]
	s_cbranch_execnz .LBB260_23
.LBB260_19:                             ;   in Loop: Header=BB260_9 Depth=1
	s_or_b32 exec_lo, exec_lo, s0
	s_delay_alu instid0(SALU_CYCLE_1)
	s_mov_b32 s0, exec_lo
	v_cmpx_gt_u64_e64 s[2:3], v[15:16]
	s_cbranch_execz .LBB260_8
	s_branch .LBB260_24
.LBB260_20:                             ;   in Loop: Header=BB260_9 Depth=1
	v_add_co_u32 v29, vcc_lo, s12, v3
	v_add_co_ci_u32_e32 v30, vcc_lo, s13, v4, vcc_lo
	global_load_b32 v2, v[29:30], off
	s_or_b32 exec_lo, exec_lo, s0
	s_delay_alu instid0(SALU_CYCLE_1)
	s_mov_b32 s0, exec_lo
	v_cmpx_gt_u64_e64 s[2:3], v[9:10]
	s_cbranch_execz .LBB260_17
.LBB260_21:                             ;   in Loop: Header=BB260_9 Depth=1
	s_waitcnt vmcnt(0)
	global_store_b32 v[5:6], v28, off
	s_or_b32 exec_lo, exec_lo, s0
	s_delay_alu instid0(SALU_CYCLE_1)
	s_mov_b32 s0, exec_lo
	v_cmpx_gt_u64_e64 s[2:3], v[11:12]
	s_cbranch_execz .LBB260_18
.LBB260_22:                             ;   in Loop: Header=BB260_9 Depth=1
	s_waitcnt vmcnt(0)
	global_store_b32 v[7:8], v27, off
	s_or_b32 exec_lo, exec_lo, s0
	s_delay_alu instid0(SALU_CYCLE_1)
	s_mov_b32 s0, exec_lo
	v_cmpx_gt_u64_e64 s[2:3], v[13:14]
	s_cbranch_execz .LBB260_19
.LBB260_23:                             ;   in Loop: Header=BB260_9 Depth=1
	v_add_co_u32 v9, vcc_lo, v5, s11
	v_add_co_ci_u32_e32 v10, vcc_lo, 0, v6, vcc_lo
	s_waitcnt vmcnt(0)
	global_store_b32 v[9:10], v26, off
	s_or_b32 exec_lo, exec_lo, s0
	s_delay_alu instid0(SALU_CYCLE_1)
	s_mov_b32 s0, exec_lo
	v_cmpx_gt_u64_e64 s[2:3], v[15:16]
	s_cbranch_execz .LBB260_8
.LBB260_24:                             ;   in Loop: Header=BB260_9 Depth=1
	v_add_co_u32 v9, vcc_lo, v5, s9
	v_add_co_ci_u32_e32 v10, vcc_lo, 0, v6, vcc_lo
	s_waitcnt vmcnt(0)
	global_store_b32 v[9:10], v2, off
	s_branch .LBB260_8
.LBB260_25:
	s_nop 0
	s_sendmsg sendmsg(MSG_DEALLOC_VGPRS)
	s_endpgm
	.section	.rodata,"a",@progbits
	.p2align	6, 0x0
	.amdhsa_kernel _ZN2at6native12_GLOBAL__N_125multi_tensor_apply_kernelINS1_18TensorListMetadataILi2EEENS1_11CopyFunctorIfN3c107complexIfEELi2ELi1ELi1EEEJNS0_4CopyIfS8_EEEEEvT_T0_DpT1_
		.amdhsa_group_segment_fixed_size 0
		.amdhsa_private_segment_fixed_size 0
		.amdhsa_kernarg_size 3408
		.amdhsa_user_sgpr_count 15
		.amdhsa_user_sgpr_dispatch_ptr 0
		.amdhsa_user_sgpr_queue_ptr 0
		.amdhsa_user_sgpr_kernarg_segment_ptr 1
		.amdhsa_user_sgpr_dispatch_id 0
		.amdhsa_user_sgpr_private_segment_size 0
		.amdhsa_wavefront_size32 1
		.amdhsa_uses_dynamic_stack 0
		.amdhsa_enable_private_segment 0
		.amdhsa_system_sgpr_workgroup_id_x 1
		.amdhsa_system_sgpr_workgroup_id_y 0
		.amdhsa_system_sgpr_workgroup_id_z 0
		.amdhsa_system_sgpr_workgroup_info 0
		.amdhsa_system_vgpr_workitem_id 0
		.amdhsa_next_free_vgpr 31
		.amdhsa_next_free_sgpr 20
		.amdhsa_reserve_vcc 1
		.amdhsa_float_round_mode_32 0
		.amdhsa_float_round_mode_16_64 0
		.amdhsa_float_denorm_mode_32 3
		.amdhsa_float_denorm_mode_16_64 3
		.amdhsa_dx10_clamp 1
		.amdhsa_ieee_mode 1
		.amdhsa_fp16_overflow 0
		.amdhsa_workgroup_processor_mode 1
		.amdhsa_memory_ordered 1
		.amdhsa_forward_progress 0
		.amdhsa_shared_vgpr_count 0
		.amdhsa_exception_fp_ieee_invalid_op 0
		.amdhsa_exception_fp_denorm_src 0
		.amdhsa_exception_fp_ieee_div_zero 0
		.amdhsa_exception_fp_ieee_overflow 0
		.amdhsa_exception_fp_ieee_underflow 0
		.amdhsa_exception_fp_ieee_inexact 0
		.amdhsa_exception_int_div_zero 0
	.end_amdhsa_kernel
	.section	.text._ZN2at6native12_GLOBAL__N_125multi_tensor_apply_kernelINS1_18TensorListMetadataILi2EEENS1_11CopyFunctorIfN3c107complexIfEELi2ELi1ELi1EEEJNS0_4CopyIfS8_EEEEEvT_T0_DpT1_,"axG",@progbits,_ZN2at6native12_GLOBAL__N_125multi_tensor_apply_kernelINS1_18TensorListMetadataILi2EEENS1_11CopyFunctorIfN3c107complexIfEELi2ELi1ELi1EEEJNS0_4CopyIfS8_EEEEEvT_T0_DpT1_,comdat
.Lfunc_end260:
	.size	_ZN2at6native12_GLOBAL__N_125multi_tensor_apply_kernelINS1_18TensorListMetadataILi2EEENS1_11CopyFunctorIfN3c107complexIfEELi2ELi1ELi1EEEJNS0_4CopyIfS8_EEEEEvT_T0_DpT1_, .Lfunc_end260-_ZN2at6native12_GLOBAL__N_125multi_tensor_apply_kernelINS1_18TensorListMetadataILi2EEENS1_11CopyFunctorIfN3c107complexIfEELi2ELi1ELi1EEEJNS0_4CopyIfS8_EEEEEvT_T0_DpT1_
                                        ; -- End function
	.section	.AMDGPU.csdata,"",@progbits
; Kernel info:
; codeLenInByte = 1408
; NumSgprs: 22
; NumVgprs: 31
; ScratchSize: 0
; MemoryBound: 0
; FloatMode: 240
; IeeeMode: 1
; LDSByteSize: 0 bytes/workgroup (compile time only)
; SGPRBlocks: 2
; VGPRBlocks: 3
; NumSGPRsForWavesPerEU: 22
; NumVGPRsForWavesPerEU: 31
; Occupancy: 16
; WaveLimiterHint : 0
; COMPUTE_PGM_RSRC2:SCRATCH_EN: 0
; COMPUTE_PGM_RSRC2:USER_SGPR: 15
; COMPUTE_PGM_RSRC2:TRAP_HANDLER: 0
; COMPUTE_PGM_RSRC2:TGID_X_EN: 1
; COMPUTE_PGM_RSRC2:TGID_Y_EN: 0
; COMPUTE_PGM_RSRC2:TGID_Z_EN: 0
; COMPUTE_PGM_RSRC2:TIDIG_COMP_CNT: 0
	.section	.text._ZN2at6native12_GLOBAL__N_125multi_tensor_apply_kernelINS1_18TensorListMetadataILi2EEENS1_11CopyFunctorIfN3c104HalfELi2ELi1ELi1EEEJNS0_4CopyIfS7_EEEEEvT_T0_DpT1_,"axG",@progbits,_ZN2at6native12_GLOBAL__N_125multi_tensor_apply_kernelINS1_18TensorListMetadataILi2EEENS1_11CopyFunctorIfN3c104HalfELi2ELi1ELi1EEEJNS0_4CopyIfS7_EEEEEvT_T0_DpT1_,comdat
	.globl	_ZN2at6native12_GLOBAL__N_125multi_tensor_apply_kernelINS1_18TensorListMetadataILi2EEENS1_11CopyFunctorIfN3c104HalfELi2ELi1ELi1EEEJNS0_4CopyIfS7_EEEEEvT_T0_DpT1_ ; -- Begin function _ZN2at6native12_GLOBAL__N_125multi_tensor_apply_kernelINS1_18TensorListMetadataILi2EEENS1_11CopyFunctorIfN3c104HalfELi2ELi1ELi1EEEJNS0_4CopyIfS7_EEEEEvT_T0_DpT1_
	.p2align	8
	.type	_ZN2at6native12_GLOBAL__N_125multi_tensor_apply_kernelINS1_18TensorListMetadataILi2EEENS1_11CopyFunctorIfN3c104HalfELi2ELi1ELi1EEEJNS0_4CopyIfS7_EEEEEvT_T0_DpT1_,@function
_ZN2at6native12_GLOBAL__N_125multi_tensor_apply_kernelINS1_18TensorListMetadataILi2EEENS1_11CopyFunctorIfN3c104HalfELi2ELi1ELi1EEEJNS0_4CopyIfS7_EEEEEvT_T0_DpT1_: ; @_ZN2at6native12_GLOBAL__N_125multi_tensor_apply_kernelINS1_18TensorListMetadataILi2EEENS1_11CopyFunctorIfN3c104HalfELi2ELi1ELi1EEEJNS0_4CopyIfS7_EEEEEvT_T0_DpT1_
; %bb.0:
	v_mov_b32_e32 v1, s15
	s_add_u32 s2, s0, s15
	s_mul_hi_u32 s3, s15, 3
	s_mul_i32 s15, s15, 3
	s_addc_u32 s4, s1, 0
	global_load_u8 v1, v1, s[0:1] offset:1536
	s_add_u32 s2, s2, s15
	s_addc_u32 s3, s4, s3
	s_mov_b32 s15, 0
	s_load_b32 s8, s[2:3], 0x740
	s_waitcnt lgkmcnt(0)
	s_ashr_i32 s9, s8, 31
	s_delay_alu instid0(SALU_CYCLE_1) | instskip(SKIP_3) | instid1(VALU_DEP_1)
	s_lshl_b64 s[10:11], s[8:9], 17
	s_lshl_b64 s[16:17], s[8:9], 16
	s_waitcnt vmcnt(0)
	v_readfirstlane_b32 s5, v1
	s_lshl_b32 s4, s5, 3
	s_clause 0x2
	s_load_b64 s[2:3], s[0:1], s4 offset:0x0
	s_load_b64 s[6:7], s[0:1], s4 offset:0x200
	;; [unrolled: 1-line block ×3, first 2 shown]
	s_waitcnt lgkmcnt(0)
	s_add_u32 s12, s2, s10
	s_addc_u32 s13, s3, s11
	s_and_b32 s18, s6, 15
	s_and_b32 s19, s4, 3
	;; [unrolled: 1-line block ×3, first 2 shown]
	s_or_b32 s18, s19, s18
	s_mov_b32 s19, s15
	s_delay_alu instid0(SALU_CYCLE_1)
	s_or_b64 s[14:15], s[14:15], s[18:19]
	s_sub_u32 s4, s4, s16
	s_subb_u32 s5, s5, s17
	s_cmp_eq_u64 s[14:15], 0
	s_mov_b32 s14, -1
	s_cbranch_scc0 .LBB261_5
; %bb.1:
	v_dual_mov_b32 v2, 0 :: v_dual_lshlrev_b32 v1, 2, v0
	s_mov_b32 s14, exec_lo
	s_delay_alu instid0(VALU_DEP_1)
	v_cmpx_gt_i64_e64 s[4:5], v[1:2]
	s_cbranch_execz .LBB261_4
; %bb.2:
	s_load_b32 s15, s[0:1], 0xc5c
	v_lshlrev_b32_e32 v4, 4, v0
	v_lshlrev_b32_e32 v3, 3, v0
	s_waitcnt lgkmcnt(0)
	s_and_b32 s16, s15, 0xffff
	s_delay_alu instid0(SALU_CYCLE_1)
	s_lshl_b32 s15, s16, 2
	s_add_u32 s17, s2, s10
	s_addc_u32 s11, s3, s11
	s_lshl_b64 s[2:3], s[8:9], 18
	s_lshl_b32 s10, s16, 3
	s_add_u32 s2, s6, s2
	s_addc_u32 s3, s7, s3
	v_add_co_u32 v5, s2, s2, v4
	s_delay_alu instid0(VALU_DEP_1) | instskip(SKIP_1) | instid1(VALU_DEP_3)
	v_add_co_ci_u32_e64 v6, null, s3, 0, s2
	v_add_co_u32 v3, s2, s17, v3
	v_add_co_u32 v5, vcc_lo, v5, 8
	v_add_lshl_u32 v1, v0, s16, 2
	v_add_co_ci_u32_e64 v4, null, s11, 0, s2
	v_add_co_ci_u32_e32 v6, vcc_lo, 0, v6, vcc_lo
	s_mov_b32 s11, 0
	s_lshl_b32 s16, s16, 4
	.p2align	6
.LBB261_3:                              ; =>This Inner Loop Header: Depth=1
	global_load_b64 v[7:8], v[3:4], off
	v_cmp_le_i64_e32 vcc_lo, s[4:5], v[1:2]
	v_cmp_lt_u64_e64 s2, 0xffff, v[1:2]
	v_add_co_u32 v1, s3, v1, s15
	s_delay_alu instid0(VALU_DEP_1) | instskip(SKIP_1) | instid1(VALU_DEP_4)
	v_add_co_ci_u32_e64 v2, s3, 0, v2, s3
	v_add_co_u32 v3, s3, v3, s10
	s_or_b32 s2, vcc_lo, s2
	v_add_co_ci_u32_e64 v4, s3, 0, v4, s3
	s_and_b32 s2, exec_lo, s2
	s_delay_alu instid0(SALU_CYCLE_1)
	s_or_b32 s11, s2, s11
	s_waitcnt vmcnt(0)
	v_lshrrev_b32_e32 v10, 16, v7
	v_lshrrev_b32_e32 v11, 16, v8
	v_cvt_f32_f16_e32 v7, v7
	v_cvt_f32_f16_e32 v9, v8
	s_delay_alu instid0(VALU_DEP_4) | instskip(NEXT) | instid1(VALU_DEP_4)
	v_cvt_f32_f16_e32 v8, v10
	v_cvt_f32_f16_e32 v10, v11
	global_store_b128 v[5:6], v[7:10], off offset:-8
	v_add_co_u32 v5, vcc_lo, v5, s16
	v_add_co_ci_u32_e32 v6, vcc_lo, 0, v6, vcc_lo
	s_and_not1_b32 exec_lo, exec_lo, s11
	s_cbranch_execnz .LBB261_3
.LBB261_4:
	s_or_b32 exec_lo, exec_lo, s14
	s_mov_b32 s14, 0
.LBB261_5:
	s_delay_alu instid0(SALU_CYCLE_1)
	s_and_not1_b32 vcc_lo, exec_lo, s14
	s_cbranch_vccnz .LBB261_25
; %bb.6:
	v_cmp_lt_i64_e64 s2, s[4:5], 1
	s_delay_alu instid0(VALU_DEP_1)
	s_and_b32 vcc_lo, exec_lo, s2
	s_cbranch_vccnz .LBB261_25
; %bb.7:
	s_load_b32 s0, s[0:1], 0xc5c
	v_cmp_gt_u64_e64 s1, 0x10000, s[4:5]
	v_dual_mov_b32 v2, 0 :: v_dual_lshlrev_b32 v1, 1, v0
	v_lshlrev_b32_e32 v5, 2, v0
                                        ; implicit-def: $vgpr25
                                        ; implicit-def: $vgpr26
                                        ; implicit-def: $vgpr27
                                        ; implicit-def: $vgpr28
	s_waitcnt lgkmcnt(0)
	s_and_b32 s0, s0, 0xffff
	s_delay_alu instid0(VALU_DEP_3)
	s_and_b32 s1, s1, exec_lo
	v_mad_u64_u32 v[3:4], null, s0, 6, v[1:2]
	v_add_co_u32 v2, s15, v0, s0
	s_cselect_b32 s3, s5, 0
	s_cselect_b32 s2, s4, 0x10000
	s_mul_i32 s14, s0, 3
	s_lshl_b64 s[8:9], s[8:9], 18
	s_lshl_b32 s11, s0, 1
	s_lshl_b32 s1, s0, 2
	;; [unrolled: 1-line block ×3, first 2 shown]
	s_add_u32 s6, s6, s8
	v_add_co_u32 v17, s8, s14, v0
	v_lshlrev_b32_e32 v7, 2, v2
	v_add_co_ci_u32_e64 v18, null, 0, 0, s8
	s_addc_u32 s7, s7, s9
	v_add_co_u32 v5, s8, s6, v5
	s_delay_alu instid0(VALU_DEP_1) | instskip(SKIP_1) | instid1(VALU_DEP_1)
	v_add_co_ci_u32_e64 v6, null, s7, 0, s8
	v_add_co_u32 v19, s8, s1, v1
	v_add_co_ci_u32_e64 v20, null, 0, 0, s8
	v_add_co_u32 v22, s8, s11, v0
	v_add_co_u32 v7, s6, s6, v7
	v_add_co_ci_u32_e64 v21, null, 0, 0, s15
	v_add_co_ci_u32_e64 v23, null, 0, 0, s8
	v_lshlrev_b32_e32 v24, 1, v2
	v_add_co_ci_u32_e64 v8, null, s7, 0, s6
	s_lshl_b32 s8, s0, 4
	s_mul_i32 s9, s0, 12
	s_mov_b64 s[6:7], 0
	s_branch .LBB261_9
.LBB261_8:                              ;   in Loop: Header=BB261_9 Depth=1
	s_or_b32 exec_lo, exec_lo, s0
	s_add_u32 s6, s6, s1
	s_addc_u32 s7, s7, 0
	v_add_co_u32 v5, vcc_lo, v5, s8
	v_cmp_ge_i64_e64 s0, s[6:7], s[4:5]
	v_cmp_lt_u64_e64 s11, 0xffff, s[6:7]
	v_add_co_ci_u32_e32 v6, vcc_lo, 0, v6, vcc_lo
	v_add_co_u32 v7, vcc_lo, v7, s8
	v_add_co_ci_u32_e32 v8, vcc_lo, 0, v8, vcc_lo
	s_delay_alu instid0(VALU_DEP_4)
	s_or_b32 s0, s0, s11
	s_add_u32 s12, s12, s10
	s_addc_u32 s13, s13, 0
	s_and_b32 vcc_lo, exec_lo, s0
	s_cbranch_vccnz .LBB261_25
.LBB261_9:                              ; =>This Inner Loop Header: Depth=1
	v_add_co_u32 v9, s0, v0, s6
	s_delay_alu instid0(VALU_DEP_1) | instskip(NEXT) | instid1(VALU_DEP_1)
	v_add_co_ci_u32_e64 v10, null, 0, s7, s0
	v_cmp_gt_i64_e32 vcc_lo, s[4:5], v[9:10]
	v_cmp_gt_u64_e64 s0, 0x10000, v[9:10]
	s_delay_alu instid0(VALU_DEP_1) | instskip(NEXT) | instid1(SALU_CYCLE_1)
	s_and_b32 s11, vcc_lo, s0
	s_and_saveexec_b32 s0, s11
	s_cbranch_execz .LBB261_11
; %bb.10:                               ;   in Loop: Header=BB261_9 Depth=1
	v_add_co_u32 v11, s11, s12, v1
	s_delay_alu instid0(VALU_DEP_1)
	v_add_co_ci_u32_e64 v12, null, s13, 0, s11
	global_load_u16 v28, v[11:12], off
.LBB261_11:                             ;   in Loop: Header=BB261_9 Depth=1
	s_or_b32 exec_lo, exec_lo, s0
	v_add_co_u32 v11, vcc_lo, v2, s6
	v_add_co_ci_u32_e32 v12, vcc_lo, s7, v21, vcc_lo
	s_delay_alu instid0(VALU_DEP_1) | instskip(SKIP_1) | instid1(VALU_DEP_1)
	v_cmp_gt_i64_e32 vcc_lo, s[4:5], v[11:12]
	v_cmp_gt_u64_e64 s0, 0x10000, v[11:12]
	s_and_b32 s11, vcc_lo, s0
	s_delay_alu instid0(SALU_CYCLE_1)
	s_and_saveexec_b32 s0, s11
	s_cbranch_execz .LBB261_13
; %bb.12:                               ;   in Loop: Header=BB261_9 Depth=1
	v_add_co_u32 v13, s11, s12, v24
	s_delay_alu instid0(VALU_DEP_1)
	v_add_co_ci_u32_e64 v14, null, s13, 0, s11
	global_load_u16 v27, v[13:14], off
.LBB261_13:                             ;   in Loop: Header=BB261_9 Depth=1
	s_or_b32 exec_lo, exec_lo, s0
	v_add_co_u32 v13, vcc_lo, v22, s6
	v_add_co_ci_u32_e32 v14, vcc_lo, s7, v23, vcc_lo
	s_delay_alu instid0(VALU_DEP_1) | instskip(SKIP_1) | instid1(VALU_DEP_1)
	v_cmp_gt_i64_e32 vcc_lo, s[4:5], v[13:14]
	v_cmp_gt_u64_e64 s0, 0x10000, v[13:14]
	s_and_b32 s11, vcc_lo, s0
	s_delay_alu instid0(SALU_CYCLE_1)
	s_and_saveexec_b32 s0, s11
	s_cbranch_execz .LBB261_15
; %bb.14:                               ;   in Loop: Header=BB261_9 Depth=1
	v_add_co_u32 v15, vcc_lo, s12, v19
	v_add_co_ci_u32_e32 v16, vcc_lo, s13, v20, vcc_lo
	global_load_u16 v26, v[15:16], off
.LBB261_15:                             ;   in Loop: Header=BB261_9 Depth=1
	s_or_b32 exec_lo, exec_lo, s0
	v_add_co_u32 v15, vcc_lo, v17, s6
	v_add_co_ci_u32_e32 v16, vcc_lo, s7, v18, vcc_lo
	s_delay_alu instid0(VALU_DEP_1) | instskip(SKIP_1) | instid1(VALU_DEP_1)
	v_cmp_gt_i64_e32 vcc_lo, s[4:5], v[15:16]
	v_cmp_gt_u64_e64 s0, 0x10000, v[15:16]
	s_and_b32 s11, vcc_lo, s0
	s_delay_alu instid0(SALU_CYCLE_1)
	s_and_saveexec_b32 s0, s11
	s_cbranch_execnz .LBB261_20
; %bb.16:                               ;   in Loop: Header=BB261_9 Depth=1
	s_or_b32 exec_lo, exec_lo, s0
	s_delay_alu instid0(SALU_CYCLE_1)
	s_mov_b32 s0, exec_lo
	v_cmpx_gt_u64_e64 s[2:3], v[9:10]
	s_cbranch_execnz .LBB261_21
.LBB261_17:                             ;   in Loop: Header=BB261_9 Depth=1
	s_or_b32 exec_lo, exec_lo, s0
	s_delay_alu instid0(SALU_CYCLE_1)
	s_mov_b32 s0, exec_lo
	v_cmpx_gt_u64_e64 s[2:3], v[11:12]
	s_cbranch_execnz .LBB261_22
.LBB261_18:                             ;   in Loop: Header=BB261_9 Depth=1
	s_or_b32 exec_lo, exec_lo, s0
	s_delay_alu instid0(SALU_CYCLE_1)
	s_mov_b32 s0, exec_lo
	v_cmpx_gt_u64_e64 s[2:3], v[13:14]
	s_cbranch_execnz .LBB261_23
.LBB261_19:                             ;   in Loop: Header=BB261_9 Depth=1
	s_or_b32 exec_lo, exec_lo, s0
	s_delay_alu instid0(SALU_CYCLE_1)
	s_mov_b32 s0, exec_lo
	v_cmpx_gt_u64_e64 s[2:3], v[15:16]
	s_cbranch_execz .LBB261_8
	s_branch .LBB261_24
.LBB261_20:                             ;   in Loop: Header=BB261_9 Depth=1
	v_add_co_u32 v29, vcc_lo, s12, v3
	v_add_co_ci_u32_e32 v30, vcc_lo, s13, v4, vcc_lo
	global_load_u16 v25, v[29:30], off
	s_or_b32 exec_lo, exec_lo, s0
	s_delay_alu instid0(SALU_CYCLE_1)
	s_mov_b32 s0, exec_lo
	v_cmpx_gt_u64_e64 s[2:3], v[9:10]
	s_cbranch_execz .LBB261_17
.LBB261_21:                             ;   in Loop: Header=BB261_9 Depth=1
	s_waitcnt vmcnt(0)
	v_cvt_f32_f16_e32 v9, v28
	global_store_b32 v[5:6], v9, off
	s_or_b32 exec_lo, exec_lo, s0
	s_delay_alu instid0(SALU_CYCLE_1)
	s_mov_b32 s0, exec_lo
	v_cmpx_gt_u64_e64 s[2:3], v[11:12]
	s_cbranch_execz .LBB261_18
.LBB261_22:                             ;   in Loop: Header=BB261_9 Depth=1
	s_waitcnt vmcnt(0)
	v_cvt_f32_f16_e32 v9, v27
	global_store_b32 v[7:8], v9, off
	s_or_b32 exec_lo, exec_lo, s0
	s_delay_alu instid0(SALU_CYCLE_1)
	s_mov_b32 s0, exec_lo
	v_cmpx_gt_u64_e64 s[2:3], v[13:14]
	s_cbranch_execz .LBB261_19
.LBB261_23:                             ;   in Loop: Header=BB261_9 Depth=1
	v_add_co_u32 v9, vcc_lo, v5, s10
	s_waitcnt vmcnt(0)
	v_cvt_f32_f16_e32 v11, v26
	v_add_co_ci_u32_e32 v10, vcc_lo, 0, v6, vcc_lo
	global_store_b32 v[9:10], v11, off
	s_or_b32 exec_lo, exec_lo, s0
	s_delay_alu instid0(SALU_CYCLE_1)
	s_mov_b32 s0, exec_lo
	v_cmpx_gt_u64_e64 s[2:3], v[15:16]
	s_cbranch_execz .LBB261_8
.LBB261_24:                             ;   in Loop: Header=BB261_9 Depth=1
	v_add_co_u32 v9, vcc_lo, v5, s9
	s_waitcnt vmcnt(0)
	v_cvt_f32_f16_e32 v11, v25
	v_add_co_ci_u32_e32 v10, vcc_lo, 0, v6, vcc_lo
	global_store_b32 v[9:10], v11, off
	s_branch .LBB261_8
.LBB261_25:
	s_nop 0
	s_sendmsg sendmsg(MSG_DEALLOC_VGPRS)
	s_endpgm
	.section	.rodata,"a",@progbits
	.p2align	6, 0x0
	.amdhsa_kernel _ZN2at6native12_GLOBAL__N_125multi_tensor_apply_kernelINS1_18TensorListMetadataILi2EEENS1_11CopyFunctorIfN3c104HalfELi2ELi1ELi1EEEJNS0_4CopyIfS7_EEEEEvT_T0_DpT1_
		.amdhsa_group_segment_fixed_size 0
		.amdhsa_private_segment_fixed_size 0
		.amdhsa_kernarg_size 3408
		.amdhsa_user_sgpr_count 15
		.amdhsa_user_sgpr_dispatch_ptr 0
		.amdhsa_user_sgpr_queue_ptr 0
		.amdhsa_user_sgpr_kernarg_segment_ptr 1
		.amdhsa_user_sgpr_dispatch_id 0
		.amdhsa_user_sgpr_private_segment_size 0
		.amdhsa_wavefront_size32 1
		.amdhsa_uses_dynamic_stack 0
		.amdhsa_enable_private_segment 0
		.amdhsa_system_sgpr_workgroup_id_x 1
		.amdhsa_system_sgpr_workgroup_id_y 0
		.amdhsa_system_sgpr_workgroup_id_z 0
		.amdhsa_system_sgpr_workgroup_info 0
		.amdhsa_system_vgpr_workitem_id 0
		.amdhsa_next_free_vgpr 31
		.amdhsa_next_free_sgpr 20
		.amdhsa_reserve_vcc 1
		.amdhsa_float_round_mode_32 0
		.amdhsa_float_round_mode_16_64 0
		.amdhsa_float_denorm_mode_32 3
		.amdhsa_float_denorm_mode_16_64 3
		.amdhsa_dx10_clamp 1
		.amdhsa_ieee_mode 1
		.amdhsa_fp16_overflow 0
		.amdhsa_workgroup_processor_mode 1
		.amdhsa_memory_ordered 1
		.amdhsa_forward_progress 0
		.amdhsa_shared_vgpr_count 0
		.amdhsa_exception_fp_ieee_invalid_op 0
		.amdhsa_exception_fp_denorm_src 0
		.amdhsa_exception_fp_ieee_div_zero 0
		.amdhsa_exception_fp_ieee_overflow 0
		.amdhsa_exception_fp_ieee_underflow 0
		.amdhsa_exception_fp_ieee_inexact 0
		.amdhsa_exception_int_div_zero 0
	.end_amdhsa_kernel
	.section	.text._ZN2at6native12_GLOBAL__N_125multi_tensor_apply_kernelINS1_18TensorListMetadataILi2EEENS1_11CopyFunctorIfN3c104HalfELi2ELi1ELi1EEEJNS0_4CopyIfS7_EEEEEvT_T0_DpT1_,"axG",@progbits,_ZN2at6native12_GLOBAL__N_125multi_tensor_apply_kernelINS1_18TensorListMetadataILi2EEENS1_11CopyFunctorIfN3c104HalfELi2ELi1ELi1EEEJNS0_4CopyIfS7_EEEEEvT_T0_DpT1_,comdat
.Lfunc_end261:
	.size	_ZN2at6native12_GLOBAL__N_125multi_tensor_apply_kernelINS1_18TensorListMetadataILi2EEENS1_11CopyFunctorIfN3c104HalfELi2ELi1ELi1EEEJNS0_4CopyIfS7_EEEEEvT_T0_DpT1_, .Lfunc_end261-_ZN2at6native12_GLOBAL__N_125multi_tensor_apply_kernelINS1_18TensorListMetadataILi2EEENS1_11CopyFunctorIfN3c104HalfELi2ELi1ELi1EEEJNS0_4CopyIfS7_EEEEEvT_T0_DpT1_
                                        ; -- End function
	.section	.AMDGPU.csdata,"",@progbits
; Kernel info:
; codeLenInByte = 1404
; NumSgprs: 22
; NumVgprs: 31
; ScratchSize: 0
; MemoryBound: 0
; FloatMode: 240
; IeeeMode: 1
; LDSByteSize: 0 bytes/workgroup (compile time only)
; SGPRBlocks: 2
; VGPRBlocks: 3
; NumSGPRsForWavesPerEU: 22
; NumVGPRsForWavesPerEU: 31
; Occupancy: 16
; WaveLimiterHint : 0
; COMPUTE_PGM_RSRC2:SCRATCH_EN: 0
; COMPUTE_PGM_RSRC2:USER_SGPR: 15
; COMPUTE_PGM_RSRC2:TRAP_HANDLER: 0
; COMPUTE_PGM_RSRC2:TGID_X_EN: 1
; COMPUTE_PGM_RSRC2:TGID_Y_EN: 0
; COMPUTE_PGM_RSRC2:TGID_Z_EN: 0
; COMPUTE_PGM_RSRC2:TIDIG_COMP_CNT: 0
	.section	.text._ZN2at6native12_GLOBAL__N_125multi_tensor_apply_kernelINS1_18TensorListMetadataILi2EEENS1_11CopyFunctorIfN3c108BFloat16ELi2ELi1ELi1EEEJNS0_4CopyIfS7_EEEEEvT_T0_DpT1_,"axG",@progbits,_ZN2at6native12_GLOBAL__N_125multi_tensor_apply_kernelINS1_18TensorListMetadataILi2EEENS1_11CopyFunctorIfN3c108BFloat16ELi2ELi1ELi1EEEJNS0_4CopyIfS7_EEEEEvT_T0_DpT1_,comdat
	.globl	_ZN2at6native12_GLOBAL__N_125multi_tensor_apply_kernelINS1_18TensorListMetadataILi2EEENS1_11CopyFunctorIfN3c108BFloat16ELi2ELi1ELi1EEEJNS0_4CopyIfS7_EEEEEvT_T0_DpT1_ ; -- Begin function _ZN2at6native12_GLOBAL__N_125multi_tensor_apply_kernelINS1_18TensorListMetadataILi2EEENS1_11CopyFunctorIfN3c108BFloat16ELi2ELi1ELi1EEEJNS0_4CopyIfS7_EEEEEvT_T0_DpT1_
	.p2align	8
	.type	_ZN2at6native12_GLOBAL__N_125multi_tensor_apply_kernelINS1_18TensorListMetadataILi2EEENS1_11CopyFunctorIfN3c108BFloat16ELi2ELi1ELi1EEEJNS0_4CopyIfS7_EEEEEvT_T0_DpT1_,@function
_ZN2at6native12_GLOBAL__N_125multi_tensor_apply_kernelINS1_18TensorListMetadataILi2EEENS1_11CopyFunctorIfN3c108BFloat16ELi2ELi1ELi1EEEJNS0_4CopyIfS7_EEEEEvT_T0_DpT1_: ; @_ZN2at6native12_GLOBAL__N_125multi_tensor_apply_kernelINS1_18TensorListMetadataILi2EEENS1_11CopyFunctorIfN3c108BFloat16ELi2ELi1ELi1EEEJNS0_4CopyIfS7_EEEEEvT_T0_DpT1_
; %bb.0:
	v_mov_b32_e32 v1, s15
	s_add_u32 s2, s0, s15
	s_mul_hi_u32 s3, s15, 3
	s_mul_i32 s15, s15, 3
	s_addc_u32 s4, s1, 0
	global_load_u8 v1, v1, s[0:1] offset:1536
	s_add_u32 s2, s2, s15
	s_addc_u32 s3, s4, s3
	s_mov_b32 s15, 0
	s_load_b32 s8, s[2:3], 0x740
	s_waitcnt lgkmcnt(0)
	s_ashr_i32 s9, s8, 31
	s_delay_alu instid0(SALU_CYCLE_1) | instskip(SKIP_3) | instid1(VALU_DEP_1)
	s_lshl_b64 s[10:11], s[8:9], 17
	s_lshl_b64 s[16:17], s[8:9], 16
	s_waitcnt vmcnt(0)
	v_readfirstlane_b32 s5, v1
	s_lshl_b32 s4, s5, 3
	s_clause 0x2
	s_load_b64 s[2:3], s[0:1], s4 offset:0x0
	s_load_b64 s[6:7], s[0:1], s4 offset:0x200
	s_load_b64 s[4:5], s[0:1], s4 offset:0x400
	s_waitcnt lgkmcnt(0)
	s_add_u32 s12, s2, s10
	s_addc_u32 s13, s3, s11
	s_and_b32 s18, s6, 15
	s_and_b32 s19, s4, 3
	s_and_b32 s14, s12, 7
	s_or_b32 s18, s19, s18
	s_mov_b32 s19, s15
	s_delay_alu instid0(SALU_CYCLE_1)
	s_or_b64 s[14:15], s[14:15], s[18:19]
	s_sub_u32 s4, s4, s16
	s_subb_u32 s5, s5, s17
	s_cmp_eq_u64 s[14:15], 0
	s_mov_b32 s14, -1
	s_cbranch_scc0 .LBB262_5
; %bb.1:
	v_dual_mov_b32 v2, 0 :: v_dual_lshlrev_b32 v1, 2, v0
	s_mov_b32 s14, exec_lo
	s_delay_alu instid0(VALU_DEP_1)
	v_cmpx_gt_i64_e64 s[4:5], v[1:2]
	s_cbranch_execz .LBB262_4
; %bb.2:
	s_load_b32 s15, s[0:1], 0xc5c
	v_lshlrev_b32_e32 v4, 4, v0
	v_lshlrev_b32_e32 v3, 3, v0
	s_waitcnt lgkmcnt(0)
	s_and_b32 s16, s15, 0xffff
	s_add_u32 s15, s2, s10
	s_addc_u32 s17, s3, s11
	s_lshl_b64 s[2:3], s[8:9], 18
	s_lshl_b32 s10, s16, 3
	s_lshl_b32 s11, s16, 2
	s_add_u32 s2, s6, s2
	s_addc_u32 s3, s7, s3
	v_add_co_u32 v5, s2, s2, v4
	s_delay_alu instid0(VALU_DEP_1) | instskip(SKIP_1) | instid1(VALU_DEP_3)
	v_add_co_ci_u32_e64 v6, null, s3, 0, s2
	v_add_co_u32 v3, s2, s15, v3
	v_add_co_u32 v5, vcc_lo, v5, 8
	v_add_lshl_u32 v1, v0, s16, 2
	v_add_co_ci_u32_e64 v4, null, s17, 0, s2
	v_add_co_ci_u32_e32 v6, vcc_lo, 0, v6, vcc_lo
	s_mov_b32 s15, 0
	s_lshl_b32 s16, s16, 4
	s_set_inst_prefetch_distance 0x1
	.p2align	6
.LBB262_3:                              ; =>This Inner Loop Header: Depth=1
	global_load_b64 v[9:10], v[3:4], off
	v_cmp_le_i64_e32 vcc_lo, s[4:5], v[1:2]
	v_cmp_lt_u64_e64 s2, 0xffff, v[1:2]
	v_add_co_u32 v3, s3, v3, s10
	s_delay_alu instid0(VALU_DEP_1) | instskip(SKIP_1) | instid1(VALU_DEP_4)
	v_add_co_ci_u32_e64 v4, s3, 0, v4, s3
	v_add_co_u32 v1, s3, v1, s11
	s_or_b32 s2, vcc_lo, s2
	v_add_co_ci_u32_e64 v2, s3, 0, v2, s3
	s_and_b32 s2, exec_lo, s2
	s_delay_alu instid0(SALU_CYCLE_1)
	s_or_b32 s15, s2, s15
	s_waitcnt vmcnt(0)
	v_alignbit_b32 v11, v10, v9, 16
	v_and_b32_e32 v8, 0xffff0000, v9
	v_lshlrev_b32_e32 v7, 16, v9
	v_and_b32_e32 v10, 0xffff0000, v10
	s_delay_alu instid0(VALU_DEP_4)
	v_and_b32_e32 v9, 0xffff0000, v11
	global_store_b128 v[5:6], v[7:10], off offset:-8
	v_add_co_u32 v5, vcc_lo, v5, s16
	v_add_co_ci_u32_e32 v6, vcc_lo, 0, v6, vcc_lo
	s_and_not1_b32 exec_lo, exec_lo, s15
	s_cbranch_execnz .LBB262_3
.LBB262_4:
	s_set_inst_prefetch_distance 0x2
	s_or_b32 exec_lo, exec_lo, s14
	s_mov_b32 s14, 0
.LBB262_5:
	s_delay_alu instid0(SALU_CYCLE_1)
	s_and_not1_b32 vcc_lo, exec_lo, s14
	s_cbranch_vccnz .LBB262_25
; %bb.6:
	v_cmp_lt_i64_e64 s2, s[4:5], 1
	s_delay_alu instid0(VALU_DEP_1)
	s_and_b32 vcc_lo, exec_lo, s2
	s_cbranch_vccnz .LBB262_25
; %bb.7:
	s_load_b32 s0, s[0:1], 0xc5c
	v_cmp_gt_u64_e64 s1, 0x10000, s[4:5]
	v_dual_mov_b32 v2, 0 :: v_dual_lshlrev_b32 v1, 1, v0
	v_lshlrev_b32_e32 v5, 2, v0
                                        ; implicit-def: $vgpr25
                                        ; implicit-def: $vgpr26
                                        ; implicit-def: $vgpr27
                                        ; implicit-def: $vgpr28
	s_waitcnt lgkmcnt(0)
	s_and_b32 s0, s0, 0xffff
	s_delay_alu instid0(VALU_DEP_3)
	s_and_b32 s1, s1, exec_lo
	v_mad_u64_u32 v[3:4], null, s0, 6, v[1:2]
	v_add_co_u32 v2, s15, v0, s0
	s_cselect_b32 s3, s5, 0
	s_cselect_b32 s2, s4, 0x10000
	s_mul_i32 s14, s0, 3
	s_lshl_b64 s[8:9], s[8:9], 18
	s_lshl_b32 s11, s0, 1
	s_lshl_b32 s1, s0, 2
	;; [unrolled: 1-line block ×3, first 2 shown]
	s_add_u32 s6, s6, s8
	v_add_co_u32 v17, s8, s14, v0
	v_lshlrev_b32_e32 v7, 2, v2
	v_add_co_ci_u32_e64 v18, null, 0, 0, s8
	s_addc_u32 s7, s7, s9
	v_add_co_u32 v5, s8, s6, v5
	s_delay_alu instid0(VALU_DEP_1) | instskip(SKIP_1) | instid1(VALU_DEP_1)
	v_add_co_ci_u32_e64 v6, null, s7, 0, s8
	v_add_co_u32 v19, s8, s1, v1
	v_add_co_ci_u32_e64 v20, null, 0, 0, s8
	v_add_co_u32 v22, s8, s11, v0
	v_add_co_u32 v7, s6, s6, v7
	v_add_co_ci_u32_e64 v21, null, 0, 0, s15
	v_add_co_ci_u32_e64 v23, null, 0, 0, s8
	v_lshlrev_b32_e32 v24, 1, v2
	v_add_co_ci_u32_e64 v8, null, s7, 0, s6
	s_lshl_b32 s8, s0, 4
	s_mul_i32 s9, s0, 12
	s_mov_b64 s[6:7], 0
	s_branch .LBB262_9
.LBB262_8:                              ;   in Loop: Header=BB262_9 Depth=1
	s_or_b32 exec_lo, exec_lo, s0
	s_add_u32 s6, s6, s1
	s_addc_u32 s7, s7, 0
	v_add_co_u32 v5, vcc_lo, v5, s8
	v_cmp_ge_i64_e64 s0, s[6:7], s[4:5]
	v_cmp_lt_u64_e64 s11, 0xffff, s[6:7]
	v_add_co_ci_u32_e32 v6, vcc_lo, 0, v6, vcc_lo
	v_add_co_u32 v7, vcc_lo, v7, s8
	v_add_co_ci_u32_e32 v8, vcc_lo, 0, v8, vcc_lo
	s_delay_alu instid0(VALU_DEP_4)
	s_or_b32 s0, s0, s11
	s_add_u32 s12, s12, s10
	s_addc_u32 s13, s13, 0
	s_and_b32 vcc_lo, exec_lo, s0
	s_cbranch_vccnz .LBB262_25
.LBB262_9:                              ; =>This Inner Loop Header: Depth=1
	v_add_co_u32 v9, s0, v0, s6
	s_delay_alu instid0(VALU_DEP_1) | instskip(NEXT) | instid1(VALU_DEP_1)
	v_add_co_ci_u32_e64 v10, null, 0, s7, s0
	v_cmp_gt_i64_e32 vcc_lo, s[4:5], v[9:10]
	v_cmp_gt_u64_e64 s0, 0x10000, v[9:10]
	s_delay_alu instid0(VALU_DEP_1) | instskip(NEXT) | instid1(SALU_CYCLE_1)
	s_and_b32 s11, vcc_lo, s0
	s_and_saveexec_b32 s0, s11
	s_cbranch_execz .LBB262_11
; %bb.10:                               ;   in Loop: Header=BB262_9 Depth=1
	v_add_co_u32 v11, s11, s12, v1
	s_delay_alu instid0(VALU_DEP_1)
	v_add_co_ci_u32_e64 v12, null, s13, 0, s11
	global_load_u16 v28, v[11:12], off
.LBB262_11:                             ;   in Loop: Header=BB262_9 Depth=1
	s_or_b32 exec_lo, exec_lo, s0
	v_add_co_u32 v11, vcc_lo, v2, s6
	v_add_co_ci_u32_e32 v12, vcc_lo, s7, v21, vcc_lo
	s_delay_alu instid0(VALU_DEP_1) | instskip(SKIP_1) | instid1(VALU_DEP_1)
	v_cmp_gt_i64_e32 vcc_lo, s[4:5], v[11:12]
	v_cmp_gt_u64_e64 s0, 0x10000, v[11:12]
	s_and_b32 s11, vcc_lo, s0
	s_delay_alu instid0(SALU_CYCLE_1)
	s_and_saveexec_b32 s0, s11
	s_cbranch_execz .LBB262_13
; %bb.12:                               ;   in Loop: Header=BB262_9 Depth=1
	v_add_co_u32 v13, s11, s12, v24
	s_delay_alu instid0(VALU_DEP_1)
	v_add_co_ci_u32_e64 v14, null, s13, 0, s11
	global_load_u16 v27, v[13:14], off
.LBB262_13:                             ;   in Loop: Header=BB262_9 Depth=1
	s_or_b32 exec_lo, exec_lo, s0
	v_add_co_u32 v13, vcc_lo, v22, s6
	v_add_co_ci_u32_e32 v14, vcc_lo, s7, v23, vcc_lo
	s_delay_alu instid0(VALU_DEP_1) | instskip(SKIP_1) | instid1(VALU_DEP_1)
	v_cmp_gt_i64_e32 vcc_lo, s[4:5], v[13:14]
	v_cmp_gt_u64_e64 s0, 0x10000, v[13:14]
	s_and_b32 s11, vcc_lo, s0
	s_delay_alu instid0(SALU_CYCLE_1)
	s_and_saveexec_b32 s0, s11
	s_cbranch_execz .LBB262_15
; %bb.14:                               ;   in Loop: Header=BB262_9 Depth=1
	v_add_co_u32 v15, vcc_lo, s12, v19
	v_add_co_ci_u32_e32 v16, vcc_lo, s13, v20, vcc_lo
	global_load_u16 v26, v[15:16], off
.LBB262_15:                             ;   in Loop: Header=BB262_9 Depth=1
	s_or_b32 exec_lo, exec_lo, s0
	v_add_co_u32 v15, vcc_lo, v17, s6
	v_add_co_ci_u32_e32 v16, vcc_lo, s7, v18, vcc_lo
	s_delay_alu instid0(VALU_DEP_1) | instskip(SKIP_1) | instid1(VALU_DEP_1)
	v_cmp_gt_i64_e32 vcc_lo, s[4:5], v[15:16]
	v_cmp_gt_u64_e64 s0, 0x10000, v[15:16]
	s_and_b32 s11, vcc_lo, s0
	s_delay_alu instid0(SALU_CYCLE_1)
	s_and_saveexec_b32 s0, s11
	s_cbranch_execnz .LBB262_20
; %bb.16:                               ;   in Loop: Header=BB262_9 Depth=1
	s_or_b32 exec_lo, exec_lo, s0
	s_delay_alu instid0(SALU_CYCLE_1)
	s_mov_b32 s0, exec_lo
	v_cmpx_gt_u64_e64 s[2:3], v[9:10]
	s_cbranch_execnz .LBB262_21
.LBB262_17:                             ;   in Loop: Header=BB262_9 Depth=1
	s_or_b32 exec_lo, exec_lo, s0
	s_delay_alu instid0(SALU_CYCLE_1)
	s_mov_b32 s0, exec_lo
	v_cmpx_gt_u64_e64 s[2:3], v[11:12]
	s_cbranch_execnz .LBB262_22
.LBB262_18:                             ;   in Loop: Header=BB262_9 Depth=1
	s_or_b32 exec_lo, exec_lo, s0
	s_delay_alu instid0(SALU_CYCLE_1)
	s_mov_b32 s0, exec_lo
	v_cmpx_gt_u64_e64 s[2:3], v[13:14]
	s_cbranch_execnz .LBB262_23
.LBB262_19:                             ;   in Loop: Header=BB262_9 Depth=1
	s_or_b32 exec_lo, exec_lo, s0
	s_delay_alu instid0(SALU_CYCLE_1)
	s_mov_b32 s0, exec_lo
	v_cmpx_gt_u64_e64 s[2:3], v[15:16]
	s_cbranch_execz .LBB262_8
	s_branch .LBB262_24
.LBB262_20:                             ;   in Loop: Header=BB262_9 Depth=1
	v_add_co_u32 v29, vcc_lo, s12, v3
	v_add_co_ci_u32_e32 v30, vcc_lo, s13, v4, vcc_lo
	global_load_u16 v25, v[29:30], off
	s_or_b32 exec_lo, exec_lo, s0
	s_delay_alu instid0(SALU_CYCLE_1)
	s_mov_b32 s0, exec_lo
	v_cmpx_gt_u64_e64 s[2:3], v[9:10]
	s_cbranch_execz .LBB262_17
.LBB262_21:                             ;   in Loop: Header=BB262_9 Depth=1
	s_waitcnt vmcnt(0)
	v_lshlrev_b32_e32 v9, 16, v28
	global_store_b32 v[5:6], v9, off
	s_or_b32 exec_lo, exec_lo, s0
	s_delay_alu instid0(SALU_CYCLE_1)
	s_mov_b32 s0, exec_lo
	v_cmpx_gt_u64_e64 s[2:3], v[11:12]
	s_cbranch_execz .LBB262_18
.LBB262_22:                             ;   in Loop: Header=BB262_9 Depth=1
	s_waitcnt vmcnt(0)
	v_lshlrev_b32_e32 v9, 16, v27
	global_store_b32 v[7:8], v9, off
	s_or_b32 exec_lo, exec_lo, s0
	s_delay_alu instid0(SALU_CYCLE_1)
	s_mov_b32 s0, exec_lo
	v_cmpx_gt_u64_e64 s[2:3], v[13:14]
	s_cbranch_execz .LBB262_19
.LBB262_23:                             ;   in Loop: Header=BB262_9 Depth=1
	v_add_co_u32 v9, vcc_lo, v5, s10
	s_waitcnt vmcnt(0)
	v_lshlrev_b32_e32 v11, 16, v26
	v_add_co_ci_u32_e32 v10, vcc_lo, 0, v6, vcc_lo
	global_store_b32 v[9:10], v11, off
	s_or_b32 exec_lo, exec_lo, s0
	s_delay_alu instid0(SALU_CYCLE_1)
	s_mov_b32 s0, exec_lo
	v_cmpx_gt_u64_e64 s[2:3], v[15:16]
	s_cbranch_execz .LBB262_8
.LBB262_24:                             ;   in Loop: Header=BB262_9 Depth=1
	v_add_co_u32 v9, vcc_lo, v5, s9
	s_waitcnt vmcnt(0)
	v_lshlrev_b32_e32 v11, 16, v25
	v_add_co_ci_u32_e32 v10, vcc_lo, 0, v6, vcc_lo
	global_store_b32 v[9:10], v11, off
	s_branch .LBB262_8
.LBB262_25:
	s_nop 0
	s_sendmsg sendmsg(MSG_DEALLOC_VGPRS)
	s_endpgm
	.section	.rodata,"a",@progbits
	.p2align	6, 0x0
	.amdhsa_kernel _ZN2at6native12_GLOBAL__N_125multi_tensor_apply_kernelINS1_18TensorListMetadataILi2EEENS1_11CopyFunctorIfN3c108BFloat16ELi2ELi1ELi1EEEJNS0_4CopyIfS7_EEEEEvT_T0_DpT1_
		.amdhsa_group_segment_fixed_size 0
		.amdhsa_private_segment_fixed_size 0
		.amdhsa_kernarg_size 3408
		.amdhsa_user_sgpr_count 15
		.amdhsa_user_sgpr_dispatch_ptr 0
		.amdhsa_user_sgpr_queue_ptr 0
		.amdhsa_user_sgpr_kernarg_segment_ptr 1
		.amdhsa_user_sgpr_dispatch_id 0
		.amdhsa_user_sgpr_private_segment_size 0
		.amdhsa_wavefront_size32 1
		.amdhsa_uses_dynamic_stack 0
		.amdhsa_enable_private_segment 0
		.amdhsa_system_sgpr_workgroup_id_x 1
		.amdhsa_system_sgpr_workgroup_id_y 0
		.amdhsa_system_sgpr_workgroup_id_z 0
		.amdhsa_system_sgpr_workgroup_info 0
		.amdhsa_system_vgpr_workitem_id 0
		.amdhsa_next_free_vgpr 31
		.amdhsa_next_free_sgpr 20
		.amdhsa_reserve_vcc 1
		.amdhsa_float_round_mode_32 0
		.amdhsa_float_round_mode_16_64 0
		.amdhsa_float_denorm_mode_32 3
		.amdhsa_float_denorm_mode_16_64 3
		.amdhsa_dx10_clamp 1
		.amdhsa_ieee_mode 1
		.amdhsa_fp16_overflow 0
		.amdhsa_workgroup_processor_mode 1
		.amdhsa_memory_ordered 1
		.amdhsa_forward_progress 0
		.amdhsa_shared_vgpr_count 0
		.amdhsa_exception_fp_ieee_invalid_op 0
		.amdhsa_exception_fp_denorm_src 0
		.amdhsa_exception_fp_ieee_div_zero 0
		.amdhsa_exception_fp_ieee_overflow 0
		.amdhsa_exception_fp_ieee_underflow 0
		.amdhsa_exception_fp_ieee_inexact 0
		.amdhsa_exception_int_div_zero 0
	.end_amdhsa_kernel
	.section	.text._ZN2at6native12_GLOBAL__N_125multi_tensor_apply_kernelINS1_18TensorListMetadataILi2EEENS1_11CopyFunctorIfN3c108BFloat16ELi2ELi1ELi1EEEJNS0_4CopyIfS7_EEEEEvT_T0_DpT1_,"axG",@progbits,_ZN2at6native12_GLOBAL__N_125multi_tensor_apply_kernelINS1_18TensorListMetadataILi2EEENS1_11CopyFunctorIfN3c108BFloat16ELi2ELi1ELi1EEEJNS0_4CopyIfS7_EEEEEvT_T0_DpT1_,comdat
.Lfunc_end262:
	.size	_ZN2at6native12_GLOBAL__N_125multi_tensor_apply_kernelINS1_18TensorListMetadataILi2EEENS1_11CopyFunctorIfN3c108BFloat16ELi2ELi1ELi1EEEJNS0_4CopyIfS7_EEEEEvT_T0_DpT1_, .Lfunc_end262-_ZN2at6native12_GLOBAL__N_125multi_tensor_apply_kernelINS1_18TensorListMetadataILi2EEENS1_11CopyFunctorIfN3c108BFloat16ELi2ELi1ELi1EEEJNS0_4CopyIfS7_EEEEEvT_T0_DpT1_
                                        ; -- End function
	.section	.AMDGPU.csdata,"",@progbits
; Kernel info:
; codeLenInByte = 1420
; NumSgprs: 22
; NumVgprs: 31
; ScratchSize: 0
; MemoryBound: 0
; FloatMode: 240
; IeeeMode: 1
; LDSByteSize: 0 bytes/workgroup (compile time only)
; SGPRBlocks: 2
; VGPRBlocks: 3
; NumSGPRsForWavesPerEU: 22
; NumVGPRsForWavesPerEU: 31
; Occupancy: 16
; WaveLimiterHint : 0
; COMPUTE_PGM_RSRC2:SCRATCH_EN: 0
; COMPUTE_PGM_RSRC2:USER_SGPR: 15
; COMPUTE_PGM_RSRC2:TRAP_HANDLER: 0
; COMPUTE_PGM_RSRC2:TGID_X_EN: 1
; COMPUTE_PGM_RSRC2:TGID_Y_EN: 0
; COMPUTE_PGM_RSRC2:TGID_Z_EN: 0
; COMPUTE_PGM_RSRC2:TIDIG_COMP_CNT: 0
	.section	.text._ZN2at6native12_GLOBAL__N_125multi_tensor_apply_kernelINS1_18TensorListMetadataILi2EEENS1_11CopyFunctorIfbLi2ELi1ELi1EEEJNS0_4CopyIfbEEEEEvT_T0_DpT1_,"axG",@progbits,_ZN2at6native12_GLOBAL__N_125multi_tensor_apply_kernelINS1_18TensorListMetadataILi2EEENS1_11CopyFunctorIfbLi2ELi1ELi1EEEJNS0_4CopyIfbEEEEEvT_T0_DpT1_,comdat
	.globl	_ZN2at6native12_GLOBAL__N_125multi_tensor_apply_kernelINS1_18TensorListMetadataILi2EEENS1_11CopyFunctorIfbLi2ELi1ELi1EEEJNS0_4CopyIfbEEEEEvT_T0_DpT1_ ; -- Begin function _ZN2at6native12_GLOBAL__N_125multi_tensor_apply_kernelINS1_18TensorListMetadataILi2EEENS1_11CopyFunctorIfbLi2ELi1ELi1EEEJNS0_4CopyIfbEEEEEvT_T0_DpT1_
	.p2align	8
	.type	_ZN2at6native12_GLOBAL__N_125multi_tensor_apply_kernelINS1_18TensorListMetadataILi2EEENS1_11CopyFunctorIfbLi2ELi1ELi1EEEJNS0_4CopyIfbEEEEEvT_T0_DpT1_,@function
_ZN2at6native12_GLOBAL__N_125multi_tensor_apply_kernelINS1_18TensorListMetadataILi2EEENS1_11CopyFunctorIfbLi2ELi1ELi1EEEJNS0_4CopyIfbEEEEEvT_T0_DpT1_: ; @_ZN2at6native12_GLOBAL__N_125multi_tensor_apply_kernelINS1_18TensorListMetadataILi2EEENS1_11CopyFunctorIfbLi2ELi1ELi1EEEJNS0_4CopyIfbEEEEEvT_T0_DpT1_
; %bb.0:
	v_mov_b32_e32 v1, s15
	s_add_u32 s2, s0, s15
	s_mul_hi_u32 s3, s15, 3
	s_mul_i32 s15, s15, 3
	s_addc_u32 s4, s1, 0
	global_load_u8 v1, v1, s[0:1] offset:1536
	s_add_u32 s2, s2, s15
	s_addc_u32 s3, s4, s3
	s_mov_b32 s17, 0
	s_load_b32 s12, s[2:3], 0x740
	s_mov_b32 s19, s17
	s_waitcnt lgkmcnt(0)
	s_ashr_i32 s13, s12, 31
	s_delay_alu instid0(SALU_CYCLE_1) | instskip(SKIP_2) | instid1(VALU_DEP_1)
	s_lshl_b64 s[10:11], s[12:13], 16
	s_waitcnt vmcnt(0)
	v_readfirstlane_b32 s5, v1
	s_lshl_b32 s2, s5, 3
	s_clause 0x2
	s_load_b64 s[8:9], s[0:1], s2 offset:0x0
	s_load_b64 s[14:15], s[0:1], s2 offset:0x200
	;; [unrolled: 1-line block ×3, first 2 shown]
	s_waitcnt lgkmcnt(0)
	s_add_u32 s3, s8, s10
	s_addc_u32 s6, s9, s11
	s_and_b32 s2, s14, 15
	s_and_b32 s7, s4, 3
	;; [unrolled: 1-line block ×3, first 2 shown]
	s_or_b32 s18, s7, s2
	s_mov_b32 s2, -1
	s_or_b64 s[16:17], s[16:17], s[18:19]
	s_sub_u32 s4, s4, s10
	s_subb_u32 s5, s5, s11
	s_cmp_eq_u64 s[16:17], 0
	s_cbranch_scc0 .LBB263_5
; %bb.1:
	v_dual_mov_b32 v2, 0 :: v_dual_lshlrev_b32 v1, 2, v0
	s_mov_b32 s7, exec_lo
	s_delay_alu instid0(VALU_DEP_1)
	v_cmpx_gt_i64_e64 s[4:5], v[1:2]
	s_cbranch_execz .LBB263_4
; %bb.2:
	s_load_b32 s2, s[0:1], 0xc5c
	v_lshlrev_b32_e32 v3, 4, v0
	s_lshl_b64 s[18:19], s[12:13], 18
	s_waitcnt lgkmcnt(0)
	s_and_b32 s2, s2, 0xffff
	s_delay_alu instid0(SALU_CYCLE_1) | instskip(SKIP_3) | instid1(VALU_DEP_1)
	s_lshl_b32 s16, s2, 2
	s_add_u32 s17, s14, s18
	s_addc_u32 s18, s15, s19
	v_add_co_u32 v3, s17, s17, v3
	v_add_co_ci_u32_e64 v4, null, s18, 0, s17
	s_mov_b32 s17, 0
	s_lshl_b32 s18, s2, 4
	s_set_inst_prefetch_distance 0x1
	.p2align	6
.LBB263_3:                              ; =>This Inner Loop Header: Depth=1
	v_add_co_u32 v5, vcc_lo, s3, v1
	v_add_co_ci_u32_e32 v6, vcc_lo, s6, v2, vcc_lo
	v_add_co_u32 v1, vcc_lo, s16, v1
	v_add_co_ci_u32_e32 v2, vcc_lo, 0, v2, vcc_lo
	global_load_b32 v5, v[5:6], off
	v_cmp_le_i64_e32 vcc_lo, s[4:5], v[1:2]
	v_cmp_lt_u64_e64 s2, 0xffff, v[1:2]
	s_delay_alu instid0(VALU_DEP_1) | instskip(NEXT) | instid1(SALU_CYCLE_1)
	s_or_b32 s2, vcc_lo, s2
	s_and_b32 s2, exec_lo, s2
	s_delay_alu instid0(SALU_CYCLE_1)
	s_or_b32 s17, s2, s17
	s_waitcnt vmcnt(0)
	v_and_b32_e32 v7, 1, v5
	v_and_b32_e32 v8, 0x10000, v5
	v_lshrrev_b16 v6, 8, v5
	v_and_b32_e32 v9, 0x1000000, v5
	s_delay_alu instid0(VALU_DEP_4) | instskip(NEXT) | instid1(VALU_DEP_3)
	v_cmp_eq_u32_e32 vcc_lo, 1, v7
	v_and_b32_e32 v6, 1, v6
	v_cndmask_b32_e64 v5, 0, 1.0, vcc_lo
	v_cmp_ne_u32_e32 vcc_lo, 0, v8
	v_cndmask_b32_e64 v7, 0, 1.0, vcc_lo
	v_cmp_ne_u32_e32 vcc_lo, 0, v9
	v_cndmask_b32_e64 v8, 0, 1.0, vcc_lo
	v_cmp_eq_u32_e32 vcc_lo, 1, v6
	v_cndmask_b32_e64 v6, 0, 1.0, vcc_lo
	global_store_b128 v[3:4], v[5:8], off
	v_add_co_u32 v3, vcc_lo, v3, s18
	v_add_co_ci_u32_e32 v4, vcc_lo, 0, v4, vcc_lo
	s_and_not1_b32 exec_lo, exec_lo, s17
	s_cbranch_execnz .LBB263_3
.LBB263_4:
	s_set_inst_prefetch_distance 0x2
	s_or_b32 exec_lo, exec_lo, s7
	s_mov_b32 s2, 0
.LBB263_5:
	s_delay_alu instid0(SALU_CYCLE_1)
	s_and_not1_b32 vcc_lo, exec_lo, s2
	s_cbranch_vccnz .LBB263_25
; %bb.6:
	v_cmp_lt_i64_e64 s2, s[4:5], 1
	s_delay_alu instid0(VALU_DEP_1)
	s_and_b32 vcc_lo, exec_lo, s2
	s_cbranch_vccnz .LBB263_25
; %bb.7:
	s_load_b32 s0, s[0:1], 0xc5c
	v_cmp_gt_u64_e64 s1, 0x10000, s[4:5]
	v_add_co_u32 v3, s2, s10, v0
	s_delay_alu instid0(VALU_DEP_1) | instskip(SKIP_1) | instid1(VALU_DEP_3)
	v_add_co_ci_u32_e64 v4, null, s11, 0, s2
	v_lshlrev_b32_e32 v1, 2, v0
	v_add_co_u32 v13, vcc_lo, s8, v3
	s_delay_alu instid0(VALU_DEP_3)
	v_add_co_ci_u32_e32 v14, vcc_lo, s9, v4, vcc_lo
                                        ; implicit-def: $vgpr27
                                        ; implicit-def: $vgpr28
                                        ; implicit-def: $vgpr29
                                        ; implicit-def: $vgpr30
	s_waitcnt lgkmcnt(0)
	s_and_b32 s2, s0, 0xffff
	s_and_b32 s0, s1, exec_lo
	s_cselect_b32 s7, s5, 0
	s_cselect_b32 s6, s4, 0x10000
	s_lshl_b64 s[0:1], s[12:13], 18
	s_lshl_b32 s3, s2, 1
	s_lshl_b32 s12, s2, 2
	s_add_u32 s0, s14, s0
	s_mul_i32 s16, s2, 3
	s_addc_u32 s1, s15, s1
	s_lshl_b32 s13, s2, 4
	v_add_co_u32 v1, s15, s0, v1
	s_add_u32 s14, s10, s16
	v_add_co_ci_u32_e64 v2, null, s1, 0, s15
	s_addc_u32 s15, s11, 0
	s_add_u32 s14, s8, s14
	s_addc_u32 s15, s9, s15
	s_add_u32 s10, s10, s3
	v_add_co_u32 v21, s3, s3, v0
	s_delay_alu instid0(VALU_DEP_1)
	v_add_co_ci_u32_e64 v22, null, 0, 0, s3
	v_add_co_u32 v23, s3, v0, s2
	s_addc_u32 s11, s11, 0
	s_add_u32 s10, s8, s10
	s_addc_u32 s11, s9, s11
	v_add_co_u32 v19, s10, s10, v0
	v_lshlrev_b32_e32 v5, 2, v23
	v_add_co_ci_u32_e64 v20, null, s11, 0, s10
	s_lshl_b32 s10, s2, 3
	v_add_co_u32 v15, s14, s14, v0
	s_add_u32 s8, s8, s2
	v_add_co_ci_u32_e64 v16, null, s15, 0, s14
	v_add_co_u32 v17, s14, s16, v0
	s_addc_u32 s9, s9, 0
	v_add_co_u32 v25, vcc_lo, s8, v3
	v_add_co_u32 v3, s0, s0, v5
	v_add_co_ci_u32_e64 v18, null, 0, 0, s14
	v_add_co_ci_u32_e64 v24, null, 0, 0, s3
	v_add_co_ci_u32_e32 v26, vcc_lo, s9, v4, vcc_lo
	v_add_co_ci_u32_e64 v4, null, s1, 0, s0
	s_mul_i32 s11, s2, 12
	s_mov_b64 s[8:9], 0
	s_branch .LBB263_9
.LBB263_8:                              ;   in Loop: Header=BB263_9 Depth=1
	s_or_b32 exec_lo, exec_lo, s1
	s_add_u32 s8, s8, s12
	s_addc_u32 s9, s9, 0
	v_add_co_u32 v1, vcc_lo, v1, s13
	v_cmp_ge_i64_e64 s0, s[8:9], s[4:5]
	v_cmp_lt_u64_e64 s1, 0xffff, s[8:9]
	v_add_co_ci_u32_e32 v2, vcc_lo, 0, v2, vcc_lo
	v_add_co_u32 v3, vcc_lo, v3, s13
	v_add_co_ci_u32_e32 v4, vcc_lo, 0, v4, vcc_lo
	s_delay_alu instid0(VALU_DEP_4) | instskip(NEXT) | instid1(SALU_CYCLE_1)
	s_or_b32 s0, s0, s1
	s_and_b32 vcc_lo, exec_lo, s0
	s_cbranch_vccnz .LBB263_25
.LBB263_9:                              ; =>This Inner Loop Header: Depth=1
	v_add_co_u32 v5, s0, v0, s8
	s_delay_alu instid0(VALU_DEP_1) | instskip(NEXT) | instid1(VALU_DEP_1)
	v_add_co_ci_u32_e64 v6, null, 0, s9, s0
	v_cmp_gt_i64_e32 vcc_lo, s[4:5], v[5:6]
	v_cmp_gt_u64_e64 s0, 0x10000, v[5:6]
	s_delay_alu instid0(VALU_DEP_1) | instskip(NEXT) | instid1(SALU_CYCLE_1)
	s_and_b32 s1, vcc_lo, s0
	s_and_saveexec_b32 s0, s1
	s_cbranch_execz .LBB263_11
; %bb.10:                               ;   in Loop: Header=BB263_9 Depth=1
	v_add_co_u32 v7, vcc_lo, v13, s8
	v_add_co_ci_u32_e32 v8, vcc_lo, s9, v14, vcc_lo
	global_load_u8 v27, v[7:8], off
.LBB263_11:                             ;   in Loop: Header=BB263_9 Depth=1
	s_or_b32 exec_lo, exec_lo, s0
	v_add_co_u32 v7, vcc_lo, v23, s8
	v_add_co_ci_u32_e32 v8, vcc_lo, s9, v24, vcc_lo
	s_delay_alu instid0(VALU_DEP_1) | instskip(SKIP_1) | instid1(VALU_DEP_1)
	v_cmp_gt_i64_e32 vcc_lo, s[4:5], v[7:8]
	v_cmp_gt_u64_e64 s0, 0x10000, v[7:8]
	s_and_b32 s1, vcc_lo, s0
	s_delay_alu instid0(SALU_CYCLE_1)
	s_and_saveexec_b32 s0, s1
	s_cbranch_execz .LBB263_13
; %bb.12:                               ;   in Loop: Header=BB263_9 Depth=1
	v_add_co_u32 v9, vcc_lo, v25, s8
	v_add_co_ci_u32_e32 v10, vcc_lo, s9, v26, vcc_lo
	global_load_u8 v28, v[9:10], off
.LBB263_13:                             ;   in Loop: Header=BB263_9 Depth=1
	s_or_b32 exec_lo, exec_lo, s0
	v_add_co_u32 v9, vcc_lo, v21, s8
	v_add_co_ci_u32_e32 v10, vcc_lo, s9, v22, vcc_lo
	s_delay_alu instid0(VALU_DEP_1) | instskip(SKIP_1) | instid1(VALU_DEP_1)
	v_cmp_gt_i64_e32 vcc_lo, s[4:5], v[9:10]
	v_cmp_gt_u64_e64 s0, 0x10000, v[9:10]
	s_and_b32 s1, vcc_lo, s0
	s_delay_alu instid0(SALU_CYCLE_1)
	;; [unrolled: 15-line block ×3, first 2 shown]
	s_and_saveexec_b32 s0, s1
	s_cbranch_execz .LBB263_17
; %bb.16:                               ;   in Loop: Header=BB263_9 Depth=1
	v_add_co_u32 v30, vcc_lo, v15, s8
	v_add_co_ci_u32_e32 v31, vcc_lo, s9, v16, vcc_lo
	global_load_u8 v30, v[30:31], off
.LBB263_17:                             ;   in Loop: Header=BB263_9 Depth=1
	s_or_b32 exec_lo, exec_lo, s0
	s_waitcnt vmcnt(0)
	v_and_b32_e32 v31, 1, v27
	v_and_b32_e32 v32, 1, v28
	;; [unrolled: 1-line block ×4, first 2 shown]
	s_mov_b32 s14, exec_lo
	v_cmp_eq_u32_e64 s2, 1, v31
	v_cmp_eq_u32_e64 s1, 1, v32
	;; [unrolled: 1-line block ×3, first 2 shown]
	v_cmp_eq_u32_e32 vcc_lo, 1, v34
	v_cmpx_gt_u64_e64 s[6:7], v[5:6]
	s_cbranch_execnz .LBB263_21
; %bb.18:                               ;   in Loop: Header=BB263_9 Depth=1
	s_or_b32 exec_lo, exec_lo, s14
	s_delay_alu instid0(SALU_CYCLE_1)
	s_mov_b32 s3, exec_lo
	v_cmpx_gt_u64_e64 s[6:7], v[7:8]
	s_cbranch_execnz .LBB263_22
.LBB263_19:                             ;   in Loop: Header=BB263_9 Depth=1
	s_or_b32 exec_lo, exec_lo, s3
	s_delay_alu instid0(SALU_CYCLE_1)
	s_mov_b32 s2, exec_lo
	v_cmpx_gt_u64_e64 s[6:7], v[9:10]
	s_cbranch_execnz .LBB263_23
.LBB263_20:                             ;   in Loop: Header=BB263_9 Depth=1
	s_or_b32 exec_lo, exec_lo, s2
	s_delay_alu instid0(SALU_CYCLE_1)
	s_mov_b32 s1, exec_lo
	v_cmpx_gt_u64_e64 s[6:7], v[11:12]
	s_cbranch_execz .LBB263_8
	s_branch .LBB263_24
.LBB263_21:                             ;   in Loop: Header=BB263_9 Depth=1
	v_cndmask_b32_e64 v5, 0, 1.0, s2
	global_store_b32 v[1:2], v5, off
	s_or_b32 exec_lo, exec_lo, s14
	s_delay_alu instid0(SALU_CYCLE_1)
	s_mov_b32 s3, exec_lo
	v_cmpx_gt_u64_e64 s[6:7], v[7:8]
	s_cbranch_execz .LBB263_19
.LBB263_22:                             ;   in Loop: Header=BB263_9 Depth=1
	v_cndmask_b32_e64 v5, 0, 1.0, s1
	global_store_b32 v[3:4], v5, off
	s_or_b32 exec_lo, exec_lo, s3
	s_delay_alu instid0(SALU_CYCLE_1)
	s_mov_b32 s2, exec_lo
	v_cmpx_gt_u64_e64 s[6:7], v[9:10]
	s_cbranch_execz .LBB263_20
.LBB263_23:                             ;   in Loop: Header=BB263_9 Depth=1
	v_cndmask_b32_e64 v7, 0, 1.0, s0
	v_add_co_u32 v5, s0, v1, s10
	s_delay_alu instid0(VALU_DEP_1) | instskip(SKIP_2) | instid1(SALU_CYCLE_1)
	v_add_co_ci_u32_e64 v6, s0, 0, v2, s0
	global_store_b32 v[5:6], v7, off
	s_or_b32 exec_lo, exec_lo, s2
	s_mov_b32 s1, exec_lo
	v_cmpx_gt_u64_e64 s[6:7], v[11:12]
	s_cbranch_execz .LBB263_8
.LBB263_24:                             ;   in Loop: Header=BB263_9 Depth=1
	v_cndmask_b32_e64 v7, 0, 1.0, vcc_lo
	v_add_co_u32 v5, vcc_lo, v1, s11
	v_add_co_ci_u32_e32 v6, vcc_lo, 0, v2, vcc_lo
	global_store_b32 v[5:6], v7, off
	s_branch .LBB263_8
.LBB263_25:
	s_nop 0
	s_sendmsg sendmsg(MSG_DEALLOC_VGPRS)
	s_endpgm
	.section	.rodata,"a",@progbits
	.p2align	6, 0x0
	.amdhsa_kernel _ZN2at6native12_GLOBAL__N_125multi_tensor_apply_kernelINS1_18TensorListMetadataILi2EEENS1_11CopyFunctorIfbLi2ELi1ELi1EEEJNS0_4CopyIfbEEEEEvT_T0_DpT1_
		.amdhsa_group_segment_fixed_size 0
		.amdhsa_private_segment_fixed_size 0
		.amdhsa_kernarg_size 3408
		.amdhsa_user_sgpr_count 15
		.amdhsa_user_sgpr_dispatch_ptr 0
		.amdhsa_user_sgpr_queue_ptr 0
		.amdhsa_user_sgpr_kernarg_segment_ptr 1
		.amdhsa_user_sgpr_dispatch_id 0
		.amdhsa_user_sgpr_private_segment_size 0
		.amdhsa_wavefront_size32 1
		.amdhsa_uses_dynamic_stack 0
		.amdhsa_enable_private_segment 0
		.amdhsa_system_sgpr_workgroup_id_x 1
		.amdhsa_system_sgpr_workgroup_id_y 0
		.amdhsa_system_sgpr_workgroup_id_z 0
		.amdhsa_system_sgpr_workgroup_info 0
		.amdhsa_system_vgpr_workitem_id 0
		.amdhsa_next_free_vgpr 35
		.amdhsa_next_free_sgpr 20
		.amdhsa_reserve_vcc 1
		.amdhsa_float_round_mode_32 0
		.amdhsa_float_round_mode_16_64 0
		.amdhsa_float_denorm_mode_32 3
		.amdhsa_float_denorm_mode_16_64 3
		.amdhsa_dx10_clamp 1
		.amdhsa_ieee_mode 1
		.amdhsa_fp16_overflow 0
		.amdhsa_workgroup_processor_mode 1
		.amdhsa_memory_ordered 1
		.amdhsa_forward_progress 0
		.amdhsa_shared_vgpr_count 0
		.amdhsa_exception_fp_ieee_invalid_op 0
		.amdhsa_exception_fp_denorm_src 0
		.amdhsa_exception_fp_ieee_div_zero 0
		.amdhsa_exception_fp_ieee_overflow 0
		.amdhsa_exception_fp_ieee_underflow 0
		.amdhsa_exception_fp_ieee_inexact 0
		.amdhsa_exception_int_div_zero 0
	.end_amdhsa_kernel
	.section	.text._ZN2at6native12_GLOBAL__N_125multi_tensor_apply_kernelINS1_18TensorListMetadataILi2EEENS1_11CopyFunctorIfbLi2ELi1ELi1EEEJNS0_4CopyIfbEEEEEvT_T0_DpT1_,"axG",@progbits,_ZN2at6native12_GLOBAL__N_125multi_tensor_apply_kernelINS1_18TensorListMetadataILi2EEENS1_11CopyFunctorIfbLi2ELi1ELi1EEEJNS0_4CopyIfbEEEEEvT_T0_DpT1_,comdat
.Lfunc_end263:
	.size	_ZN2at6native12_GLOBAL__N_125multi_tensor_apply_kernelINS1_18TensorListMetadataILi2EEENS1_11CopyFunctorIfbLi2ELi1ELi1EEEJNS0_4CopyIfbEEEEEvT_T0_DpT1_, .Lfunc_end263-_ZN2at6native12_GLOBAL__N_125multi_tensor_apply_kernelINS1_18TensorListMetadataILi2EEENS1_11CopyFunctorIfbLi2ELi1ELi1EEEJNS0_4CopyIfbEEEEEvT_T0_DpT1_
                                        ; -- End function
	.section	.AMDGPU.csdata,"",@progbits
; Kernel info:
; codeLenInByte = 1476
; NumSgprs: 22
; NumVgprs: 35
; ScratchSize: 0
; MemoryBound: 0
; FloatMode: 240
; IeeeMode: 1
; LDSByteSize: 0 bytes/workgroup (compile time only)
; SGPRBlocks: 2
; VGPRBlocks: 4
; NumSGPRsForWavesPerEU: 22
; NumVGPRsForWavesPerEU: 35
; Occupancy: 16
; WaveLimiterHint : 0
; COMPUTE_PGM_RSRC2:SCRATCH_EN: 0
; COMPUTE_PGM_RSRC2:USER_SGPR: 15
; COMPUTE_PGM_RSRC2:TRAP_HANDLER: 0
; COMPUTE_PGM_RSRC2:TGID_X_EN: 1
; COMPUTE_PGM_RSRC2:TGID_Y_EN: 0
; COMPUTE_PGM_RSRC2:TGID_Z_EN: 0
; COMPUTE_PGM_RSRC2:TIDIG_COMP_CNT: 0
	.section	.text._ZN2at6native12_GLOBAL__N_125multi_tensor_apply_kernelINS1_18TensorListMetadataILi2EEENS1_11CopyFunctorIfN3c1013Float8_e4m3fnELi2ELi1ELi1EEEJNS0_4CopyIfS7_EEEEEvT_T0_DpT1_,"axG",@progbits,_ZN2at6native12_GLOBAL__N_125multi_tensor_apply_kernelINS1_18TensorListMetadataILi2EEENS1_11CopyFunctorIfN3c1013Float8_e4m3fnELi2ELi1ELi1EEEJNS0_4CopyIfS7_EEEEEvT_T0_DpT1_,comdat
	.globl	_ZN2at6native12_GLOBAL__N_125multi_tensor_apply_kernelINS1_18TensorListMetadataILi2EEENS1_11CopyFunctorIfN3c1013Float8_e4m3fnELi2ELi1ELi1EEEJNS0_4CopyIfS7_EEEEEvT_T0_DpT1_ ; -- Begin function _ZN2at6native12_GLOBAL__N_125multi_tensor_apply_kernelINS1_18TensorListMetadataILi2EEENS1_11CopyFunctorIfN3c1013Float8_e4m3fnELi2ELi1ELi1EEEJNS0_4CopyIfS7_EEEEEvT_T0_DpT1_
	.p2align	8
	.type	_ZN2at6native12_GLOBAL__N_125multi_tensor_apply_kernelINS1_18TensorListMetadataILi2EEENS1_11CopyFunctorIfN3c1013Float8_e4m3fnELi2ELi1ELi1EEEJNS0_4CopyIfS7_EEEEEvT_T0_DpT1_,@function
_ZN2at6native12_GLOBAL__N_125multi_tensor_apply_kernelINS1_18TensorListMetadataILi2EEENS1_11CopyFunctorIfN3c1013Float8_e4m3fnELi2ELi1ELi1EEEJNS0_4CopyIfS7_EEEEEvT_T0_DpT1_: ; @_ZN2at6native12_GLOBAL__N_125multi_tensor_apply_kernelINS1_18TensorListMetadataILi2EEENS1_11CopyFunctorIfN3c1013Float8_e4m3fnELi2ELi1ELi1EEEJNS0_4CopyIfS7_EEEEEvT_T0_DpT1_
; %bb.0:
	v_mov_b32_e32 v1, s15
	s_add_u32 s2, s0, s15
	s_mul_hi_u32 s3, s15, 3
	s_mul_i32 s15, s15, 3
	s_addc_u32 s4, s1, 0
	global_load_u8 v1, v1, s[0:1] offset:1536
	s_add_u32 s2, s2, s15
	s_addc_u32 s3, s4, s3
	s_load_b32 s10, s[2:3], 0x740
	s_waitcnt lgkmcnt(0)
	s_ashr_i32 s11, s10, 31
	s_delay_alu instid0(SALU_CYCLE_1) | instskip(SKIP_2) | instid1(VALU_DEP_1)
	s_lshl_b64 s[8:9], s[10:11], 16
	s_waitcnt vmcnt(0)
	v_readfirstlane_b32 s5, v1
	s_lshl_b32 s2, s5, 3
	s_mov_b32 s5, 0
	s_clause 0x2
	s_load_b64 s[6:7], s[0:1], s2 offset:0x0
	s_load_b64 s[12:13], s[0:1], s2 offset:0x200
	;; [unrolled: 1-line block ×3, first 2 shown]
	s_waitcnt lgkmcnt(0)
	s_add_u32 s14, s6, s8
	s_addc_u32 s15, s7, s9
	s_and_b32 s16, s12, 15
	s_and_b32 s17, s2, 3
	;; [unrolled: 1-line block ×3, first 2 shown]
	s_or_b32 s16, s17, s16
	s_mov_b32 s17, s5
	s_delay_alu instid0(SALU_CYCLE_1)
	s_or_b64 s[16:17], s[4:5], s[16:17]
	s_sub_u32 s4, s2, s8
	s_subb_u32 s5, s3, s9
	s_cmp_eq_u64 s[16:17], 0
	s_mov_b32 s2, -1
	s_cbranch_scc0 .LBB264_5
; %bb.1:
	v_dual_mov_b32 v2, 0 :: v_dual_lshlrev_b32 v1, 2, v0
	s_mov_b32 s16, exec_lo
	s_delay_alu instid0(VALU_DEP_1)
	v_cmpx_gt_i64_e64 s[4:5], v[1:2]
	s_cbranch_execz .LBB264_4
; %bb.2:
	s_load_b32 s17, s[0:1], 0xc5c
	v_lshlrev_b32_e32 v3, 4, v0
	s_lshl_b64 s[2:3], s[10:11], 18
	s_mov_b32 s18, 0
	s_waitcnt lgkmcnt(0)
	s_and_b32 s19, s17, 0xffff
	s_delay_alu instid0(SALU_CYCLE_1) | instskip(SKIP_3) | instid1(VALU_DEP_1)
	s_lshl_b32 s17, s19, 2
	s_add_u32 s2, s12, s2
	s_addc_u32 s3, s13, s3
	v_add_co_u32 v3, s2, s2, v3
	v_add_co_ci_u32_e64 v4, null, s3, 0, s2
	s_lshl_b32 s19, s19, 4
.LBB264_3:                              ; =>This Inner Loop Header: Depth=1
	v_add_co_u32 v5, vcc_lo, s14, v1
	v_add_co_ci_u32_e32 v6, vcc_lo, s15, v2, vcc_lo
	v_add_co_u32 v1, vcc_lo, s17, v1
	v_add_co_ci_u32_e32 v2, vcc_lo, 0, v2, vcc_lo
	global_load_b32 v5, v[5:6], off
	v_cmp_le_i64_e32 vcc_lo, s[4:5], v[1:2]
	v_cmp_lt_u64_e64 s2, 0xffff, v[1:2]
	s_delay_alu instid0(VALU_DEP_1) | instskip(NEXT) | instid1(SALU_CYCLE_1)
	s_or_b32 s2, vcc_lo, s2
	s_and_b32 s20, exec_lo, s2
	s_delay_alu instid0(SALU_CYCLE_1) | instskip(SKIP_4) | instid1(VALU_DEP_3)
	s_or_b32 s18, s20, s18
	s_waitcnt vmcnt(0)
	v_lshlrev_b32_e32 v6, 24, v5
	v_and_b32_e32 v8, 0x7f000000, v5
	v_lshlrev_b32_e32 v9, 8, v5
	v_and_b32_e32 v10, 0x7f000000, v6
	s_delay_alu instid0(VALU_DEP_3) | instskip(SKIP_1) | instid1(VALU_DEP_4)
	v_clz_i32_u32_e32 v13, v8
	v_cmp_ne_u32_e32 vcc_lo, 0, v8
	v_and_b32_e32 v12, 0x7f000000, v9
	v_add_nc_u32_e32 v14, 0x1000000, v8
	v_clz_i32_u32_e32 v15, v10
	v_min_u32_e32 v13, 32, v13
	v_add_nc_u32_e32 v16, 0x1000000, v10
	v_clz_i32_u32_e32 v19, v12
	v_ashrrev_i32_e32 v14, 8, v14
	v_min_u32_e32 v15, 32, v15
	v_sub_nc_u32_e64 v13, v13, 4 clamp
	v_ashrrev_i32_e32 v16, 8, v16
	v_min_u32_e32 v19, 32, v19
	v_add_nc_u32_e32 v20, 0x1000000, v12
	v_sub_nc_u32_e64 v15, v15, 4 clamp
	v_lshlrev_b32_e32 v21, v13, v8
	v_lshlrev_b32_e32 v13, 23, v13
	v_sub_nc_u32_e64 v19, v19, 4 clamp
	v_cmp_ne_u32_e64 s3, 0, v12
	v_lshlrev_b32_e32 v22, v15, v10
	v_lshrrev_b32_e32 v21, 4, v21
	v_lshlrev_b32_e32 v15, 23, v15
	v_lshlrev_b32_e32 v24, v19, v12
	;; [unrolled: 1-line block ×3, first 2 shown]
	v_lshrrev_b32_e32 v22, 4, v22
	v_sub_nc_u32_e32 v13, v21, v13
	v_ashrrev_i32_e32 v20, 8, v20
	v_lshrrev_b32_e32 v24, 4, v24
	s_delay_alu instid0(VALU_DEP_4) | instskip(NEXT) | instid1(VALU_DEP_4)
	v_sub_nc_u32_e32 v15, v22, v15
	v_add_nc_u32_e32 v13, 0x3c000000, v13
	s_delay_alu instid0(VALU_DEP_3) | instskip(NEXT) | instid1(VALU_DEP_3)
	v_sub_nc_u32_e32 v19, v24, v19
	v_add_nc_u32_e32 v15, 0x3c000000, v15
	s_delay_alu instid0(VALU_DEP_3) | instskip(NEXT) | instid1(VALU_DEP_3)
	v_and_or_b32 v13, 0x7f800000, v14, v13
	v_add_nc_u32_e32 v19, 0x3c000000, v19
	s_delay_alu instid0(VALU_DEP_3) | instskip(NEXT) | instid1(VALU_DEP_3)
	v_and_or_b32 v8, 0x7f800000, v16, v15
	v_cndmask_b32_e32 v12, 0, v13, vcc_lo
	v_cmp_ne_u32_e32 vcc_lo, 0, v10
	s_delay_alu instid0(VALU_DEP_3) | instskip(NEXT) | instid1(VALU_DEP_1)
	v_dual_cndmask_b32 v10, 0, v8 :: v_dual_lshlrev_b32 v7, 16, v5
	v_and_b32_e32 v11, 0x7f000000, v7
	s_delay_alu instid0(VALU_DEP_4) | instskip(NEXT) | instid1(VALU_DEP_3)
	v_and_or_b32 v8, 0x80000000, v5, v12
	v_and_or_b32 v5, 0x80000000, v6, v10
	s_delay_alu instid0(VALU_DEP_3) | instskip(SKIP_2) | instid1(VALU_DEP_3)
	v_clz_i32_u32_e32 v17, v11
	v_add_nc_u32_e32 v18, 0x1000000, v11
	v_cmp_ne_u32_e64 s2, 0, v11
	v_min_u32_e32 v17, 32, v17
	s_delay_alu instid0(VALU_DEP_3) | instskip(NEXT) | instid1(VALU_DEP_2)
	v_ashrrev_i32_e32 v18, 8, v18
	v_sub_nc_u32_e64 v17, v17, 4 clamp
	s_delay_alu instid0(VALU_DEP_1) | instskip(SKIP_2) | instid1(VALU_DEP_3)
	v_lshlrev_b32_e32 v23, v17, v11
	v_lshlrev_b32_e32 v17, 23, v17
	v_and_or_b32 v11, 0x7f800000, v20, v19
	v_lshrrev_b32_e32 v23, 4, v23
	s_delay_alu instid0(VALU_DEP_2) | instskip(NEXT) | instid1(VALU_DEP_2)
	v_cndmask_b32_e64 v11, 0, v11, s3
	v_sub_nc_u32_e32 v17, v23, v17
	s_delay_alu instid0(VALU_DEP_1) | instskip(NEXT) | instid1(VALU_DEP_1)
	v_add_nc_u32_e32 v17, 0x3c000000, v17
	v_and_or_b32 v14, 0x7f800000, v18, v17
	s_delay_alu instid0(VALU_DEP_1) | instskip(NEXT) | instid1(VALU_DEP_1)
	v_cndmask_b32_e64 v13, 0, v14, s2
	v_and_or_b32 v6, 0x80000000, v7, v13
	v_and_or_b32 v7, 0x80000000, v9, v11
	global_store_b128 v[3:4], v[5:8], off
	v_add_co_u32 v3, vcc_lo, v3, s19
	v_add_co_ci_u32_e32 v4, vcc_lo, 0, v4, vcc_lo
	s_and_not1_b32 exec_lo, exec_lo, s18
	s_cbranch_execnz .LBB264_3
.LBB264_4:
	s_or_b32 exec_lo, exec_lo, s16
	s_mov_b32 s2, 0
.LBB264_5:
	s_delay_alu instid0(SALU_CYCLE_1)
	s_and_not1_b32 vcc_lo, exec_lo, s2
	s_cbranch_vccnz .LBB264_25
; %bb.6:
	v_cmp_lt_i64_e64 s2, s[4:5], 1
	s_delay_alu instid0(VALU_DEP_1)
	s_and_b32 vcc_lo, exec_lo, s2
	s_cbranch_vccnz .LBB264_25
; %bb.7:
	s_load_b32 s0, s[0:1], 0xc5c
	v_cmp_gt_u64_e64 s1, 0x10000, s[4:5]
	v_add_co_u32 v3, s2, s8, v0
	v_lshlrev_b32_e32 v1, 2, v0
	v_add_co_ci_u32_e64 v4, null, s9, 0, s2
	s_delay_alu instid0(VALU_DEP_3) | instskip(NEXT) | instid1(VALU_DEP_2)
	v_add_co_u32 v13, vcc_lo, s6, v3
                                        ; implicit-def: $vgpr27
                                        ; implicit-def: $vgpr28
                                        ; implicit-def: $vgpr29
                                        ; implicit-def: $vgpr30
	v_add_co_ci_u32_e32 v14, vcc_lo, s7, v4, vcc_lo
	s_waitcnt lgkmcnt(0)
	s_and_b32 s0, s0, 0xffff
	s_and_b32 s1, s1, exec_lo
	s_cselect_b32 s3, s5, 0
	s_cselect_b32 s2, s4, 0x10000
	s_lshl_b64 s[10:11], s[10:11], 18
	s_lshl_b32 s14, s0, 1
	s_lshl_b32 s1, s0, 2
	s_add_u32 s12, s12, s10
	s_mul_i32 s15, s0, 3
	s_addc_u32 s11, s13, s11
	s_lshl_b32 s10, s0, 4
	v_add_co_u32 v1, s16, s12, v1
	s_add_u32 s13, s8, s15
	v_add_co_ci_u32_e64 v2, null, s11, 0, s16
	s_addc_u32 s16, s9, 0
	s_add_u32 s13, s6, s13
	s_addc_u32 s16, s7, s16
	s_add_u32 s8, s8, s14
	s_addc_u32 s9, s9, 0
	s_add_u32 s8, s6, s8
	s_addc_u32 s9, s7, s9
	v_add_co_u32 v19, s8, s8, v0
	s_delay_alu instid0(VALU_DEP_1) | instskip(SKIP_1) | instid1(VALU_DEP_1)
	v_add_co_ci_u32_e64 v20, null, s9, 0, s8
	v_add_co_u32 v21, s9, s14, v0
	v_add_co_ci_u32_e64 v22, null, 0, 0, s9
	v_add_co_u32 v23, s9, v0, s0
	s_lshl_b32 s8, s0, 3
	v_add_co_u32 v15, s13, s13, v0
	s_delay_alu instid0(VALU_DEP_2)
	v_lshlrev_b32_e32 v5, 2, v23
	s_add_u32 s6, s6, s0
	v_add_co_ci_u32_e64 v16, null, s16, 0, s13
	v_add_co_u32 v17, s13, s15, v0
	s_addc_u32 s7, s7, 0
	v_add_co_u32 v25, vcc_lo, s6, v3
	v_add_co_u32 v3, s6, s12, v5
	v_add_co_ci_u32_e64 v18, null, 0, 0, s13
	v_add_co_ci_u32_e64 v24, null, 0, 0, s9
	v_add_co_ci_u32_e32 v26, vcc_lo, s7, v4, vcc_lo
	v_add_co_ci_u32_e64 v4, null, s11, 0, s6
	s_mul_i32 s9, s0, 12
	s_mov_b64 s[6:7], 0
	s_branch .LBB264_9
.LBB264_8:                              ;   in Loop: Header=BB264_9 Depth=1
	s_or_b32 exec_lo, exec_lo, s0
	s_add_u32 s6, s6, s1
	s_addc_u32 s7, s7, 0
	v_add_co_u32 v1, vcc_lo, v1, s10
	v_cmp_ge_i64_e64 s0, s[6:7], s[4:5]
	v_cmp_lt_u64_e64 s11, 0xffff, s[6:7]
	v_add_co_ci_u32_e32 v2, vcc_lo, 0, v2, vcc_lo
	v_add_co_u32 v3, vcc_lo, v3, s10
	v_add_co_ci_u32_e32 v4, vcc_lo, 0, v4, vcc_lo
	s_delay_alu instid0(VALU_DEP_4) | instskip(NEXT) | instid1(SALU_CYCLE_1)
	s_or_b32 s0, s0, s11
	s_and_b32 vcc_lo, exec_lo, s0
	s_cbranch_vccnz .LBB264_25
.LBB264_9:                              ; =>This Inner Loop Header: Depth=1
	v_add_co_u32 v11, s0, v0, s6
	s_delay_alu instid0(VALU_DEP_1) | instskip(NEXT) | instid1(VALU_DEP_1)
	v_add_co_ci_u32_e64 v12, null, 0, s7, s0
	v_cmp_gt_i64_e32 vcc_lo, s[4:5], v[11:12]
	v_cmp_gt_u64_e64 s0, 0x10000, v[11:12]
	s_delay_alu instid0(VALU_DEP_1) | instskip(NEXT) | instid1(SALU_CYCLE_1)
	s_and_b32 s11, vcc_lo, s0
	s_and_saveexec_b32 s0, s11
	s_cbranch_execz .LBB264_11
; %bb.10:                               ;   in Loop: Header=BB264_9 Depth=1
	v_add_co_u32 v5, vcc_lo, v13, s6
	v_add_co_ci_u32_e32 v6, vcc_lo, s7, v14, vcc_lo
	global_load_u8 v30, v[5:6], off
.LBB264_11:                             ;   in Loop: Header=BB264_9 Depth=1
	s_or_b32 exec_lo, exec_lo, s0
	v_add_co_u32 v9, vcc_lo, v23, s6
	v_add_co_ci_u32_e32 v10, vcc_lo, s7, v24, vcc_lo
	s_delay_alu instid0(VALU_DEP_1) | instskip(SKIP_1) | instid1(VALU_DEP_1)
	v_cmp_gt_i64_e32 vcc_lo, s[4:5], v[9:10]
	v_cmp_gt_u64_e64 s0, 0x10000, v[9:10]
	s_and_b32 s11, vcc_lo, s0
	s_delay_alu instid0(SALU_CYCLE_1)
	s_and_saveexec_b32 s0, s11
	s_cbranch_execz .LBB264_13
; %bb.12:                               ;   in Loop: Header=BB264_9 Depth=1
	v_add_co_u32 v5, vcc_lo, v25, s6
	v_add_co_ci_u32_e32 v6, vcc_lo, s7, v26, vcc_lo
	global_load_u8 v29, v[5:6], off
.LBB264_13:                             ;   in Loop: Header=BB264_9 Depth=1
	s_or_b32 exec_lo, exec_lo, s0
	v_add_co_u32 v7, vcc_lo, v21, s6
	v_add_co_ci_u32_e32 v8, vcc_lo, s7, v22, vcc_lo
	s_delay_alu instid0(VALU_DEP_1) | instskip(SKIP_1) | instid1(VALU_DEP_1)
	v_cmp_gt_i64_e32 vcc_lo, s[4:5], v[7:8]
	v_cmp_gt_u64_e64 s0, 0x10000, v[7:8]
	s_and_b32 s11, vcc_lo, s0
	s_delay_alu instid0(SALU_CYCLE_1)
	;; [unrolled: 15-line block ×3, first 2 shown]
	s_and_saveexec_b32 s0, s11
	s_cbranch_execnz .LBB264_20
; %bb.16:                               ;   in Loop: Header=BB264_9 Depth=1
	s_or_b32 exec_lo, exec_lo, s0
	s_delay_alu instid0(SALU_CYCLE_1)
	s_mov_b32 s0, exec_lo
	v_cmpx_gt_u64_e64 s[2:3], v[11:12]
	s_cbranch_execnz .LBB264_21
.LBB264_17:                             ;   in Loop: Header=BB264_9 Depth=1
	s_or_b32 exec_lo, exec_lo, s0
	s_delay_alu instid0(SALU_CYCLE_1)
	s_mov_b32 s0, exec_lo
	v_cmpx_gt_u64_e64 s[2:3], v[9:10]
	s_cbranch_execnz .LBB264_22
.LBB264_18:                             ;   in Loop: Header=BB264_9 Depth=1
	s_or_b32 exec_lo, exec_lo, s0
	s_delay_alu instid0(SALU_CYCLE_1)
	s_mov_b32 s0, exec_lo
	v_cmpx_gt_u64_e64 s[2:3], v[7:8]
	s_cbranch_execnz .LBB264_23
.LBB264_19:                             ;   in Loop: Header=BB264_9 Depth=1
	s_or_b32 exec_lo, exec_lo, s0
	s_delay_alu instid0(SALU_CYCLE_1)
	s_mov_b32 s0, exec_lo
	v_cmpx_gt_u64_e64 s[2:3], v[5:6]
	s_cbranch_execz .LBB264_8
	s_branch .LBB264_24
.LBB264_20:                             ;   in Loop: Header=BB264_9 Depth=1
	v_add_co_u32 v31, vcc_lo, v15, s6
	v_add_co_ci_u32_e32 v32, vcc_lo, s7, v16, vcc_lo
	global_load_u8 v27, v[31:32], off
	s_or_b32 exec_lo, exec_lo, s0
	s_delay_alu instid0(SALU_CYCLE_1)
	s_mov_b32 s0, exec_lo
	v_cmpx_gt_u64_e64 s[2:3], v[11:12]
	s_cbranch_execz .LBB264_17
.LBB264_21:                             ;   in Loop: Header=BB264_9 Depth=1
	s_waitcnt vmcnt(0)
	v_lshlrev_b32_e32 v11, 24, v30
	s_delay_alu instid0(VALU_DEP_1) | instskip(NEXT) | instid1(VALU_DEP_1)
	v_and_b32_e32 v12, 0x7f000000, v11
	v_clz_i32_u32_e32 v31, v12
	v_cmp_ne_u32_e32 vcc_lo, 0, v12
	s_delay_alu instid0(VALU_DEP_2) | instskip(NEXT) | instid1(VALU_DEP_1)
	v_min_u32_e32 v31, 32, v31
	v_sub_nc_u32_e64 v31, v31, 4 clamp
	s_delay_alu instid0(VALU_DEP_1) | instskip(SKIP_1) | instid1(VALU_DEP_2)
	v_lshlrev_b32_e32 v32, v31, v12
	v_lshlrev_b32_e32 v31, 23, v31
	v_lshrrev_b32_e32 v32, 4, v32
	s_delay_alu instid0(VALU_DEP_1) | instskip(SKIP_1) | instid1(VALU_DEP_2)
	v_sub_nc_u32_e32 v31, v32, v31
	v_add_nc_u32_e32 v32, 0x1000000, v12
	v_add_nc_u32_e32 v31, 0x3c000000, v31
	s_delay_alu instid0(VALU_DEP_2) | instskip(NEXT) | instid1(VALU_DEP_1)
	v_ashrrev_i32_e32 v32, 8, v32
	v_and_or_b32 v31, 0x7f800000, v32, v31
	s_delay_alu instid0(VALU_DEP_1) | instskip(NEXT) | instid1(VALU_DEP_1)
	v_cndmask_b32_e32 v12, 0, v31, vcc_lo
	v_and_or_b32 v11, 0x80000000, v11, v12
	global_store_b32 v[1:2], v11, off
	s_or_b32 exec_lo, exec_lo, s0
	s_delay_alu instid0(SALU_CYCLE_1)
	s_mov_b32 s0, exec_lo
	v_cmpx_gt_u64_e64 s[2:3], v[9:10]
	s_cbranch_execz .LBB264_18
.LBB264_22:                             ;   in Loop: Header=BB264_9 Depth=1
	s_waitcnt vmcnt(0)
	v_lshlrev_b32_e32 v9, 24, v29
	s_delay_alu instid0(VALU_DEP_1) | instskip(NEXT) | instid1(VALU_DEP_1)
	v_and_b32_e32 v10, 0x7f000000, v9
	v_clz_i32_u32_e32 v11, v10
	v_add_nc_u32_e32 v31, 0x1000000, v10
	v_cmp_ne_u32_e32 vcc_lo, 0, v10
	s_delay_alu instid0(VALU_DEP_3) | instskip(NEXT) | instid1(VALU_DEP_1)
	v_min_u32_e32 v11, 32, v11
	v_sub_nc_u32_e64 v11, v11, 4 clamp
	s_delay_alu instid0(VALU_DEP_1) | instskip(SKIP_1) | instid1(VALU_DEP_2)
	v_lshlrev_b32_e32 v12, v11, v10
	v_lshlrev_b32_e32 v11, 23, v11
	v_lshrrev_b32_e32 v12, 4, v12
	s_delay_alu instid0(VALU_DEP_1) | instskip(SKIP_1) | instid1(VALU_DEP_2)
	v_sub_nc_u32_e32 v11, v12, v11
	v_ashrrev_i32_e32 v12, 8, v31
	v_add_nc_u32_e32 v11, 0x3c000000, v11
	s_delay_alu instid0(VALU_DEP_1) | instskip(NEXT) | instid1(VALU_DEP_1)
	v_and_or_b32 v11, 0x7f800000, v12, v11
	v_cndmask_b32_e32 v10, 0, v11, vcc_lo
	s_delay_alu instid0(VALU_DEP_1) | instskip(SKIP_2) | instid1(SALU_CYCLE_1)
	v_and_or_b32 v9, 0x80000000, v9, v10
	global_store_b32 v[3:4], v9, off
	s_or_b32 exec_lo, exec_lo, s0
	s_mov_b32 s0, exec_lo
	v_cmpx_gt_u64_e64 s[2:3], v[7:8]
	s_cbranch_execz .LBB264_19
.LBB264_23:                             ;   in Loop: Header=BB264_9 Depth=1
	s_waitcnt vmcnt(0)
	v_lshlrev_b32_e32 v7, 24, v28
	s_delay_alu instid0(VALU_DEP_1) | instskip(NEXT) | instid1(VALU_DEP_1)
	v_and_b32_e32 v8, 0x7f000000, v7
	v_clz_i32_u32_e32 v9, v8
	v_add_nc_u32_e32 v11, 0x1000000, v8
	v_cmp_ne_u32_e32 vcc_lo, 0, v8
	s_delay_alu instid0(VALU_DEP_3) | instskip(NEXT) | instid1(VALU_DEP_1)
	v_min_u32_e32 v9, 32, v9
	v_sub_nc_u32_e64 v9, v9, 4 clamp
	s_delay_alu instid0(VALU_DEP_1) | instskip(SKIP_1) | instid1(VALU_DEP_2)
	v_lshlrev_b32_e32 v10, v9, v8
	v_lshlrev_b32_e32 v9, 23, v9
	v_lshrrev_b32_e32 v10, 4, v10
	s_delay_alu instid0(VALU_DEP_1) | instskip(SKIP_1) | instid1(VALU_DEP_2)
	v_sub_nc_u32_e32 v9, v10, v9
	v_ashrrev_i32_e32 v10, 8, v11
	v_add_nc_u32_e32 v9, 0x3c000000, v9
	s_delay_alu instid0(VALU_DEP_1) | instskip(NEXT) | instid1(VALU_DEP_1)
	v_and_or_b32 v9, 0x7f800000, v10, v9
	v_cndmask_b32_e32 v8, 0, v9, vcc_lo
	s_delay_alu instid0(VALU_DEP_1) | instskip(SKIP_4) | instid1(SALU_CYCLE_1)
	v_and_or_b32 v9, 0x80000000, v7, v8
	v_add_co_u32 v7, vcc_lo, v1, s8
	v_add_co_ci_u32_e32 v8, vcc_lo, 0, v2, vcc_lo
	global_store_b32 v[7:8], v9, off
	s_or_b32 exec_lo, exec_lo, s0
	s_mov_b32 s0, exec_lo
	v_cmpx_gt_u64_e64 s[2:3], v[5:6]
	s_cbranch_execz .LBB264_8
.LBB264_24:                             ;   in Loop: Header=BB264_9 Depth=1
	s_waitcnt vmcnt(0)
	v_lshlrev_b32_e32 v5, 24, v27
	s_delay_alu instid0(VALU_DEP_1) | instskip(NEXT) | instid1(VALU_DEP_1)
	v_and_b32_e32 v6, 0x7f000000, v5
	v_clz_i32_u32_e32 v7, v6
	v_cmp_ne_u32_e32 vcc_lo, 0, v6
	v_add_nc_u32_e32 v9, 0x1000000, v6
	s_delay_alu instid0(VALU_DEP_3) | instskip(NEXT) | instid1(VALU_DEP_1)
	v_min_u32_e32 v7, 32, v7
	v_sub_nc_u32_e64 v7, v7, 4 clamp
	s_delay_alu instid0(VALU_DEP_1) | instskip(SKIP_1) | instid1(VALU_DEP_2)
	v_lshlrev_b32_e32 v8, v7, v6
	v_lshlrev_b32_e32 v7, 23, v7
	v_lshrrev_b32_e32 v8, 4, v8
	s_delay_alu instid0(VALU_DEP_1) | instskip(SKIP_1) | instid1(VALU_DEP_2)
	v_sub_nc_u32_e32 v7, v8, v7
	v_ashrrev_i32_e32 v8, 8, v9
	v_add_nc_u32_e32 v7, 0x3c000000, v7
	s_delay_alu instid0(VALU_DEP_1) | instskip(NEXT) | instid1(VALU_DEP_1)
	v_and_or_b32 v7, 0x7f800000, v8, v7
	v_cndmask_b32_e32 v6, 0, v7, vcc_lo
	s_delay_alu instid0(VALU_DEP_1)
	v_and_or_b32 v7, 0x80000000, v5, v6
	v_add_co_u32 v5, vcc_lo, v1, s9
	v_add_co_ci_u32_e32 v6, vcc_lo, 0, v2, vcc_lo
	global_store_b32 v[5:6], v7, off
	s_branch .LBB264_8
.LBB264_25:
	s_nop 0
	s_sendmsg sendmsg(MSG_DEALLOC_VGPRS)
	s_endpgm
	.section	.rodata,"a",@progbits
	.p2align	6, 0x0
	.amdhsa_kernel _ZN2at6native12_GLOBAL__N_125multi_tensor_apply_kernelINS1_18TensorListMetadataILi2EEENS1_11CopyFunctorIfN3c1013Float8_e4m3fnELi2ELi1ELi1EEEJNS0_4CopyIfS7_EEEEEvT_T0_DpT1_
		.amdhsa_group_segment_fixed_size 0
		.amdhsa_private_segment_fixed_size 0
		.amdhsa_kernarg_size 3408
		.amdhsa_user_sgpr_count 15
		.amdhsa_user_sgpr_dispatch_ptr 0
		.amdhsa_user_sgpr_queue_ptr 0
		.amdhsa_user_sgpr_kernarg_segment_ptr 1
		.amdhsa_user_sgpr_dispatch_id 0
		.amdhsa_user_sgpr_private_segment_size 0
		.amdhsa_wavefront_size32 1
		.amdhsa_uses_dynamic_stack 0
		.amdhsa_enable_private_segment 0
		.amdhsa_system_sgpr_workgroup_id_x 1
		.amdhsa_system_sgpr_workgroup_id_y 0
		.amdhsa_system_sgpr_workgroup_id_z 0
		.amdhsa_system_sgpr_workgroup_info 0
		.amdhsa_system_vgpr_workitem_id 0
		.amdhsa_next_free_vgpr 33
		.amdhsa_next_free_sgpr 21
		.amdhsa_reserve_vcc 1
		.amdhsa_float_round_mode_32 0
		.amdhsa_float_round_mode_16_64 0
		.amdhsa_float_denorm_mode_32 3
		.amdhsa_float_denorm_mode_16_64 3
		.amdhsa_dx10_clamp 1
		.amdhsa_ieee_mode 1
		.amdhsa_fp16_overflow 0
		.amdhsa_workgroup_processor_mode 1
		.amdhsa_memory_ordered 1
		.amdhsa_forward_progress 0
		.amdhsa_shared_vgpr_count 0
		.amdhsa_exception_fp_ieee_invalid_op 0
		.amdhsa_exception_fp_denorm_src 0
		.amdhsa_exception_fp_ieee_div_zero 0
		.amdhsa_exception_fp_ieee_overflow 0
		.amdhsa_exception_fp_ieee_underflow 0
		.amdhsa_exception_fp_ieee_inexact 0
		.amdhsa_exception_int_div_zero 0
	.end_amdhsa_kernel
	.section	.text._ZN2at6native12_GLOBAL__N_125multi_tensor_apply_kernelINS1_18TensorListMetadataILi2EEENS1_11CopyFunctorIfN3c1013Float8_e4m3fnELi2ELi1ELi1EEEJNS0_4CopyIfS7_EEEEEvT_T0_DpT1_,"axG",@progbits,_ZN2at6native12_GLOBAL__N_125multi_tensor_apply_kernelINS1_18TensorListMetadataILi2EEENS1_11CopyFunctorIfN3c1013Float8_e4m3fnELi2ELi1ELi1EEEJNS0_4CopyIfS7_EEEEEvT_T0_DpT1_,comdat
.Lfunc_end264:
	.size	_ZN2at6native12_GLOBAL__N_125multi_tensor_apply_kernelINS1_18TensorListMetadataILi2EEENS1_11CopyFunctorIfN3c1013Float8_e4m3fnELi2ELi1ELi1EEEJNS0_4CopyIfS7_EEEEEvT_T0_DpT1_, .Lfunc_end264-_ZN2at6native12_GLOBAL__N_125multi_tensor_apply_kernelINS1_18TensorListMetadataILi2EEENS1_11CopyFunctorIfN3c1013Float8_e4m3fnELi2ELi1ELi1EEEJNS0_4CopyIfS7_EEEEEvT_T0_DpT1_
                                        ; -- End function
	.section	.AMDGPU.csdata,"",@progbits
; Kernel info:
; codeLenInByte = 2268
; NumSgprs: 23
; NumVgprs: 33
; ScratchSize: 0
; MemoryBound: 0
; FloatMode: 240
; IeeeMode: 1
; LDSByteSize: 0 bytes/workgroup (compile time only)
; SGPRBlocks: 2
; VGPRBlocks: 4
; NumSGPRsForWavesPerEU: 23
; NumVGPRsForWavesPerEU: 33
; Occupancy: 16
; WaveLimiterHint : 0
; COMPUTE_PGM_RSRC2:SCRATCH_EN: 0
; COMPUTE_PGM_RSRC2:USER_SGPR: 15
; COMPUTE_PGM_RSRC2:TRAP_HANDLER: 0
; COMPUTE_PGM_RSRC2:TGID_X_EN: 1
; COMPUTE_PGM_RSRC2:TGID_Y_EN: 0
; COMPUTE_PGM_RSRC2:TGID_Z_EN: 0
; COMPUTE_PGM_RSRC2:TIDIG_COMP_CNT: 0
	.section	.text._ZN2at6native12_GLOBAL__N_125multi_tensor_apply_kernelINS1_18TensorListMetadataILi2EEENS1_11CopyFunctorIfN3c1015Float8_e4m3fnuzELi2ELi1ELi1EEEJNS0_4CopyIfS7_EEEEEvT_T0_DpT1_,"axG",@progbits,_ZN2at6native12_GLOBAL__N_125multi_tensor_apply_kernelINS1_18TensorListMetadataILi2EEENS1_11CopyFunctorIfN3c1015Float8_e4m3fnuzELi2ELi1ELi1EEEJNS0_4CopyIfS7_EEEEEvT_T0_DpT1_,comdat
	.globl	_ZN2at6native12_GLOBAL__N_125multi_tensor_apply_kernelINS1_18TensorListMetadataILi2EEENS1_11CopyFunctorIfN3c1015Float8_e4m3fnuzELi2ELi1ELi1EEEJNS0_4CopyIfS7_EEEEEvT_T0_DpT1_ ; -- Begin function _ZN2at6native12_GLOBAL__N_125multi_tensor_apply_kernelINS1_18TensorListMetadataILi2EEENS1_11CopyFunctorIfN3c1015Float8_e4m3fnuzELi2ELi1ELi1EEEJNS0_4CopyIfS7_EEEEEvT_T0_DpT1_
	.p2align	8
	.type	_ZN2at6native12_GLOBAL__N_125multi_tensor_apply_kernelINS1_18TensorListMetadataILi2EEENS1_11CopyFunctorIfN3c1015Float8_e4m3fnuzELi2ELi1ELi1EEEJNS0_4CopyIfS7_EEEEEvT_T0_DpT1_,@function
_ZN2at6native12_GLOBAL__N_125multi_tensor_apply_kernelINS1_18TensorListMetadataILi2EEENS1_11CopyFunctorIfN3c1015Float8_e4m3fnuzELi2ELi1ELi1EEEJNS0_4CopyIfS7_EEEEEvT_T0_DpT1_: ; @_ZN2at6native12_GLOBAL__N_125multi_tensor_apply_kernelINS1_18TensorListMetadataILi2EEENS1_11CopyFunctorIfN3c1015Float8_e4m3fnuzELi2ELi1ELi1EEEJNS0_4CopyIfS7_EEEEEvT_T0_DpT1_
; %bb.0:
	v_mov_b32_e32 v1, s15
	s_add_u32 s2, s0, s15
	s_mul_hi_u32 s3, s15, 3
	s_mul_i32 s15, s15, 3
	s_addc_u32 s4, s1, 0
	global_load_u8 v1, v1, s[0:1] offset:1536
	s_add_u32 s2, s2, s15
	s_addc_u32 s3, s4, s3
	s_mov_b32 s17, 0
	s_load_b32 s10, s[2:3], 0x740
	s_mov_b32 s19, s17
	s_waitcnt lgkmcnt(0)
	s_ashr_i32 s11, s10, 31
	s_delay_alu instid0(SALU_CYCLE_1) | instskip(SKIP_2) | instid1(VALU_DEP_1)
	s_lshl_b64 s[8:9], s[10:11], 16
	s_waitcnt vmcnt(0)
	v_readfirstlane_b32 s5, v1
	s_lshl_b32 s2, s5, 3
	s_clause 0x2
	s_load_b64 s[6:7], s[0:1], s2 offset:0x0
	s_load_b64 s[12:13], s[0:1], s2 offset:0x200
	;; [unrolled: 1-line block ×3, first 2 shown]
	s_waitcnt lgkmcnt(0)
	s_add_u32 s3, s6, s8
	s_addc_u32 s14, s7, s9
	s_and_b32 s2, s12, 15
	s_and_b32 s15, s4, 3
	;; [unrolled: 1-line block ×3, first 2 shown]
	s_or_b32 s18, s15, s2
	s_mov_b32 s2, -1
	s_or_b64 s[16:17], s[16:17], s[18:19]
	s_sub_u32 s4, s4, s8
	s_subb_u32 s5, s5, s9
	s_cmp_eq_u64 s[16:17], 0
	s_cbranch_scc0 .LBB265_37
; %bb.1:
	v_dual_mov_b32 v6, 0 :: v_dual_lshlrev_b32 v5, 2, v0
	s_mov_b32 s15, exec_lo
	s_delay_alu instid0(VALU_DEP_1)
	v_cmpx_gt_i64_e64 s[4:5], v[5:6]
	s_cbranch_execz .LBB265_36
; %bb.2:
	s_load_b32 s2, s[0:1], 0xc5c
	v_lshlrev_b32_e32 v1, 4, v0
	s_lshl_b64 s[18:19], s[10:11], 18
	s_waitcnt lgkmcnt(0)
	s_and_b32 s2, s2, 0xffff
	s_delay_alu instid0(SALU_CYCLE_1) | instskip(SKIP_3) | instid1(VALU_DEP_1)
	s_lshl_b32 s16, s2, 2
	s_add_u32 s17, s12, s18
	s_addc_u32 s18, s13, s19
	v_add_co_u32 v7, s17, s17, v1
	v_add_co_ci_u32_e64 v8, null, s18, 0, s17
	s_mov_b32 s17, 0
	s_lshl_b32 s18, s2, 4
	s_branch .LBB265_4
.LBB265_3:                              ;   in Loop: Header=BB265_4 Depth=1
	s_or_b32 exec_lo, exec_lo, s19
	v_add_co_u32 v5, vcc_lo, s16, v5
	v_add_co_ci_u32_e32 v6, vcc_lo, 0, v6, vcc_lo
	global_store_b128 v[7:8], v[1:4], off
	v_cmp_le_i64_e32 vcc_lo, s[4:5], v[5:6]
	v_cmp_lt_u64_e64 s2, 0xffff, v[5:6]
	s_delay_alu instid0(VALU_DEP_1) | instskip(SKIP_3) | instid1(SALU_CYCLE_1)
	s_or_b32 s2, vcc_lo, s2
	v_add_co_u32 v7, vcc_lo, v7, s18
	v_add_co_ci_u32_e32 v8, vcc_lo, 0, v8, vcc_lo
	s_and_b32 s2, exec_lo, s2
	s_or_b32 s17, s2, s17
	s_delay_alu instid0(SALU_CYCLE_1)
	s_and_not1_b32 exec_lo, exec_lo, s17
	s_cbranch_execz .LBB265_36
.LBB265_4:                              ; =>This Inner Loop Header: Depth=1
	v_add_co_u32 v1, vcc_lo, s3, v5
	v_add_co_ci_u32_e32 v2, vcc_lo, s14, v6, vcc_lo
	s_mov_b32 s2, 0
	s_mov_b32 s20, exec_lo
                                        ; implicit-def: $sgpr19
	global_load_b32 v9, v[1:2], off
	s_waitcnt vmcnt(0)
	v_and_b32_e32 v2, 0xff, v9
	s_delay_alu instid0(VALU_DEP_1)
	v_cmpx_lt_i16_e32 0x7f, v2
	s_xor_b32 s20, exec_lo, s20
	s_cbranch_execnz .LBB265_19
; %bb.5:                                ;   in Loop: Header=BB265_4 Depth=1
	s_or_saveexec_b32 s20, s20
	v_mov_b32_e32 v1, s19
	s_xor_b32 exec_lo, exec_lo, s20
	s_cbranch_execnz .LBB265_22
.LBB265_6:                              ;   in Loop: Header=BB265_4 Depth=1
	s_or_b32 exec_lo, exec_lo, s20
	s_and_saveexec_b32 s19, s2
	s_cbranch_execz .LBB265_8
.LBB265_7:                              ;   in Loop: Header=BB265_4 Depth=1
	v_bfe_u32 v4, v9, 3, 4
	s_delay_alu instid0(VALU_DEP_1) | instskip(SKIP_1) | instid1(VALU_DEP_1)
	v_cmp_eq_u32_e32 vcc_lo, 0, v4
	v_and_b32_e32 v1, 7, v9
	v_clz_i32_u32_e32 v2, v1
	s_delay_alu instid0(VALU_DEP_1) | instskip(NEXT) | instid1(VALU_DEP_1)
	v_min_u32_e32 v2, 32, v2
	v_subrev_nc_u32_e32 v3, 28, v2
	v_sub_nc_u32_e32 v2, 29, v2
	s_delay_alu instid0(VALU_DEP_1) | instskip(NEXT) | instid1(VALU_DEP_1)
	v_dual_cndmask_b32 v2, v4, v2 :: v_dual_lshlrev_b32 v3, v3, v9
	v_and_b32_e32 v3, 7, v3
	v_lshlrev_b32_e32 v10, 24, v9
	s_delay_alu instid0(VALU_DEP_3) | instskip(NEXT) | instid1(VALU_DEP_3)
	v_lshl_add_u32 v2, v2, 23, 0x3b800000
	v_cndmask_b32_e32 v1, v1, v3, vcc_lo
	s_delay_alu instid0(VALU_DEP_3) | instskip(NEXT) | instid1(VALU_DEP_2)
	v_and_b32_e32 v3, 0x80000000, v10
	v_lshlrev_b32_e32 v1, 20, v1
	s_delay_alu instid0(VALU_DEP_1)
	v_or3_b32 v1, v3, v2, v1
.LBB265_8:                              ;   in Loop: Header=BB265_4 Depth=1
	s_or_b32 exec_lo, exec_lo, s19
	v_lshrrev_b32_e32 v3, 8, v9
	s_mov_b32 s2, 0
	s_mov_b32 s20, exec_lo
                                        ; implicit-def: $sgpr19
	s_delay_alu instid0(VALU_DEP_1) | instskip(NEXT) | instid1(VALU_DEP_1)
	v_and_b32_e32 v4, 0xff, v3
	v_cmpx_lt_i16_e32 0x7f, v4
	s_xor_b32 s20, exec_lo, s20
	s_cbranch_execnz .LBB265_23
; %bb.9:                                ;   in Loop: Header=BB265_4 Depth=1
	s_or_saveexec_b32 s20, s20
	v_mov_b32_e32 v2, s19
	s_xor_b32 exec_lo, exec_lo, s20
	s_cbranch_execnz .LBB265_26
.LBB265_10:                             ;   in Loop: Header=BB265_4 Depth=1
	s_or_b32 exec_lo, exec_lo, s20
	s_and_saveexec_b32 s19, s2
	s_cbranch_execz .LBB265_12
.LBB265_11:                             ;   in Loop: Header=BB265_4 Depth=1
	v_bfe_u32 v2, v9, 8, 3
	v_bfe_u32 v11, v9, 11, 4
	s_delay_alu instid0(VALU_DEP_2) | instskip(NEXT) | instid1(VALU_DEP_2)
	v_clz_i32_u32_e32 v4, v2
	v_cmp_eq_u32_e32 vcc_lo, 0, v11
	s_delay_alu instid0(VALU_DEP_2) | instskip(NEXT) | instid1(VALU_DEP_1)
	v_min_u32_e32 v4, 32, v4
	v_subrev_nc_u32_e32 v10, 28, v4
	v_sub_nc_u32_e32 v4, 29, v4
	s_delay_alu instid0(VALU_DEP_2) | instskip(NEXT) | instid1(VALU_DEP_2)
	v_lshlrev_b32_e32 v10, v10, v3
	v_dual_cndmask_b32 v4, v11, v4 :: v_dual_lshlrev_b32 v3, 24, v3
	s_delay_alu instid0(VALU_DEP_2) | instskip(NEXT) | instid1(VALU_DEP_2)
	v_and_b32_e32 v10, 7, v10
	v_and_b32_e32 v3, 0x80000000, v3
	s_delay_alu instid0(VALU_DEP_3) | instskip(NEXT) | instid1(VALU_DEP_3)
	v_lshl_add_u32 v4, v4, 23, 0x3b800000
	v_cndmask_b32_e32 v2, v2, v10, vcc_lo
	s_delay_alu instid0(VALU_DEP_1) | instskip(NEXT) | instid1(VALU_DEP_1)
	v_lshlrev_b32_e32 v2, 20, v2
	v_or3_b32 v2, v3, v4, v2
.LBB265_12:                             ;   in Loop: Header=BB265_4 Depth=1
	s_or_b32 exec_lo, exec_lo, s19
	v_lshrrev_b32_e32 v4, 16, v9
	s_mov_b32 s2, 0
	s_mov_b32 s20, exec_lo
                                        ; implicit-def: $sgpr19
	s_delay_alu instid0(VALU_DEP_1) | instskip(NEXT) | instid1(VALU_DEP_1)
	v_and_b32_e32 v10, 0xff, v4
	v_cmpx_lt_i16_e32 0x7f, v10
	s_xor_b32 s20, exec_lo, s20
	s_cbranch_execnz .LBB265_27
; %bb.13:                               ;   in Loop: Header=BB265_4 Depth=1
	s_or_saveexec_b32 s20, s20
	v_mov_b32_e32 v3, s19
	s_xor_b32 exec_lo, exec_lo, s20
	s_cbranch_execnz .LBB265_30
.LBB265_14:                             ;   in Loop: Header=BB265_4 Depth=1
	s_or_b32 exec_lo, exec_lo, s20
	s_and_saveexec_b32 s19, s2
	s_cbranch_execz .LBB265_16
.LBB265_15:                             ;   in Loop: Header=BB265_4 Depth=1
	v_bfe_u32 v3, v9, 16, 3
	v_bfe_u32 v12, v9, 19, 4
	s_delay_alu instid0(VALU_DEP_2) | instskip(NEXT) | instid1(VALU_DEP_2)
	v_clz_i32_u32_e32 v10, v3
	v_cmp_eq_u32_e32 vcc_lo, 0, v12
	s_delay_alu instid0(VALU_DEP_2) | instskip(NEXT) | instid1(VALU_DEP_1)
	v_min_u32_e32 v10, 32, v10
	v_subrev_nc_u32_e32 v11, 28, v10
	v_sub_nc_u32_e32 v10, 29, v10
	s_delay_alu instid0(VALU_DEP_1) | instskip(NEXT) | instid1(VALU_DEP_1)
	v_dual_cndmask_b32 v10, v12, v10 :: v_dual_lshlrev_b32 v11, v11, v4
	v_and_b32_e32 v11, 7, v11
	v_lshlrev_b32_e32 v4, 24, v4
	s_delay_alu instid0(VALU_DEP_3) | instskip(NEXT) | instid1(VALU_DEP_2)
	v_lshl_add_u32 v10, v10, 23, 0x3b800000
	v_dual_cndmask_b32 v3, v3, v11 :: v_dual_and_b32 v4, 0x80000000, v4
	s_delay_alu instid0(VALU_DEP_1) | instskip(NEXT) | instid1(VALU_DEP_1)
	v_lshlrev_b32_e32 v3, 20, v3
	v_or3_b32 v3, v4, v10, v3
.LBB265_16:                             ;   in Loop: Header=BB265_4 Depth=1
	s_or_b32 exec_lo, exec_lo, s19
	v_lshrrev_b32_e32 v10, 24, v9
	s_mov_b32 s2, 0
	s_mov_b32 s20, exec_lo
                                        ; implicit-def: $sgpr19
	s_delay_alu instid0(VALU_DEP_1)
	v_cmpx_lt_i16_e32 0x7f, v10
	s_xor_b32 s20, exec_lo, s20
	s_cbranch_execnz .LBB265_31
; %bb.17:                               ;   in Loop: Header=BB265_4 Depth=1
	s_or_saveexec_b32 s20, s20
	v_mov_b32_e32 v4, s19
	s_xor_b32 exec_lo, exec_lo, s20
	s_cbranch_execnz .LBB265_34
.LBB265_18:                             ;   in Loop: Header=BB265_4 Depth=1
	s_or_b32 exec_lo, exec_lo, s20
	s_and_saveexec_b32 s19, s2
	s_cbranch_execz .LBB265_3
	s_branch .LBB265_35
.LBB265_19:                             ;   in Loop: Header=BB265_4 Depth=1
	s_mov_b32 s2, -1
	s_mov_b32 s21, exec_lo
                                        ; implicit-def: $sgpr19
	v_cmpx_eq_u16_e32 0x80, v2
; %bb.20:                               ;   in Loop: Header=BB265_4 Depth=1
	s_mov_b32 s19, 0x7f800001
	s_xor_b32 s2, exec_lo, -1
; %bb.21:                               ;   in Loop: Header=BB265_4 Depth=1
	s_or_b32 exec_lo, exec_lo, s21
	s_delay_alu instid0(SALU_CYCLE_1)
	s_and_b32 s2, s2, exec_lo
                                        ; implicit-def: $vgpr2
	s_or_saveexec_b32 s20, s20
	v_mov_b32_e32 v1, s19
	s_xor_b32 exec_lo, exec_lo, s20
	s_cbranch_execz .LBB265_6
.LBB265_22:                             ;   in Loop: Header=BB265_4 Depth=1
	v_cmp_ne_u16_e32 vcc_lo, 0, v2
	v_and_b32_e32 v1, 0xffff, v2
	s_and_not1_b32 s2, s2, exec_lo
	s_and_b32 s19, vcc_lo, exec_lo
	s_delay_alu instid0(SALU_CYCLE_1)
	s_or_b32 s2, s2, s19
	s_or_b32 exec_lo, exec_lo, s20
	s_and_saveexec_b32 s19, s2
	s_cbranch_execnz .LBB265_7
	s_branch .LBB265_8
.LBB265_23:                             ;   in Loop: Header=BB265_4 Depth=1
	s_mov_b32 s2, -1
	s_mov_b32 s21, exec_lo
                                        ; implicit-def: $sgpr19
	v_cmpx_eq_u16_e32 0x80, v4
; %bb.24:                               ;   in Loop: Header=BB265_4 Depth=1
	s_mov_b32 s19, 0x7f800001
	s_xor_b32 s2, exec_lo, -1
; %bb.25:                               ;   in Loop: Header=BB265_4 Depth=1
	s_or_b32 exec_lo, exec_lo, s21
	s_delay_alu instid0(SALU_CYCLE_1)
	s_and_b32 s2, s2, exec_lo
                                        ; implicit-def: $vgpr4
	s_or_saveexec_b32 s20, s20
	v_mov_b32_e32 v2, s19
	s_xor_b32 exec_lo, exec_lo, s20
	s_cbranch_execz .LBB265_10
.LBB265_26:                             ;   in Loop: Header=BB265_4 Depth=1
	v_cmp_ne_u16_e32 vcc_lo, 0, v4
	v_and_b32_e32 v2, 0xffff, v4
	s_and_not1_b32 s2, s2, exec_lo
	s_and_b32 s19, vcc_lo, exec_lo
	s_delay_alu instid0(SALU_CYCLE_1)
	s_or_b32 s2, s2, s19
	s_or_b32 exec_lo, exec_lo, s20
	s_and_saveexec_b32 s19, s2
	s_cbranch_execnz .LBB265_11
	s_branch .LBB265_12
.LBB265_27:                             ;   in Loop: Header=BB265_4 Depth=1
	s_mov_b32 s2, -1
	s_mov_b32 s21, exec_lo
                                        ; implicit-def: $sgpr19
	v_cmpx_eq_u16_e32 0x80, v10
; %bb.28:                               ;   in Loop: Header=BB265_4 Depth=1
	s_mov_b32 s19, 0x7f800001
	s_xor_b32 s2, exec_lo, -1
; %bb.29:                               ;   in Loop: Header=BB265_4 Depth=1
	s_or_b32 exec_lo, exec_lo, s21
	s_delay_alu instid0(SALU_CYCLE_1)
	s_and_b32 s2, s2, exec_lo
                                        ; implicit-def: $vgpr10
	s_or_saveexec_b32 s20, s20
	v_mov_b32_e32 v3, s19
	s_xor_b32 exec_lo, exec_lo, s20
	s_cbranch_execz .LBB265_14
.LBB265_30:                             ;   in Loop: Header=BB265_4 Depth=1
	v_cmp_ne_u16_e32 vcc_lo, 0, v10
	v_and_b32_e32 v3, 0xffff, v10
	s_and_not1_b32 s2, s2, exec_lo
	s_and_b32 s19, vcc_lo, exec_lo
	s_delay_alu instid0(SALU_CYCLE_1)
	s_or_b32 s2, s2, s19
	s_or_b32 exec_lo, exec_lo, s20
	s_and_saveexec_b32 s19, s2
	s_cbranch_execnz .LBB265_15
	s_branch .LBB265_16
.LBB265_31:                             ;   in Loop: Header=BB265_4 Depth=1
	s_mov_b32 s2, -1
	s_mov_b32 s21, exec_lo
                                        ; implicit-def: $sgpr19
	v_cmpx_eq_u16_e32 0x80, v10
; %bb.32:                               ;   in Loop: Header=BB265_4 Depth=1
	s_mov_b32 s19, 0x7f800001
	s_xor_b32 s2, exec_lo, -1
; %bb.33:                               ;   in Loop: Header=BB265_4 Depth=1
	s_or_b32 exec_lo, exec_lo, s21
	s_delay_alu instid0(SALU_CYCLE_1)
	s_and_b32 s2, s2, exec_lo
	s_or_saveexec_b32 s20, s20
	v_mov_b32_e32 v4, s19
	s_xor_b32 exec_lo, exec_lo, s20
	s_cbranch_execz .LBB265_18
.LBB265_34:                             ;   in Loop: Header=BB265_4 Depth=1
	v_cmp_ne_u16_e32 vcc_lo, 0, v10
	v_and_b32_e32 v4, 0xffff, v10
	s_and_not1_b32 s2, s2, exec_lo
	s_and_b32 s19, vcc_lo, exec_lo
	s_delay_alu instid0(SALU_CYCLE_1)
	s_or_b32 s2, s2, s19
	s_or_b32 exec_lo, exec_lo, s20
	s_and_saveexec_b32 s19, s2
	s_cbranch_execz .LBB265_3
.LBB265_35:                             ;   in Loop: Header=BB265_4 Depth=1
	v_bfe_u32 v4, v9, 24, 3
	s_delay_alu instid0(VALU_DEP_1) | instskip(NEXT) | instid1(VALU_DEP_1)
	v_clz_i32_u32_e32 v11, v4
	v_min_u32_e32 v11, 32, v11
	s_delay_alu instid0(VALU_DEP_1) | instskip(SKIP_1) | instid1(VALU_DEP_2)
	v_subrev_nc_u32_e32 v12, 28, v11
	v_sub_nc_u32_e32 v11, 29, v11
	v_lshlrev_b32_e32 v10, v12, v10
	v_bfe_u32 v12, v9, 27, 4
	v_and_b32_e32 v9, 0x80000000, v9
	s_delay_alu instid0(VALU_DEP_2) | instskip(NEXT) | instid1(VALU_DEP_4)
	v_cmp_eq_u32_e32 vcc_lo, 0, v12
	v_dual_cndmask_b32 v11, v12, v11 :: v_dual_and_b32 v10, 7, v10
	s_delay_alu instid0(VALU_DEP_1) | instskip(NEXT) | instid1(VALU_DEP_2)
	v_cndmask_b32_e32 v4, v4, v10, vcc_lo
	v_lshl_add_u32 v10, v11, 23, 0x3b800000
	s_delay_alu instid0(VALU_DEP_2) | instskip(NEXT) | instid1(VALU_DEP_1)
	v_lshlrev_b32_e32 v4, 20, v4
	v_or3_b32 v4, v9, v10, v4
	s_branch .LBB265_3
.LBB265_36:
	s_or_b32 exec_lo, exec_lo, s15
	s_mov_b32 s2, 0
.LBB265_37:
	s_delay_alu instid0(SALU_CYCLE_1)
	s_and_not1_b32 vcc_lo, exec_lo, s2
	s_cbranch_vccnz .LBB265_89
; %bb.38:
	v_cmp_lt_i64_e64 s2, s[4:5], 1
	s_delay_alu instid0(VALU_DEP_1)
	s_and_b32 vcc_lo, exec_lo, s2
	s_cbranch_vccnz .LBB265_89
; %bb.39:
	s_load_b32 s0, s[0:1], 0xc5c
	v_cmp_gt_u64_e64 s1, 0x10000, s[4:5]
	v_add_co_u32 v3, s2, s8, v0
	v_lshlrev_b32_e32 v1, 2, v0
	v_add_co_ci_u32_e64 v4, null, s9, 0, s2
	s_delay_alu instid0(VALU_DEP_3) | instskip(NEXT) | instid1(VALU_DEP_2)
	v_add_co_u32 v13, vcc_lo, s6, v3
                                        ; implicit-def: $vgpr27
                                        ; implicit-def: $vgpr28
                                        ; implicit-def: $vgpr29
                                        ; implicit-def: $vgpr30
	v_add_co_ci_u32_e32 v14, vcc_lo, s7, v4, vcc_lo
	s_waitcnt lgkmcnt(0)
	s_and_b32 s0, s0, 0xffff
	s_and_b32 s1, s1, exec_lo
	s_cselect_b32 s3, s5, 0
	s_cselect_b32 s2, s4, 0x10000
	s_lshl_b64 s[10:11], s[10:11], 18
	s_lshl_b32 s14, s0, 1
	s_lshl_b32 s1, s0, 2
	s_add_u32 s12, s12, s10
	s_mul_i32 s15, s0, 3
	s_addc_u32 s11, s13, s11
	s_lshl_b32 s10, s0, 4
	v_add_co_u32 v1, s16, s12, v1
	s_add_u32 s13, s8, s15
	v_add_co_ci_u32_e64 v2, null, s11, 0, s16
	s_addc_u32 s16, s9, 0
	s_add_u32 s13, s6, s13
	s_addc_u32 s16, s7, s16
	s_add_u32 s8, s8, s14
	;; [unrolled: 2-line block ×3, first 2 shown]
	s_addc_u32 s9, s7, s9
	v_add_co_u32 v19, s8, s8, v0
	s_delay_alu instid0(VALU_DEP_1) | instskip(SKIP_1) | instid1(VALU_DEP_1)
	v_add_co_ci_u32_e64 v20, null, s9, 0, s8
	v_add_co_u32 v21, s9, s14, v0
	v_add_co_ci_u32_e64 v22, null, 0, 0, s9
	v_add_co_u32 v23, s9, v0, s0
	s_lshl_b32 s8, s0, 3
	v_add_co_u32 v15, s13, s13, v0
	s_delay_alu instid0(VALU_DEP_2)
	v_lshlrev_b32_e32 v5, 2, v23
	s_add_u32 s6, s6, s0
	v_add_co_ci_u32_e64 v16, null, s16, 0, s13
	v_add_co_u32 v17, s13, s15, v0
	s_addc_u32 s7, s7, 0
	v_add_co_u32 v25, vcc_lo, s6, v3
	v_add_co_u32 v3, s6, s12, v5
	v_add_co_ci_u32_e64 v18, null, 0, 0, s13
	v_add_co_ci_u32_e64 v24, null, 0, 0, s9
	v_add_co_ci_u32_e32 v26, vcc_lo, s7, v4, vcc_lo
	v_add_co_ci_u32_e64 v4, null, s11, 0, s6
	s_mul_i32 s9, s0, 12
	s_mov_b64 s[6:7], 0
	s_branch .LBB265_41
.LBB265_40:                             ;   in Loop: Header=BB265_41 Depth=1
	s_or_b32 exec_lo, exec_lo, s0
	s_add_u32 s6, s6, s1
	s_addc_u32 s7, s7, 0
	v_add_co_u32 v1, vcc_lo, v1, s10
	v_cmp_ge_i64_e64 s0, s[6:7], s[4:5]
	v_cmp_lt_u64_e64 s11, 0xffff, s[6:7]
	v_add_co_ci_u32_e32 v2, vcc_lo, 0, v2, vcc_lo
	v_add_co_u32 v3, vcc_lo, v3, s10
	v_add_co_ci_u32_e32 v4, vcc_lo, 0, v4, vcc_lo
	s_delay_alu instid0(VALU_DEP_4) | instskip(NEXT) | instid1(SALU_CYCLE_1)
	s_or_b32 s0, s0, s11
	s_and_b32 vcc_lo, exec_lo, s0
	s_cbranch_vccnz .LBB265_89
.LBB265_41:                             ; =>This Inner Loop Header: Depth=1
	v_add_co_u32 v5, s0, v0, s6
	s_delay_alu instid0(VALU_DEP_1) | instskip(NEXT) | instid1(VALU_DEP_1)
	v_add_co_ci_u32_e64 v6, null, 0, s7, s0
	v_cmp_gt_i64_e32 vcc_lo, s[4:5], v[5:6]
	v_cmp_gt_u64_e64 s0, 0x10000, v[5:6]
	s_delay_alu instid0(VALU_DEP_1) | instskip(NEXT) | instid1(SALU_CYCLE_1)
	s_and_b32 s11, vcc_lo, s0
	s_and_saveexec_b32 s0, s11
	s_cbranch_execz .LBB265_43
; %bb.42:                               ;   in Loop: Header=BB265_41 Depth=1
	v_add_co_u32 v7, vcc_lo, v13, s6
	v_add_co_ci_u32_e32 v8, vcc_lo, s7, v14, vcc_lo
	global_load_u8 v30, v[7:8], off
.LBB265_43:                             ;   in Loop: Header=BB265_41 Depth=1
	s_or_b32 exec_lo, exec_lo, s0
	v_add_co_u32 v7, vcc_lo, v23, s6
	v_add_co_ci_u32_e32 v8, vcc_lo, s7, v24, vcc_lo
	s_delay_alu instid0(VALU_DEP_1) | instskip(SKIP_1) | instid1(VALU_DEP_1)
	v_cmp_gt_i64_e32 vcc_lo, s[4:5], v[7:8]
	v_cmp_gt_u64_e64 s0, 0x10000, v[7:8]
	s_and_b32 s11, vcc_lo, s0
	s_delay_alu instid0(SALU_CYCLE_1)
	s_and_saveexec_b32 s0, s11
	s_cbranch_execz .LBB265_45
; %bb.44:                               ;   in Loop: Header=BB265_41 Depth=1
	v_add_co_u32 v9, vcc_lo, v25, s6
	v_add_co_ci_u32_e32 v10, vcc_lo, s7, v26, vcc_lo
	global_load_u8 v29, v[9:10], off
.LBB265_45:                             ;   in Loop: Header=BB265_41 Depth=1
	s_or_b32 exec_lo, exec_lo, s0
	v_add_co_u32 v9, vcc_lo, v21, s6
	v_add_co_ci_u32_e32 v10, vcc_lo, s7, v22, vcc_lo
	s_delay_alu instid0(VALU_DEP_1) | instskip(SKIP_1) | instid1(VALU_DEP_1)
	v_cmp_gt_i64_e32 vcc_lo, s[4:5], v[9:10]
	v_cmp_gt_u64_e64 s0, 0x10000, v[9:10]
	s_and_b32 s11, vcc_lo, s0
	s_delay_alu instid0(SALU_CYCLE_1)
	;; [unrolled: 15-line block ×3, first 2 shown]
	s_and_saveexec_b32 s0, s11
	s_cbranch_execz .LBB265_49
; %bb.48:                               ;   in Loop: Header=BB265_41 Depth=1
	v_add_co_u32 v31, vcc_lo, v15, s6
	v_add_co_ci_u32_e32 v32, vcc_lo, s7, v16, vcc_lo
	global_load_u8 v27, v[31:32], off
.LBB265_49:                             ;   in Loop: Header=BB265_41 Depth=1
	s_or_b32 exec_lo, exec_lo, s0
	s_waitcnt vmcnt(0)
	v_and_b32_e32 v32, 0xff, v30
	s_mov_b32 s0, 0
	s_mov_b32 s12, exec_lo
                                        ; implicit-def: $sgpr11
	s_delay_alu instid0(VALU_DEP_1)
	v_cmpx_lt_i16_e32 0x7f, v32
	s_xor_b32 s12, exec_lo, s12
	s_cbranch_execnz .LBB265_69
; %bb.50:                               ;   in Loop: Header=BB265_41 Depth=1
	s_or_saveexec_b32 s12, s12
	v_mov_b32_e32 v31, s11
	s_xor_b32 exec_lo, exec_lo, s12
	s_cbranch_execnz .LBB265_72
.LBB265_51:                             ;   in Loop: Header=BB265_41 Depth=1
	s_or_b32 exec_lo, exec_lo, s12
	s_and_saveexec_b32 s11, s0
	s_cbranch_execz .LBB265_53
.LBB265_52:                             ;   in Loop: Header=BB265_41 Depth=1
	v_lshrrev_b16 v34, 3, v30
	v_lshlrev_b32_e32 v35, 24, v30
	s_delay_alu instid0(VALU_DEP_2) | instskip(NEXT) | instid1(VALU_DEP_1)
	v_and_b32_e32 v34, 15, v34
	v_cmp_eq_u32_e32 vcc_lo, 0, v34
	v_and_b32_e32 v31, 7, v30
	s_delay_alu instid0(VALU_DEP_1) | instskip(NEXT) | instid1(VALU_DEP_1)
	v_clz_i32_u32_e32 v32, v31
	v_min_u32_e32 v32, 32, v32
	s_delay_alu instid0(VALU_DEP_1) | instskip(SKIP_1) | instid1(VALU_DEP_1)
	v_subrev_nc_u32_e32 v33, 28, v32
	v_sub_nc_u32_e32 v32, 29, v32
	v_dual_cndmask_b32 v32, v34, v32 :: v_dual_lshlrev_b32 v33, v33, v30
	s_delay_alu instid0(VALU_DEP_1) | instskip(NEXT) | instid1(VALU_DEP_2)
	v_and_b32_e32 v33, 7, v33
	v_lshl_add_u32 v32, v32, 23, 0x3b800000
	s_delay_alu instid0(VALU_DEP_2) | instskip(SKIP_1) | instid1(VALU_DEP_2)
	v_cndmask_b32_e32 v31, v31, v33, vcc_lo
	v_and_b32_e32 v33, 0x80000000, v35
	v_lshlrev_b32_e32 v31, 20, v31
	s_delay_alu instid0(VALU_DEP_1)
	v_or3_b32 v31, v33, v32, v31
.LBB265_53:                             ;   in Loop: Header=BB265_41 Depth=1
	s_or_b32 exec_lo, exec_lo, s11
	v_and_b32_e32 v33, 0xff, v29
	s_mov_b32 s0, 0
	s_mov_b32 s12, exec_lo
                                        ; implicit-def: $sgpr11
	s_delay_alu instid0(VALU_DEP_1)
	v_cmpx_lt_i16_e32 0x7f, v33
	s_xor_b32 s12, exec_lo, s12
	s_cbranch_execnz .LBB265_73
; %bb.54:                               ;   in Loop: Header=BB265_41 Depth=1
	s_or_saveexec_b32 s12, s12
	v_mov_b32_e32 v32, s11
	s_xor_b32 exec_lo, exec_lo, s12
	s_cbranch_execnz .LBB265_76
.LBB265_55:                             ;   in Loop: Header=BB265_41 Depth=1
	s_or_b32 exec_lo, exec_lo, s12
	s_and_saveexec_b32 s11, s0
	s_cbranch_execz .LBB265_57
.LBB265_56:                             ;   in Loop: Header=BB265_41 Depth=1
	v_and_b32_e32 v32, 7, v29
	v_lshrrev_b16 v35, 3, v29
	v_lshlrev_b32_e32 v36, 24, v29
	s_delay_alu instid0(VALU_DEP_3) | instskip(NEXT) | instid1(VALU_DEP_1)
	v_clz_i32_u32_e32 v33, v32
	v_min_u32_e32 v33, 32, v33
	s_delay_alu instid0(VALU_DEP_1) | instskip(SKIP_1) | instid1(VALU_DEP_2)
	v_subrev_nc_u32_e32 v34, 28, v33
	v_sub_nc_u32_e32 v33, 29, v33
	v_lshlrev_b32_e32 v34, v34, v29
	s_delay_alu instid0(VALU_DEP_1) | instskip(SKIP_1) | instid1(VALU_DEP_1)
	v_and_b32_e32 v34, 7, v34
	v_and_b32_e32 v35, 15, v35
	v_cmp_eq_u32_e32 vcc_lo, 0, v35
	s_delay_alu instid0(VALU_DEP_3) | instskip(SKIP_1) | instid1(VALU_DEP_2)
	v_dual_cndmask_b32 v32, v32, v34 :: v_dual_cndmask_b32 v33, v35, v33
	v_and_b32_e32 v34, 0x80000000, v36
	v_lshlrev_b32_e32 v32, 20, v32
	s_delay_alu instid0(VALU_DEP_3) | instskip(NEXT) | instid1(VALU_DEP_1)
	v_lshl_add_u32 v33, v33, 23, 0x3b800000
	v_or3_b32 v32, v34, v33, v32
.LBB265_57:                             ;   in Loop: Header=BB265_41 Depth=1
	s_or_b32 exec_lo, exec_lo, s11
	v_and_b32_e32 v34, 0xff, v28
	s_mov_b32 s0, 0
	s_mov_b32 s12, exec_lo
                                        ; implicit-def: $sgpr11
	s_delay_alu instid0(VALU_DEP_1)
	v_cmpx_lt_i16_e32 0x7f, v34
	s_xor_b32 s12, exec_lo, s12
	s_cbranch_execnz .LBB265_77
; %bb.58:                               ;   in Loop: Header=BB265_41 Depth=1
	s_or_saveexec_b32 s12, s12
	v_mov_b32_e32 v33, s11
	s_xor_b32 exec_lo, exec_lo, s12
	s_cbranch_execnz .LBB265_80
.LBB265_59:                             ;   in Loop: Header=BB265_41 Depth=1
	s_or_b32 exec_lo, exec_lo, s12
	s_and_saveexec_b32 s11, s0
	s_cbranch_execz .LBB265_61
.LBB265_60:                             ;   in Loop: Header=BB265_41 Depth=1
	v_lshrrev_b16 v36, 3, v28
	v_lshlrev_b32_e32 v37, 24, v28
	s_delay_alu instid0(VALU_DEP_2) | instskip(NEXT) | instid1(VALU_DEP_1)
	v_and_b32_e32 v36, 15, v36
	v_cmp_eq_u32_e32 vcc_lo, 0, v36
	v_and_b32_e32 v33, 7, v28
	s_delay_alu instid0(VALU_DEP_1) | instskip(NEXT) | instid1(VALU_DEP_1)
	v_clz_i32_u32_e32 v34, v33
	v_min_u32_e32 v34, 32, v34
	s_delay_alu instid0(VALU_DEP_1) | instskip(SKIP_1) | instid1(VALU_DEP_1)
	v_subrev_nc_u32_e32 v35, 28, v34
	v_sub_nc_u32_e32 v34, 29, v34
	v_dual_cndmask_b32 v34, v36, v34 :: v_dual_lshlrev_b32 v35, v35, v28
	s_delay_alu instid0(VALU_DEP_1) | instskip(NEXT) | instid1(VALU_DEP_2)
	v_and_b32_e32 v35, 7, v35
	v_lshl_add_u32 v34, v34, 23, 0x3b800000
	s_delay_alu instid0(VALU_DEP_2) | instskip(SKIP_1) | instid1(VALU_DEP_2)
	v_cndmask_b32_e32 v33, v33, v35, vcc_lo
	v_and_b32_e32 v35, 0x80000000, v37
	v_lshlrev_b32_e32 v33, 20, v33
	s_delay_alu instid0(VALU_DEP_1)
	v_or3_b32 v33, v35, v34, v33
.LBB265_61:                             ;   in Loop: Header=BB265_41 Depth=1
	s_or_b32 exec_lo, exec_lo, s11
	v_and_b32_e32 v35, 0xff, v27
	s_mov_b32 s0, 0
	s_mov_b32 s12, exec_lo
                                        ; implicit-def: $sgpr11
	s_delay_alu instid0(VALU_DEP_1)
	v_cmpx_lt_i16_e32 0x7f, v35
	s_xor_b32 s12, exec_lo, s12
	s_cbranch_execnz .LBB265_81
; %bb.62:                               ;   in Loop: Header=BB265_41 Depth=1
	s_or_saveexec_b32 s12, s12
	v_mov_b32_e32 v34, s11
	s_xor_b32 exec_lo, exec_lo, s12
	s_cbranch_execnz .LBB265_84
.LBB265_63:                             ;   in Loop: Header=BB265_41 Depth=1
	s_or_b32 exec_lo, exec_lo, s12
	s_and_saveexec_b32 s11, s0
	s_cbranch_execz .LBB265_65
.LBB265_64:                             ;   in Loop: Header=BB265_41 Depth=1
	v_and_b32_e32 v34, 7, v27
	v_lshrrev_b16 v37, 3, v27
	v_lshlrev_b32_e32 v38, 24, v27
	s_delay_alu instid0(VALU_DEP_3) | instskip(NEXT) | instid1(VALU_DEP_1)
	v_clz_i32_u32_e32 v35, v34
	v_min_u32_e32 v35, 32, v35
	s_delay_alu instid0(VALU_DEP_1) | instskip(SKIP_1) | instid1(VALU_DEP_2)
	v_subrev_nc_u32_e32 v36, 28, v35
	v_sub_nc_u32_e32 v35, 29, v35
	v_lshlrev_b32_e32 v36, v36, v27
	s_delay_alu instid0(VALU_DEP_1) | instskip(SKIP_1) | instid1(VALU_DEP_1)
	v_and_b32_e32 v36, 7, v36
	v_and_b32_e32 v37, 15, v37
	v_cmp_eq_u32_e32 vcc_lo, 0, v37
	s_delay_alu instid0(VALU_DEP_3) | instskip(SKIP_1) | instid1(VALU_DEP_2)
	v_dual_cndmask_b32 v34, v34, v36 :: v_dual_cndmask_b32 v35, v37, v35
	v_and_b32_e32 v36, 0x80000000, v38
	v_lshlrev_b32_e32 v34, 20, v34
	s_delay_alu instid0(VALU_DEP_3) | instskip(NEXT) | instid1(VALU_DEP_1)
	v_lshl_add_u32 v35, v35, 23, 0x3b800000
	v_or3_b32 v34, v36, v35, v34
.LBB265_65:                             ;   in Loop: Header=BB265_41 Depth=1
	s_or_b32 exec_lo, exec_lo, s11
	s_delay_alu instid0(SALU_CYCLE_1)
	s_mov_b32 s0, exec_lo
	v_cmpx_gt_u64_e64 s[2:3], v[5:6]
	s_xor_b32 s0, exec_lo, s0
	s_cbranch_execnz .LBB265_85
; %bb.66:                               ;   in Loop: Header=BB265_41 Depth=1
	s_or_b32 exec_lo, exec_lo, s0
	s_delay_alu instid0(SALU_CYCLE_1)
	s_mov_b32 s0, exec_lo
	v_cmpx_gt_u64_e64 s[2:3], v[7:8]
	s_cbranch_execnz .LBB265_86
.LBB265_67:                             ;   in Loop: Header=BB265_41 Depth=1
	s_or_b32 exec_lo, exec_lo, s0
	s_delay_alu instid0(SALU_CYCLE_1)
	s_mov_b32 s0, exec_lo
	v_cmpx_gt_u64_e64 s[2:3], v[9:10]
	s_cbranch_execnz .LBB265_87
.LBB265_68:                             ;   in Loop: Header=BB265_41 Depth=1
	s_or_b32 exec_lo, exec_lo, s0
	s_delay_alu instid0(SALU_CYCLE_1)
	s_mov_b32 s0, exec_lo
	v_cmpx_gt_u64_e64 s[2:3], v[11:12]
	s_cbranch_execz .LBB265_40
	s_branch .LBB265_88
.LBB265_69:                             ;   in Loop: Header=BB265_41 Depth=1
	s_mov_b32 s0, -1
	s_mov_b32 s13, exec_lo
                                        ; implicit-def: $sgpr11
	v_cmpx_eq_u16_e32 0x80, v32
; %bb.70:                               ;   in Loop: Header=BB265_41 Depth=1
	s_mov_b32 s11, 0x7f800001
	s_xor_b32 s0, exec_lo, -1
; %bb.71:                               ;   in Loop: Header=BB265_41 Depth=1
	s_or_b32 exec_lo, exec_lo, s13
	s_delay_alu instid0(SALU_CYCLE_1)
	s_and_b32 s0, s0, exec_lo
                                        ; implicit-def: $vgpr32
	s_or_saveexec_b32 s12, s12
	v_mov_b32_e32 v31, s11
	s_xor_b32 exec_lo, exec_lo, s12
	s_cbranch_execz .LBB265_51
.LBB265_72:                             ;   in Loop: Header=BB265_41 Depth=1
	v_cmp_ne_u16_e32 vcc_lo, 0, v32
	v_and_b32_e32 v31, 0xffff, v32
	s_and_not1_b32 s0, s0, exec_lo
	s_and_b32 s11, vcc_lo, exec_lo
	s_delay_alu instid0(SALU_CYCLE_1)
	s_or_b32 s0, s0, s11
	s_or_b32 exec_lo, exec_lo, s12
	s_and_saveexec_b32 s11, s0
	s_cbranch_execnz .LBB265_52
	s_branch .LBB265_53
.LBB265_73:                             ;   in Loop: Header=BB265_41 Depth=1
	s_mov_b32 s0, -1
	s_mov_b32 s13, exec_lo
                                        ; implicit-def: $sgpr11
	v_cmpx_eq_u16_e32 0x80, v33
; %bb.74:                               ;   in Loop: Header=BB265_41 Depth=1
	s_mov_b32 s11, 0x7f800001
	s_xor_b32 s0, exec_lo, -1
; %bb.75:                               ;   in Loop: Header=BB265_41 Depth=1
	s_or_b32 exec_lo, exec_lo, s13
	s_delay_alu instid0(SALU_CYCLE_1)
	s_and_b32 s0, s0, exec_lo
                                        ; implicit-def: $vgpr33
	s_or_saveexec_b32 s12, s12
	v_mov_b32_e32 v32, s11
	s_xor_b32 exec_lo, exec_lo, s12
	s_cbranch_execz .LBB265_55
.LBB265_76:                             ;   in Loop: Header=BB265_41 Depth=1
	v_cmp_ne_u16_e32 vcc_lo, 0, v33
	v_and_b32_e32 v32, 0xffff, v33
	s_and_not1_b32 s0, s0, exec_lo
	s_and_b32 s11, vcc_lo, exec_lo
	s_delay_alu instid0(SALU_CYCLE_1)
	s_or_b32 s0, s0, s11
	s_or_b32 exec_lo, exec_lo, s12
	s_and_saveexec_b32 s11, s0
	s_cbranch_execnz .LBB265_56
	s_branch .LBB265_57
.LBB265_77:                             ;   in Loop: Header=BB265_41 Depth=1
	s_mov_b32 s0, -1
	s_mov_b32 s13, exec_lo
                                        ; implicit-def: $sgpr11
	v_cmpx_eq_u16_e32 0x80, v34
; %bb.78:                               ;   in Loop: Header=BB265_41 Depth=1
	s_mov_b32 s11, 0x7f800001
	s_xor_b32 s0, exec_lo, -1
; %bb.79:                               ;   in Loop: Header=BB265_41 Depth=1
	s_or_b32 exec_lo, exec_lo, s13
	s_delay_alu instid0(SALU_CYCLE_1)
	s_and_b32 s0, s0, exec_lo
                                        ; implicit-def: $vgpr34
	s_or_saveexec_b32 s12, s12
	v_mov_b32_e32 v33, s11
	s_xor_b32 exec_lo, exec_lo, s12
	s_cbranch_execz .LBB265_59
.LBB265_80:                             ;   in Loop: Header=BB265_41 Depth=1
	v_cmp_ne_u16_e32 vcc_lo, 0, v34
	v_and_b32_e32 v33, 0xffff, v34
	s_and_not1_b32 s0, s0, exec_lo
	s_and_b32 s11, vcc_lo, exec_lo
	s_delay_alu instid0(SALU_CYCLE_1)
	s_or_b32 s0, s0, s11
	s_or_b32 exec_lo, exec_lo, s12
	s_and_saveexec_b32 s11, s0
	s_cbranch_execnz .LBB265_60
	s_branch .LBB265_61
.LBB265_81:                             ;   in Loop: Header=BB265_41 Depth=1
	s_mov_b32 s0, -1
	s_mov_b32 s13, exec_lo
                                        ; implicit-def: $sgpr11
	v_cmpx_eq_u16_e32 0x80, v35
; %bb.82:                               ;   in Loop: Header=BB265_41 Depth=1
	s_mov_b32 s11, 0x7f800001
	s_xor_b32 s0, exec_lo, -1
; %bb.83:                               ;   in Loop: Header=BB265_41 Depth=1
	s_or_b32 exec_lo, exec_lo, s13
	s_delay_alu instid0(SALU_CYCLE_1)
	s_and_b32 s0, s0, exec_lo
                                        ; implicit-def: $vgpr35
	s_or_saveexec_b32 s12, s12
	v_mov_b32_e32 v34, s11
	s_xor_b32 exec_lo, exec_lo, s12
	s_cbranch_execz .LBB265_63
.LBB265_84:                             ;   in Loop: Header=BB265_41 Depth=1
	v_cmp_ne_u16_e32 vcc_lo, 0, v35
	v_and_b32_e32 v34, 0xffff, v35
	s_and_not1_b32 s0, s0, exec_lo
	s_and_b32 s11, vcc_lo, exec_lo
	s_delay_alu instid0(SALU_CYCLE_1)
	s_or_b32 s0, s0, s11
	s_or_b32 exec_lo, exec_lo, s12
	s_and_saveexec_b32 s11, s0
	s_cbranch_execnz .LBB265_64
	s_branch .LBB265_65
.LBB265_85:                             ;   in Loop: Header=BB265_41 Depth=1
	global_store_b32 v[1:2], v31, off
	s_or_b32 exec_lo, exec_lo, s0
	s_delay_alu instid0(SALU_CYCLE_1)
	s_mov_b32 s0, exec_lo
	v_cmpx_gt_u64_e64 s[2:3], v[7:8]
	s_cbranch_execz .LBB265_67
.LBB265_86:                             ;   in Loop: Header=BB265_41 Depth=1
	global_store_b32 v[3:4], v32, off
	s_or_b32 exec_lo, exec_lo, s0
	s_delay_alu instid0(SALU_CYCLE_1)
	s_mov_b32 s0, exec_lo
	v_cmpx_gt_u64_e64 s[2:3], v[9:10]
	s_cbranch_execz .LBB265_68
.LBB265_87:                             ;   in Loop: Header=BB265_41 Depth=1
	v_add_co_u32 v5, vcc_lo, v1, s8
	v_add_co_ci_u32_e32 v6, vcc_lo, 0, v2, vcc_lo
	global_store_b32 v[5:6], v33, off
	s_or_b32 exec_lo, exec_lo, s0
	s_delay_alu instid0(SALU_CYCLE_1)
	s_mov_b32 s0, exec_lo
	v_cmpx_gt_u64_e64 s[2:3], v[11:12]
	s_cbranch_execz .LBB265_40
.LBB265_88:                             ;   in Loop: Header=BB265_41 Depth=1
	v_add_co_u32 v5, vcc_lo, v1, s9
	v_add_co_ci_u32_e32 v6, vcc_lo, 0, v2, vcc_lo
	global_store_b32 v[5:6], v34, off
	s_branch .LBB265_40
.LBB265_89:
	s_nop 0
	s_sendmsg sendmsg(MSG_DEALLOC_VGPRS)
	s_endpgm
	.section	.rodata,"a",@progbits
	.p2align	6, 0x0
	.amdhsa_kernel _ZN2at6native12_GLOBAL__N_125multi_tensor_apply_kernelINS1_18TensorListMetadataILi2EEENS1_11CopyFunctorIfN3c1015Float8_e4m3fnuzELi2ELi1ELi1EEEJNS0_4CopyIfS7_EEEEEvT_T0_DpT1_
		.amdhsa_group_segment_fixed_size 0
		.amdhsa_private_segment_fixed_size 0
		.amdhsa_kernarg_size 3408
		.amdhsa_user_sgpr_count 15
		.amdhsa_user_sgpr_dispatch_ptr 0
		.amdhsa_user_sgpr_queue_ptr 0
		.amdhsa_user_sgpr_kernarg_segment_ptr 1
		.amdhsa_user_sgpr_dispatch_id 0
		.amdhsa_user_sgpr_private_segment_size 0
		.amdhsa_wavefront_size32 1
		.amdhsa_uses_dynamic_stack 0
		.amdhsa_enable_private_segment 0
		.amdhsa_system_sgpr_workgroup_id_x 1
		.amdhsa_system_sgpr_workgroup_id_y 0
		.amdhsa_system_sgpr_workgroup_id_z 0
		.amdhsa_system_sgpr_workgroup_info 0
		.amdhsa_system_vgpr_workitem_id 0
		.amdhsa_next_free_vgpr 39
		.amdhsa_next_free_sgpr 22
		.amdhsa_reserve_vcc 1
		.amdhsa_float_round_mode_32 0
		.amdhsa_float_round_mode_16_64 0
		.amdhsa_float_denorm_mode_32 3
		.amdhsa_float_denorm_mode_16_64 3
		.amdhsa_dx10_clamp 1
		.amdhsa_ieee_mode 1
		.amdhsa_fp16_overflow 0
		.amdhsa_workgroup_processor_mode 1
		.amdhsa_memory_ordered 1
		.amdhsa_forward_progress 0
		.amdhsa_shared_vgpr_count 0
		.amdhsa_exception_fp_ieee_invalid_op 0
		.amdhsa_exception_fp_denorm_src 0
		.amdhsa_exception_fp_ieee_div_zero 0
		.amdhsa_exception_fp_ieee_overflow 0
		.amdhsa_exception_fp_ieee_underflow 0
		.amdhsa_exception_fp_ieee_inexact 0
		.amdhsa_exception_int_div_zero 0
	.end_amdhsa_kernel
	.section	.text._ZN2at6native12_GLOBAL__N_125multi_tensor_apply_kernelINS1_18TensorListMetadataILi2EEENS1_11CopyFunctorIfN3c1015Float8_e4m3fnuzELi2ELi1ELi1EEEJNS0_4CopyIfS7_EEEEEvT_T0_DpT1_,"axG",@progbits,_ZN2at6native12_GLOBAL__N_125multi_tensor_apply_kernelINS1_18TensorListMetadataILi2EEENS1_11CopyFunctorIfN3c1015Float8_e4m3fnuzELi2ELi1ELi1EEEJNS0_4CopyIfS7_EEEEEvT_T0_DpT1_,comdat
.Lfunc_end265:
	.size	_ZN2at6native12_GLOBAL__N_125multi_tensor_apply_kernelINS1_18TensorListMetadataILi2EEENS1_11CopyFunctorIfN3c1015Float8_e4m3fnuzELi2ELi1ELi1EEEJNS0_4CopyIfS7_EEEEEvT_T0_DpT1_, .Lfunc_end265-_ZN2at6native12_GLOBAL__N_125multi_tensor_apply_kernelINS1_18TensorListMetadataILi2EEENS1_11CopyFunctorIfN3c1015Float8_e4m3fnuzELi2ELi1ELi1EEEJNS0_4CopyIfS7_EEEEEvT_T0_DpT1_
                                        ; -- End function
	.section	.AMDGPU.csdata,"",@progbits
; Kernel info:
; codeLenInByte = 3540
; NumSgprs: 24
; NumVgprs: 39
; ScratchSize: 0
; MemoryBound: 0
; FloatMode: 240
; IeeeMode: 1
; LDSByteSize: 0 bytes/workgroup (compile time only)
; SGPRBlocks: 2
; VGPRBlocks: 4
; NumSGPRsForWavesPerEU: 24
; NumVGPRsForWavesPerEU: 39
; Occupancy: 16
; WaveLimiterHint : 0
; COMPUTE_PGM_RSRC2:SCRATCH_EN: 0
; COMPUTE_PGM_RSRC2:USER_SGPR: 15
; COMPUTE_PGM_RSRC2:TRAP_HANDLER: 0
; COMPUTE_PGM_RSRC2:TGID_X_EN: 1
; COMPUTE_PGM_RSRC2:TGID_Y_EN: 0
; COMPUTE_PGM_RSRC2:TGID_Z_EN: 0
; COMPUTE_PGM_RSRC2:TIDIG_COMP_CNT: 0
	.section	.text._ZN2at6native12_GLOBAL__N_125multi_tensor_apply_kernelINS1_18TensorListMetadataILi2EEENS1_11CopyFunctorIfN3c1011Float8_e5m2ELi2ELi1ELi1EEEJNS0_4CopyIfS7_EEEEEvT_T0_DpT1_,"axG",@progbits,_ZN2at6native12_GLOBAL__N_125multi_tensor_apply_kernelINS1_18TensorListMetadataILi2EEENS1_11CopyFunctorIfN3c1011Float8_e5m2ELi2ELi1ELi1EEEJNS0_4CopyIfS7_EEEEEvT_T0_DpT1_,comdat
	.globl	_ZN2at6native12_GLOBAL__N_125multi_tensor_apply_kernelINS1_18TensorListMetadataILi2EEENS1_11CopyFunctorIfN3c1011Float8_e5m2ELi2ELi1ELi1EEEJNS0_4CopyIfS7_EEEEEvT_T0_DpT1_ ; -- Begin function _ZN2at6native12_GLOBAL__N_125multi_tensor_apply_kernelINS1_18TensorListMetadataILi2EEENS1_11CopyFunctorIfN3c1011Float8_e5m2ELi2ELi1ELi1EEEJNS0_4CopyIfS7_EEEEEvT_T0_DpT1_
	.p2align	8
	.type	_ZN2at6native12_GLOBAL__N_125multi_tensor_apply_kernelINS1_18TensorListMetadataILi2EEENS1_11CopyFunctorIfN3c1011Float8_e5m2ELi2ELi1ELi1EEEJNS0_4CopyIfS7_EEEEEvT_T0_DpT1_,@function
_ZN2at6native12_GLOBAL__N_125multi_tensor_apply_kernelINS1_18TensorListMetadataILi2EEENS1_11CopyFunctorIfN3c1011Float8_e5m2ELi2ELi1ELi1EEEJNS0_4CopyIfS7_EEEEEvT_T0_DpT1_: ; @_ZN2at6native12_GLOBAL__N_125multi_tensor_apply_kernelINS1_18TensorListMetadataILi2EEENS1_11CopyFunctorIfN3c1011Float8_e5m2ELi2ELi1ELi1EEEJNS0_4CopyIfS7_EEEEEvT_T0_DpT1_
; %bb.0:
	v_mov_b32_e32 v1, s15
	s_add_u32 s2, s0, s15
	s_mul_hi_u32 s3, s15, 3
	s_mul_i32 s15, s15, 3
	s_addc_u32 s4, s1, 0
	global_load_u8 v1, v1, s[0:1] offset:1536
	s_add_u32 s2, s2, s15
	s_addc_u32 s3, s4, s3
	s_load_b32 s10, s[2:3], 0x740
	s_waitcnt lgkmcnt(0)
	s_ashr_i32 s11, s10, 31
	s_delay_alu instid0(SALU_CYCLE_1) | instskip(SKIP_2) | instid1(VALU_DEP_1)
	s_lshl_b64 s[8:9], s[10:11], 16
	s_waitcnt vmcnt(0)
	v_readfirstlane_b32 s5, v1
	s_lshl_b32 s2, s5, 3
	s_mov_b32 s5, 0
	s_clause 0x2
	s_load_b64 s[6:7], s[0:1], s2 offset:0x0
	s_load_b64 s[12:13], s[0:1], s2 offset:0x200
	;; [unrolled: 1-line block ×3, first 2 shown]
	s_waitcnt lgkmcnt(0)
	s_add_u32 s14, s6, s8
	s_addc_u32 s15, s7, s9
	s_and_b32 s16, s12, 15
	s_and_b32 s17, s2, 3
	;; [unrolled: 1-line block ×3, first 2 shown]
	s_or_b32 s16, s17, s16
	s_mov_b32 s17, s5
	s_delay_alu instid0(SALU_CYCLE_1)
	s_or_b64 s[16:17], s[4:5], s[16:17]
	s_sub_u32 s4, s2, s8
	s_subb_u32 s5, s3, s9
	s_cmp_eq_u64 s[16:17], 0
	s_mov_b32 s2, -1
	s_cbranch_scc0 .LBB266_5
; %bb.1:
	v_dual_mov_b32 v2, 0 :: v_dual_lshlrev_b32 v1, 2, v0
	s_mov_b32 s16, exec_lo
	s_delay_alu instid0(VALU_DEP_1)
	v_cmpx_gt_i64_e64 s[4:5], v[1:2]
	s_cbranch_execz .LBB266_4
; %bb.2:
	s_load_b32 s17, s[0:1], 0xc5c
	v_lshlrev_b32_e32 v3, 4, v0
	s_lshl_b64 s[2:3], s[10:11], 18
	s_mov_b32 s18, 0
	s_mov_b32 s20, 0xfe00000
	s_waitcnt lgkmcnt(0)
	s_and_b32 s19, s17, 0xffff
	s_delay_alu instid0(SALU_CYCLE_1) | instskip(SKIP_3) | instid1(VALU_DEP_1)
	s_lshl_b32 s17, s19, 2
	s_add_u32 s2, s12, s2
	s_addc_u32 s3, s13, s3
	v_add_co_u32 v3, s2, s2, v3
	v_add_co_ci_u32_e64 v4, null, s3, 0, s2
	s_lshl_b32 s19, s19, 4
.LBB266_3:                              ; =>This Inner Loop Header: Depth=1
	v_add_co_u32 v5, vcc_lo, s14, v1
	v_add_co_ci_u32_e32 v6, vcc_lo, s15, v2, vcc_lo
	v_add_co_u32 v1, vcc_lo, s17, v1
	v_add_co_ci_u32_e32 v2, vcc_lo, 0, v2, vcc_lo
	global_load_b32 v5, v[5:6], off
	v_cmp_le_i64_e32 vcc_lo, s[4:5], v[1:2]
	v_cmp_lt_u64_e64 s2, 0xffff, v[1:2]
	s_delay_alu instid0(VALU_DEP_1) | instskip(NEXT) | instid1(SALU_CYCLE_1)
	s_or_b32 s2, vcc_lo, s2
	s_and_b32 s21, exec_lo, s2
	s_delay_alu instid0(SALU_CYCLE_1)
	s_or_b32 s18, s21, s18
	s_waitcnt vmcnt(0)
	v_lshlrev_b16 v6, 8, v5
	v_lshlrev_b32_e32 v9, 13, v5
	v_and_or_b32 v10, 0x7f00, v5, 0.5
	v_lshrrev_b32_e32 v12, 8, v5
	v_lshlrev_b32_e32 v8, 17, v5
	v_lshrrev_b32_e32 v15, 16, v5
	v_and_or_b32 v18, 0x7f00, v6, 0.5
	v_bfe_i32 v19, v6, 0, 16
	v_and_or_b32 v6, v9, s20, 0x70000000
	v_dual_add_f32 v9, -0.5, v10 :: v_dual_lshlrev_b32 v10, 17, v12
	v_and_or_b32 v12, 0x7f00, v12, 0.5
	v_dual_add_f32 v18, -0.5, v18 :: v_dual_lshlrev_b32 v7, 25, v5
	v_lshlrev_b32_e32 v11, 16, v5
	s_delay_alu instid0(VALU_DEP_4) | instskip(NEXT) | instid1(VALU_DEP_4)
	v_cmp_gt_u32_e32 vcc_lo, 0x8000000, v10
	v_add_f32_e32 v12, -0.5, v12
	v_lshlrev_b32_e32 v20, 17, v15
	v_and_or_b32 v15, 0x7f00, v15, 0.5
	v_lshlrev_b32_e32 v13, 5, v5
	v_lshrrev_b32_e32 v16, 3, v5
	v_lshrrev_b32_e32 v17, 4, v7
	v_mul_f32_e32 v6, 0x7800000, v6
	v_add_f32_e32 v10, -0.5, v15
	v_and_or_b32 v13, v13, s20, 0x70000000
	v_and_or_b32 v16, v16, s20, 0x70000000
	v_or_b32_e32 v17, 0x70000000, v17
	v_cmp_gt_u32_e64 s3, 0x8000000, v8
	v_lshlrev_b32_e32 v14, 8, v5
	v_mul_f32_e32 v13, 0x7800000, v13
	s_delay_alu instid0(VALU_DEP_4) | instskip(NEXT) | instid1(VALU_DEP_4)
	v_dual_mul_f32 v15, 0x7800000, v16 :: v_dual_mul_f32 v8, 0x7800000, v17
	v_cndmask_b32_e64 v6, v6, v9, s3
	s_delay_alu instid0(VALU_DEP_3) | instskip(SKIP_2) | instid1(VALU_DEP_4)
	v_cndmask_b32_e32 v9, v13, v12, vcc_lo
	v_cmp_gt_u32_e64 s2, 0x8000000, v20
	v_cmp_gt_u32_e32 vcc_lo, 0x8000000, v7
	v_and_or_b32 v6, 0x80000000, v11, v6
	s_delay_alu instid0(VALU_DEP_4) | instskip(NEXT) | instid1(VALU_DEP_4)
	v_and_or_b32 v7, 0x80000000, v14, v9
	v_cndmask_b32_e64 v10, v15, v10, s2
	v_cndmask_b32_e32 v12, v8, v18, vcc_lo
	s_delay_alu instid0(VALU_DEP_2) | instskip(NEXT) | instid1(VALU_DEP_2)
	v_and_or_b32 v8, 0x80000000, v5, v10
	v_and_or_b32 v5, 0x80000000, v19, v12
	global_store_b128 v[3:4], v[5:8], off
	v_add_co_u32 v3, vcc_lo, v3, s19
	v_add_co_ci_u32_e32 v4, vcc_lo, 0, v4, vcc_lo
	s_and_not1_b32 exec_lo, exec_lo, s18
	s_cbranch_execnz .LBB266_3
.LBB266_4:
	s_or_b32 exec_lo, exec_lo, s16
	s_mov_b32 s2, 0
.LBB266_5:
	s_delay_alu instid0(SALU_CYCLE_1)
	s_and_not1_b32 vcc_lo, exec_lo, s2
	s_cbranch_vccnz .LBB266_25
; %bb.6:
	v_cmp_lt_i64_e64 s2, s[4:5], 1
	s_delay_alu instid0(VALU_DEP_1)
	s_and_b32 vcc_lo, exec_lo, s2
	s_cbranch_vccnz .LBB266_25
; %bb.7:
	s_load_b32 s0, s[0:1], 0xc5c
	v_cmp_gt_u64_e64 s1, 0x10000, s[4:5]
	v_add_co_u32 v3, s2, s8, v0
	v_lshlrev_b32_e32 v1, 2, v0
	v_add_co_ci_u32_e64 v4, null, s9, 0, s2
	s_delay_alu instid0(VALU_DEP_3) | instskip(NEXT) | instid1(VALU_DEP_2)
	v_add_co_u32 v13, vcc_lo, s6, v3
                                        ; implicit-def: $vgpr27
                                        ; implicit-def: $vgpr28
                                        ; implicit-def: $vgpr29
                                        ; implicit-def: $vgpr30
	v_add_co_ci_u32_e32 v14, vcc_lo, s7, v4, vcc_lo
	s_waitcnt lgkmcnt(0)
	s_and_b32 s0, s0, 0xffff
	s_and_b32 s1, s1, exec_lo
	s_cselect_b32 s3, s5, 0
	s_cselect_b32 s2, s4, 0x10000
	s_lshl_b64 s[10:11], s[10:11], 18
	s_lshl_b32 s14, s0, 1
	s_lshl_b32 s1, s0, 2
	s_add_u32 s12, s12, s10
	s_mul_i32 s15, s0, 3
	s_addc_u32 s11, s13, s11
	s_lshl_b32 s10, s0, 4
	v_add_co_u32 v1, s16, s12, v1
	s_add_u32 s13, s8, s15
	v_add_co_ci_u32_e64 v2, null, s11, 0, s16
	s_addc_u32 s16, s9, 0
	s_add_u32 s13, s6, s13
	s_addc_u32 s16, s7, s16
	s_add_u32 s8, s8, s14
	;; [unrolled: 2-line block ×3, first 2 shown]
	s_addc_u32 s9, s7, s9
	v_add_co_u32 v19, s8, s8, v0
	s_delay_alu instid0(VALU_DEP_1) | instskip(SKIP_1) | instid1(VALU_DEP_1)
	v_add_co_ci_u32_e64 v20, null, s9, 0, s8
	v_add_co_u32 v21, s9, s14, v0
	v_add_co_ci_u32_e64 v22, null, 0, 0, s9
	v_add_co_u32 v23, s9, v0, s0
	s_lshl_b32 s8, s0, 3
	v_add_co_u32 v15, s13, s13, v0
	s_delay_alu instid0(VALU_DEP_2)
	v_lshlrev_b32_e32 v5, 2, v23
	s_add_u32 s6, s6, s0
	v_add_co_ci_u32_e64 v16, null, s16, 0, s13
	v_add_co_u32 v17, s13, s15, v0
	s_addc_u32 s7, s7, 0
	v_add_co_u32 v25, vcc_lo, s6, v3
	v_add_co_u32 v3, s6, s12, v5
	v_add_co_ci_u32_e64 v18, null, 0, 0, s13
	v_add_co_ci_u32_e64 v24, null, 0, 0, s9
	v_add_co_ci_u32_e32 v26, vcc_lo, s7, v4, vcc_lo
	v_add_co_ci_u32_e64 v4, null, s11, 0, s6
	s_mul_i32 s9, s0, 12
	s_mov_b64 s[6:7], 0
	s_branch .LBB266_9
.LBB266_8:                              ;   in Loop: Header=BB266_9 Depth=1
	s_or_b32 exec_lo, exec_lo, s0
	s_add_u32 s6, s6, s1
	s_addc_u32 s7, s7, 0
	v_add_co_u32 v1, vcc_lo, v1, s10
	v_cmp_ge_i64_e64 s0, s[6:7], s[4:5]
	v_cmp_lt_u64_e64 s11, 0xffff, s[6:7]
	v_add_co_ci_u32_e32 v2, vcc_lo, 0, v2, vcc_lo
	v_add_co_u32 v3, vcc_lo, v3, s10
	v_add_co_ci_u32_e32 v4, vcc_lo, 0, v4, vcc_lo
	s_delay_alu instid0(VALU_DEP_4) | instskip(NEXT) | instid1(SALU_CYCLE_1)
	s_or_b32 s0, s0, s11
	s_and_b32 vcc_lo, exec_lo, s0
	s_cbranch_vccnz .LBB266_25
.LBB266_9:                              ; =>This Inner Loop Header: Depth=1
	v_add_co_u32 v11, s0, v0, s6
	s_delay_alu instid0(VALU_DEP_1) | instskip(NEXT) | instid1(VALU_DEP_1)
	v_add_co_ci_u32_e64 v12, null, 0, s7, s0
	v_cmp_gt_i64_e32 vcc_lo, s[4:5], v[11:12]
	v_cmp_gt_u64_e64 s0, 0x10000, v[11:12]
	s_delay_alu instid0(VALU_DEP_1) | instskip(NEXT) | instid1(SALU_CYCLE_1)
	s_and_b32 s11, vcc_lo, s0
	s_and_saveexec_b32 s0, s11
	s_cbranch_execz .LBB266_11
; %bb.10:                               ;   in Loop: Header=BB266_9 Depth=1
	v_add_co_u32 v5, vcc_lo, v13, s6
	v_add_co_ci_u32_e32 v6, vcc_lo, s7, v14, vcc_lo
	global_load_u8 v30, v[5:6], off
.LBB266_11:                             ;   in Loop: Header=BB266_9 Depth=1
	s_or_b32 exec_lo, exec_lo, s0
	v_add_co_u32 v9, vcc_lo, v23, s6
	v_add_co_ci_u32_e32 v10, vcc_lo, s7, v24, vcc_lo
	s_delay_alu instid0(VALU_DEP_1) | instskip(SKIP_1) | instid1(VALU_DEP_1)
	v_cmp_gt_i64_e32 vcc_lo, s[4:5], v[9:10]
	v_cmp_gt_u64_e64 s0, 0x10000, v[9:10]
	s_and_b32 s11, vcc_lo, s0
	s_delay_alu instid0(SALU_CYCLE_1)
	s_and_saveexec_b32 s0, s11
	s_cbranch_execz .LBB266_13
; %bb.12:                               ;   in Loop: Header=BB266_9 Depth=1
	v_add_co_u32 v5, vcc_lo, v25, s6
	v_add_co_ci_u32_e32 v6, vcc_lo, s7, v26, vcc_lo
	global_load_u8 v29, v[5:6], off
.LBB266_13:                             ;   in Loop: Header=BB266_9 Depth=1
	s_or_b32 exec_lo, exec_lo, s0
	v_add_co_u32 v7, vcc_lo, v21, s6
	v_add_co_ci_u32_e32 v8, vcc_lo, s7, v22, vcc_lo
	s_delay_alu instid0(VALU_DEP_1) | instskip(SKIP_1) | instid1(VALU_DEP_1)
	v_cmp_gt_i64_e32 vcc_lo, s[4:5], v[7:8]
	v_cmp_gt_u64_e64 s0, 0x10000, v[7:8]
	s_and_b32 s11, vcc_lo, s0
	s_delay_alu instid0(SALU_CYCLE_1)
	s_and_saveexec_b32 s0, s11
	s_cbranch_execz .LBB266_15
; %bb.14:                               ;   in Loop: Header=BB266_9 Depth=1
	v_add_co_u32 v5, vcc_lo, v19, s6
	v_add_co_ci_u32_e32 v6, vcc_lo, s7, v20, vcc_lo
	global_load_u8 v28, v[5:6], off
.LBB266_15:                             ;   in Loop: Header=BB266_9 Depth=1
	s_or_b32 exec_lo, exec_lo, s0
	v_add_co_u32 v5, vcc_lo, v17, s6
	v_add_co_ci_u32_e32 v6, vcc_lo, s7, v18, vcc_lo
	s_delay_alu instid0(VALU_DEP_1) | instskip(SKIP_1) | instid1(VALU_DEP_1)
	v_cmp_gt_i64_e32 vcc_lo, s[4:5], v[5:6]
	v_cmp_gt_u64_e64 s0, 0x10000, v[5:6]
	s_and_b32 s11, vcc_lo, s0
	s_delay_alu instid0(SALU_CYCLE_1)
	s_and_saveexec_b32 s0, s11
	s_cbranch_execnz .LBB266_20
; %bb.16:                               ;   in Loop: Header=BB266_9 Depth=1
	s_or_b32 exec_lo, exec_lo, s0
	s_delay_alu instid0(SALU_CYCLE_1)
	s_mov_b32 s0, exec_lo
	v_cmpx_gt_u64_e64 s[2:3], v[11:12]
	s_cbranch_execnz .LBB266_21
.LBB266_17:                             ;   in Loop: Header=BB266_9 Depth=1
	s_or_b32 exec_lo, exec_lo, s0
	s_delay_alu instid0(SALU_CYCLE_1)
	s_mov_b32 s0, exec_lo
	v_cmpx_gt_u64_e64 s[2:3], v[9:10]
	s_cbranch_execnz .LBB266_22
.LBB266_18:                             ;   in Loop: Header=BB266_9 Depth=1
	s_or_b32 exec_lo, exec_lo, s0
	s_delay_alu instid0(SALU_CYCLE_1)
	s_mov_b32 s0, exec_lo
	v_cmpx_gt_u64_e64 s[2:3], v[7:8]
	s_cbranch_execnz .LBB266_23
.LBB266_19:                             ;   in Loop: Header=BB266_9 Depth=1
	s_or_b32 exec_lo, exec_lo, s0
	s_delay_alu instid0(SALU_CYCLE_1)
	s_mov_b32 s0, exec_lo
	v_cmpx_gt_u64_e64 s[2:3], v[5:6]
	s_cbranch_execz .LBB266_8
	s_branch .LBB266_24
.LBB266_20:                             ;   in Loop: Header=BB266_9 Depth=1
	v_add_co_u32 v31, vcc_lo, v15, s6
	v_add_co_ci_u32_e32 v32, vcc_lo, s7, v16, vcc_lo
	global_load_u8 v27, v[31:32], off
	s_or_b32 exec_lo, exec_lo, s0
	s_delay_alu instid0(SALU_CYCLE_1)
	s_mov_b32 s0, exec_lo
	v_cmpx_gt_u64_e64 s[2:3], v[11:12]
	s_cbranch_execz .LBB266_17
.LBB266_21:                             ;   in Loop: Header=BB266_9 Depth=1
	s_waitcnt vmcnt(0)
	v_lshlrev_b16 v12, 8, v30
	s_delay_alu instid0(VALU_DEP_1) | instskip(SKIP_2) | instid1(VALU_DEP_3)
	v_and_or_b32 v32, 0x7f00, v12, 0.5
	v_lshlrev_b32_e32 v11, 25, v30
	v_bfe_i32 v12, v12, 0, 16
	v_add_f32_e32 v32, -0.5, v32
	s_delay_alu instid0(VALU_DEP_3) | instskip(SKIP_1) | instid1(VALU_DEP_2)
	v_lshrrev_b32_e32 v31, 4, v11
	v_cmp_gt_u32_e32 vcc_lo, 0x8000000, v11
	v_or_b32_e32 v31, 0x70000000, v31
	s_delay_alu instid0(VALU_DEP_1) | instskip(NEXT) | instid1(VALU_DEP_1)
	v_mul_f32_e32 v31, 0x7800000, v31
	v_cndmask_b32_e32 v11, v31, v32, vcc_lo
	s_delay_alu instid0(VALU_DEP_1) | instskip(SKIP_2) | instid1(SALU_CYCLE_1)
	v_and_or_b32 v11, 0x80000000, v12, v11
	global_store_b32 v[1:2], v11, off
	s_or_b32 exec_lo, exec_lo, s0
	s_mov_b32 s0, exec_lo
	v_cmpx_gt_u64_e64 s[2:3], v[9:10]
	s_cbranch_execz .LBB266_18
.LBB266_22:                             ;   in Loop: Header=BB266_9 Depth=1
	s_waitcnt vmcnt(0)
	v_lshlrev_b16 v10, 8, v29
	s_delay_alu instid0(VALU_DEP_1) | instskip(SKIP_2) | instid1(VALU_DEP_3)
	v_and_or_b32 v12, 0x7f00, v10, 0.5
	v_lshlrev_b32_e32 v9, 25, v29
	v_bfe_i32 v10, v10, 0, 16
	v_add_f32_e32 v12, -0.5, v12
	s_delay_alu instid0(VALU_DEP_3) | instskip(SKIP_1) | instid1(VALU_DEP_2)
	v_lshrrev_b32_e32 v11, 4, v9
	v_cmp_gt_u32_e32 vcc_lo, 0x8000000, v9
	v_or_b32_e32 v11, 0x70000000, v11
	s_delay_alu instid0(VALU_DEP_1) | instskip(NEXT) | instid1(VALU_DEP_1)
	v_mul_f32_e32 v11, 0x7800000, v11
	v_cndmask_b32_e32 v9, v11, v12, vcc_lo
	s_delay_alu instid0(VALU_DEP_1) | instskip(SKIP_2) | instid1(SALU_CYCLE_1)
	v_and_or_b32 v9, 0x80000000, v10, v9
	global_store_b32 v[3:4], v9, off
	s_or_b32 exec_lo, exec_lo, s0
	s_mov_b32 s0, exec_lo
	v_cmpx_gt_u64_e64 s[2:3], v[7:8]
	s_cbranch_execz .LBB266_19
.LBB266_23:                             ;   in Loop: Header=BB266_9 Depth=1
	s_waitcnt vmcnt(0)
	v_lshlrev_b16 v8, 8, v28
	s_delay_alu instid0(VALU_DEP_1) | instskip(SKIP_2) | instid1(VALU_DEP_3)
	v_and_or_b32 v10, 0x7f00, v8, 0.5
	v_lshlrev_b32_e32 v7, 25, v28
	v_bfe_i32 v8, v8, 0, 16
	v_add_f32_e32 v10, -0.5, v10
	s_delay_alu instid0(VALU_DEP_3) | instskip(SKIP_1) | instid1(VALU_DEP_2)
	v_lshrrev_b32_e32 v9, 4, v7
	v_cmp_gt_u32_e32 vcc_lo, 0x8000000, v7
	v_or_b32_e32 v9, 0x70000000, v9
	s_delay_alu instid0(VALU_DEP_1) | instskip(NEXT) | instid1(VALU_DEP_1)
	v_mul_f32_e32 v9, 0x7800000, v9
	v_cndmask_b32_e32 v7, v9, v10, vcc_lo
	s_delay_alu instid0(VALU_DEP_1) | instskip(SKIP_4) | instid1(SALU_CYCLE_1)
	v_and_or_b32 v9, 0x80000000, v8, v7
	v_add_co_u32 v7, vcc_lo, v1, s8
	v_add_co_ci_u32_e32 v8, vcc_lo, 0, v2, vcc_lo
	global_store_b32 v[7:8], v9, off
	s_or_b32 exec_lo, exec_lo, s0
	s_mov_b32 s0, exec_lo
	v_cmpx_gt_u64_e64 s[2:3], v[5:6]
	s_cbranch_execz .LBB266_8
.LBB266_24:                             ;   in Loop: Header=BB266_9 Depth=1
	s_waitcnt vmcnt(0)
	v_lshlrev_b16 v6, 8, v27
	s_delay_alu instid0(VALU_DEP_1) | instskip(SKIP_2) | instid1(VALU_DEP_3)
	v_and_or_b32 v8, 0x7f00, v6, 0.5
	v_lshlrev_b32_e32 v5, 25, v27
	v_bfe_i32 v6, v6, 0, 16
	v_add_f32_e32 v8, -0.5, v8
	s_delay_alu instid0(VALU_DEP_3) | instskip(SKIP_1) | instid1(VALU_DEP_2)
	v_lshrrev_b32_e32 v7, 4, v5
	v_cmp_gt_u32_e32 vcc_lo, 0x8000000, v5
	v_or_b32_e32 v7, 0x70000000, v7
	s_delay_alu instid0(VALU_DEP_1) | instskip(NEXT) | instid1(VALU_DEP_1)
	v_mul_f32_e32 v7, 0x7800000, v7
	v_cndmask_b32_e32 v5, v7, v8, vcc_lo
	s_delay_alu instid0(VALU_DEP_1)
	v_and_or_b32 v7, 0x80000000, v6, v5
	v_add_co_u32 v5, vcc_lo, v1, s9
	v_add_co_ci_u32_e32 v6, vcc_lo, 0, v2, vcc_lo
	global_store_b32 v[5:6], v7, off
	s_branch .LBB266_8
.LBB266_25:
	s_nop 0
	s_sendmsg sendmsg(MSG_DEALLOC_VGPRS)
	s_endpgm
	.section	.rodata,"a",@progbits
	.p2align	6, 0x0
	.amdhsa_kernel _ZN2at6native12_GLOBAL__N_125multi_tensor_apply_kernelINS1_18TensorListMetadataILi2EEENS1_11CopyFunctorIfN3c1011Float8_e5m2ELi2ELi1ELi1EEEJNS0_4CopyIfS7_EEEEEvT_T0_DpT1_
		.amdhsa_group_segment_fixed_size 0
		.amdhsa_private_segment_fixed_size 0
		.amdhsa_kernarg_size 3408
		.amdhsa_user_sgpr_count 15
		.amdhsa_user_sgpr_dispatch_ptr 0
		.amdhsa_user_sgpr_queue_ptr 0
		.amdhsa_user_sgpr_kernarg_segment_ptr 1
		.amdhsa_user_sgpr_dispatch_id 0
		.amdhsa_user_sgpr_private_segment_size 0
		.amdhsa_wavefront_size32 1
		.amdhsa_uses_dynamic_stack 0
		.amdhsa_enable_private_segment 0
		.amdhsa_system_sgpr_workgroup_id_x 1
		.amdhsa_system_sgpr_workgroup_id_y 0
		.amdhsa_system_sgpr_workgroup_id_z 0
		.amdhsa_system_sgpr_workgroup_info 0
		.amdhsa_system_vgpr_workitem_id 0
		.amdhsa_next_free_vgpr 33
		.amdhsa_next_free_sgpr 22
		.amdhsa_reserve_vcc 1
		.amdhsa_float_round_mode_32 0
		.amdhsa_float_round_mode_16_64 0
		.amdhsa_float_denorm_mode_32 3
		.amdhsa_float_denorm_mode_16_64 3
		.amdhsa_dx10_clamp 1
		.amdhsa_ieee_mode 1
		.amdhsa_fp16_overflow 0
		.amdhsa_workgroup_processor_mode 1
		.amdhsa_memory_ordered 1
		.amdhsa_forward_progress 0
		.amdhsa_shared_vgpr_count 0
		.amdhsa_exception_fp_ieee_invalid_op 0
		.amdhsa_exception_fp_denorm_src 0
		.amdhsa_exception_fp_ieee_div_zero 0
		.amdhsa_exception_fp_ieee_overflow 0
		.amdhsa_exception_fp_ieee_underflow 0
		.amdhsa_exception_fp_ieee_inexact 0
		.amdhsa_exception_int_div_zero 0
	.end_amdhsa_kernel
	.section	.text._ZN2at6native12_GLOBAL__N_125multi_tensor_apply_kernelINS1_18TensorListMetadataILi2EEENS1_11CopyFunctorIfN3c1011Float8_e5m2ELi2ELi1ELi1EEEJNS0_4CopyIfS7_EEEEEvT_T0_DpT1_,"axG",@progbits,_ZN2at6native12_GLOBAL__N_125multi_tensor_apply_kernelINS1_18TensorListMetadataILi2EEENS1_11CopyFunctorIfN3c1011Float8_e5m2ELi2ELi1ELi1EEEJNS0_4CopyIfS7_EEEEEvT_T0_DpT1_,comdat
.Lfunc_end266:
	.size	_ZN2at6native12_GLOBAL__N_125multi_tensor_apply_kernelINS1_18TensorListMetadataILi2EEENS1_11CopyFunctorIfN3c1011Float8_e5m2ELi2ELi1ELi1EEEJNS0_4CopyIfS7_EEEEEvT_T0_DpT1_, .Lfunc_end266-_ZN2at6native12_GLOBAL__N_125multi_tensor_apply_kernelINS1_18TensorListMetadataILi2EEENS1_11CopyFunctorIfN3c1011Float8_e5m2ELi2ELi1ELi1EEEJNS0_4CopyIfS7_EEEEEvT_T0_DpT1_
                                        ; -- End function
	.section	.AMDGPU.csdata,"",@progbits
; Kernel info:
; codeLenInByte = 2060
; NumSgprs: 24
; NumVgprs: 33
; ScratchSize: 0
; MemoryBound: 0
; FloatMode: 240
; IeeeMode: 1
; LDSByteSize: 0 bytes/workgroup (compile time only)
; SGPRBlocks: 2
; VGPRBlocks: 4
; NumSGPRsForWavesPerEU: 24
; NumVGPRsForWavesPerEU: 33
; Occupancy: 16
; WaveLimiterHint : 0
; COMPUTE_PGM_RSRC2:SCRATCH_EN: 0
; COMPUTE_PGM_RSRC2:USER_SGPR: 15
; COMPUTE_PGM_RSRC2:TRAP_HANDLER: 0
; COMPUTE_PGM_RSRC2:TGID_X_EN: 1
; COMPUTE_PGM_RSRC2:TGID_Y_EN: 0
; COMPUTE_PGM_RSRC2:TGID_Z_EN: 0
; COMPUTE_PGM_RSRC2:TIDIG_COMP_CNT: 0
	.section	.text._ZN2at6native12_GLOBAL__N_125multi_tensor_apply_kernelINS1_18TensorListMetadataILi2EEENS1_11CopyFunctorIfN3c1015Float8_e5m2fnuzELi2ELi1ELi1EEEJNS0_4CopyIfS7_EEEEEvT_T0_DpT1_,"axG",@progbits,_ZN2at6native12_GLOBAL__N_125multi_tensor_apply_kernelINS1_18TensorListMetadataILi2EEENS1_11CopyFunctorIfN3c1015Float8_e5m2fnuzELi2ELi1ELi1EEEJNS0_4CopyIfS7_EEEEEvT_T0_DpT1_,comdat
	.globl	_ZN2at6native12_GLOBAL__N_125multi_tensor_apply_kernelINS1_18TensorListMetadataILi2EEENS1_11CopyFunctorIfN3c1015Float8_e5m2fnuzELi2ELi1ELi1EEEJNS0_4CopyIfS7_EEEEEvT_T0_DpT1_ ; -- Begin function _ZN2at6native12_GLOBAL__N_125multi_tensor_apply_kernelINS1_18TensorListMetadataILi2EEENS1_11CopyFunctorIfN3c1015Float8_e5m2fnuzELi2ELi1ELi1EEEJNS0_4CopyIfS7_EEEEEvT_T0_DpT1_
	.p2align	8
	.type	_ZN2at6native12_GLOBAL__N_125multi_tensor_apply_kernelINS1_18TensorListMetadataILi2EEENS1_11CopyFunctorIfN3c1015Float8_e5m2fnuzELi2ELi1ELi1EEEJNS0_4CopyIfS7_EEEEEvT_T0_DpT1_,@function
_ZN2at6native12_GLOBAL__N_125multi_tensor_apply_kernelINS1_18TensorListMetadataILi2EEENS1_11CopyFunctorIfN3c1015Float8_e5m2fnuzELi2ELi1ELi1EEEJNS0_4CopyIfS7_EEEEEvT_T0_DpT1_: ; @_ZN2at6native12_GLOBAL__N_125multi_tensor_apply_kernelINS1_18TensorListMetadataILi2EEENS1_11CopyFunctorIfN3c1015Float8_e5m2fnuzELi2ELi1ELi1EEEJNS0_4CopyIfS7_EEEEEvT_T0_DpT1_
; %bb.0:
	v_mov_b32_e32 v1, s15
	s_add_u32 s2, s0, s15
	s_mul_hi_u32 s3, s15, 3
	s_mul_i32 s15, s15, 3
	s_addc_u32 s4, s1, 0
	global_load_u8 v1, v1, s[0:1] offset:1536
	s_add_u32 s2, s2, s15
	s_addc_u32 s3, s4, s3
	s_mov_b32 s17, 0
	s_load_b32 s10, s[2:3], 0x740
	s_mov_b32 s19, s17
	s_waitcnt lgkmcnt(0)
	s_ashr_i32 s11, s10, 31
	s_delay_alu instid0(SALU_CYCLE_1) | instskip(SKIP_2) | instid1(VALU_DEP_1)
	s_lshl_b64 s[8:9], s[10:11], 16
	s_waitcnt vmcnt(0)
	v_readfirstlane_b32 s5, v1
	s_lshl_b32 s2, s5, 3
	s_clause 0x2
	s_load_b64 s[6:7], s[0:1], s2 offset:0x0
	s_load_b64 s[12:13], s[0:1], s2 offset:0x200
	;; [unrolled: 1-line block ×3, first 2 shown]
	s_waitcnt lgkmcnt(0)
	s_add_u32 s3, s6, s8
	s_addc_u32 s14, s7, s9
	s_and_b32 s2, s12, 15
	s_and_b32 s15, s4, 3
	;; [unrolled: 1-line block ×3, first 2 shown]
	s_or_b32 s18, s15, s2
	s_mov_b32 s2, -1
	s_or_b64 s[16:17], s[16:17], s[18:19]
	s_sub_u32 s4, s4, s8
	s_subb_u32 s5, s5, s9
	s_cmp_eq_u64 s[16:17], 0
	s_cbranch_scc0 .LBB267_37
; %bb.1:
	v_dual_mov_b32 v6, 0 :: v_dual_lshlrev_b32 v5, 2, v0
	s_mov_b32 s15, exec_lo
	s_delay_alu instid0(VALU_DEP_1)
	v_cmpx_gt_i64_e64 s[4:5], v[5:6]
	s_cbranch_execz .LBB267_36
; %bb.2:
	s_load_b32 s2, s[0:1], 0xc5c
	v_lshlrev_b32_e32 v1, 4, v0
	s_lshl_b64 s[18:19], s[10:11], 18
	s_waitcnt lgkmcnt(0)
	s_and_b32 s2, s2, 0xffff
	s_delay_alu instid0(SALU_CYCLE_1) | instskip(SKIP_3) | instid1(VALU_DEP_1)
	s_lshl_b32 s16, s2, 2
	s_add_u32 s17, s12, s18
	s_addc_u32 s18, s13, s19
	v_add_co_u32 v7, s17, s17, v1
	v_add_co_ci_u32_e64 v8, null, s18, 0, s17
	s_mov_b32 s17, 0
	s_lshl_b32 s18, s2, 4
	s_branch .LBB267_4
.LBB267_3:                              ;   in Loop: Header=BB267_4 Depth=1
	s_or_b32 exec_lo, exec_lo, s19
	v_add_co_u32 v5, vcc_lo, s16, v5
	v_add_co_ci_u32_e32 v6, vcc_lo, 0, v6, vcc_lo
	global_store_b128 v[7:8], v[1:4], off
	v_cmp_le_i64_e32 vcc_lo, s[4:5], v[5:6]
	v_cmp_lt_u64_e64 s2, 0xffff, v[5:6]
	s_delay_alu instid0(VALU_DEP_1) | instskip(SKIP_3) | instid1(SALU_CYCLE_1)
	s_or_b32 s2, vcc_lo, s2
	v_add_co_u32 v7, vcc_lo, v7, s18
	v_add_co_ci_u32_e32 v8, vcc_lo, 0, v8, vcc_lo
	s_and_b32 s2, exec_lo, s2
	s_or_b32 s17, s2, s17
	s_delay_alu instid0(SALU_CYCLE_1)
	s_and_not1_b32 exec_lo, exec_lo, s17
	s_cbranch_execz .LBB267_36
.LBB267_4:                              ; =>This Inner Loop Header: Depth=1
	v_add_co_u32 v1, vcc_lo, s3, v5
	v_add_co_ci_u32_e32 v2, vcc_lo, s14, v6, vcc_lo
	s_mov_b32 s2, 0
	s_mov_b32 s20, exec_lo
                                        ; implicit-def: $sgpr19
	global_load_b32 v9, v[1:2], off
	s_waitcnt vmcnt(0)
	v_and_b32_e32 v2, 0xff, v9
	s_delay_alu instid0(VALU_DEP_1)
	v_cmpx_lt_i16_e32 0x7f, v2
	s_xor_b32 s20, exec_lo, s20
	s_cbranch_execnz .LBB267_19
; %bb.5:                                ;   in Loop: Header=BB267_4 Depth=1
	s_or_saveexec_b32 s20, s20
	v_mov_b32_e32 v1, s19
	s_xor_b32 exec_lo, exec_lo, s20
	s_cbranch_execnz .LBB267_22
.LBB267_6:                              ;   in Loop: Header=BB267_4 Depth=1
	s_or_b32 exec_lo, exec_lo, s20
	s_and_saveexec_b32 s19, s2
	s_cbranch_execz .LBB267_8
.LBB267_7:                              ;   in Loop: Header=BB267_4 Depth=1
	v_bfe_u32 v4, v9, 2, 5
	s_delay_alu instid0(VALU_DEP_1) | instskip(SKIP_1) | instid1(VALU_DEP_1)
	v_cmp_eq_u32_e32 vcc_lo, 0, v4
	v_and_b32_e32 v1, 3, v9
	v_clz_i32_u32_e32 v2, v1
	s_delay_alu instid0(VALU_DEP_1) | instskip(NEXT) | instid1(VALU_DEP_1)
	v_min_u32_e32 v2, 32, v2
	v_subrev_nc_u32_e32 v3, 29, v2
	v_sub_nc_u32_e32 v2, 30, v2
	s_delay_alu instid0(VALU_DEP_1) | instskip(NEXT) | instid1(VALU_DEP_1)
	v_dual_cndmask_b32 v2, v4, v2 :: v_dual_lshlrev_b32 v3, v3, v9
	v_and_b32_e32 v3, 3, v3
	v_lshlrev_b32_e32 v10, 24, v9
	s_delay_alu instid0(VALU_DEP_3) | instskip(NEXT) | instid1(VALU_DEP_3)
	v_lshl_add_u32 v2, v2, 23, 0x37800000
	v_cndmask_b32_e32 v1, v1, v3, vcc_lo
	s_delay_alu instid0(VALU_DEP_3) | instskip(NEXT) | instid1(VALU_DEP_2)
	v_and_b32_e32 v3, 0x80000000, v10
	v_lshlrev_b32_e32 v1, 21, v1
	s_delay_alu instid0(VALU_DEP_1)
	v_or3_b32 v1, v3, v2, v1
.LBB267_8:                              ;   in Loop: Header=BB267_4 Depth=1
	s_or_b32 exec_lo, exec_lo, s19
	v_lshrrev_b32_e32 v3, 8, v9
	s_mov_b32 s2, 0
	s_mov_b32 s20, exec_lo
                                        ; implicit-def: $sgpr19
	s_delay_alu instid0(VALU_DEP_1) | instskip(NEXT) | instid1(VALU_DEP_1)
	v_and_b32_e32 v4, 0xff, v3
	v_cmpx_lt_i16_e32 0x7f, v4
	s_xor_b32 s20, exec_lo, s20
	s_cbranch_execnz .LBB267_23
; %bb.9:                                ;   in Loop: Header=BB267_4 Depth=1
	s_or_saveexec_b32 s20, s20
	v_mov_b32_e32 v2, s19
	s_xor_b32 exec_lo, exec_lo, s20
	s_cbranch_execnz .LBB267_26
.LBB267_10:                             ;   in Loop: Header=BB267_4 Depth=1
	s_or_b32 exec_lo, exec_lo, s20
	s_and_saveexec_b32 s19, s2
	s_cbranch_execz .LBB267_12
.LBB267_11:                             ;   in Loop: Header=BB267_4 Depth=1
	v_bfe_u32 v2, v9, 8, 2
	v_bfe_u32 v11, v9, 10, 5
	s_delay_alu instid0(VALU_DEP_2) | instskip(NEXT) | instid1(VALU_DEP_2)
	v_clz_i32_u32_e32 v4, v2
	v_cmp_eq_u32_e32 vcc_lo, 0, v11
	s_delay_alu instid0(VALU_DEP_2) | instskip(NEXT) | instid1(VALU_DEP_1)
	v_min_u32_e32 v4, 32, v4
	v_subrev_nc_u32_e32 v10, 29, v4
	v_sub_nc_u32_e32 v4, 30, v4
	s_delay_alu instid0(VALU_DEP_2) | instskip(NEXT) | instid1(VALU_DEP_2)
	v_lshlrev_b32_e32 v10, v10, v3
	v_dual_cndmask_b32 v4, v11, v4 :: v_dual_lshlrev_b32 v3, 24, v3
	s_delay_alu instid0(VALU_DEP_2) | instskip(NEXT) | instid1(VALU_DEP_2)
	v_and_b32_e32 v10, 3, v10
	v_and_b32_e32 v3, 0x80000000, v3
	s_delay_alu instid0(VALU_DEP_3) | instskip(NEXT) | instid1(VALU_DEP_3)
	v_lshl_add_u32 v4, v4, 23, 0x37800000
	v_cndmask_b32_e32 v2, v2, v10, vcc_lo
	s_delay_alu instid0(VALU_DEP_1) | instskip(NEXT) | instid1(VALU_DEP_1)
	v_lshlrev_b32_e32 v2, 21, v2
	v_or3_b32 v2, v3, v4, v2
.LBB267_12:                             ;   in Loop: Header=BB267_4 Depth=1
	s_or_b32 exec_lo, exec_lo, s19
	v_lshrrev_b32_e32 v4, 16, v9
	s_mov_b32 s2, 0
	s_mov_b32 s20, exec_lo
                                        ; implicit-def: $sgpr19
	s_delay_alu instid0(VALU_DEP_1) | instskip(NEXT) | instid1(VALU_DEP_1)
	v_and_b32_e32 v10, 0xff, v4
	v_cmpx_lt_i16_e32 0x7f, v10
	s_xor_b32 s20, exec_lo, s20
	s_cbranch_execnz .LBB267_27
; %bb.13:                               ;   in Loop: Header=BB267_4 Depth=1
	s_or_saveexec_b32 s20, s20
	v_mov_b32_e32 v3, s19
	s_xor_b32 exec_lo, exec_lo, s20
	s_cbranch_execnz .LBB267_30
.LBB267_14:                             ;   in Loop: Header=BB267_4 Depth=1
	s_or_b32 exec_lo, exec_lo, s20
	s_and_saveexec_b32 s19, s2
	s_cbranch_execz .LBB267_16
.LBB267_15:                             ;   in Loop: Header=BB267_4 Depth=1
	v_bfe_u32 v3, v9, 16, 2
	v_bfe_u32 v12, v9, 18, 5
	s_delay_alu instid0(VALU_DEP_2) | instskip(NEXT) | instid1(VALU_DEP_2)
	v_clz_i32_u32_e32 v10, v3
	v_cmp_eq_u32_e32 vcc_lo, 0, v12
	s_delay_alu instid0(VALU_DEP_2) | instskip(NEXT) | instid1(VALU_DEP_1)
	v_min_u32_e32 v10, 32, v10
	v_subrev_nc_u32_e32 v11, 29, v10
	v_sub_nc_u32_e32 v10, 30, v10
	s_delay_alu instid0(VALU_DEP_1) | instskip(NEXT) | instid1(VALU_DEP_1)
	v_dual_cndmask_b32 v10, v12, v10 :: v_dual_lshlrev_b32 v11, v11, v4
	v_and_b32_e32 v11, 3, v11
	v_lshlrev_b32_e32 v4, 24, v4
	s_delay_alu instid0(VALU_DEP_3) | instskip(NEXT) | instid1(VALU_DEP_2)
	v_lshl_add_u32 v10, v10, 23, 0x37800000
	v_dual_cndmask_b32 v3, v3, v11 :: v_dual_and_b32 v4, 0x80000000, v4
	s_delay_alu instid0(VALU_DEP_1) | instskip(NEXT) | instid1(VALU_DEP_1)
	v_lshlrev_b32_e32 v3, 21, v3
	v_or3_b32 v3, v4, v10, v3
.LBB267_16:                             ;   in Loop: Header=BB267_4 Depth=1
	s_or_b32 exec_lo, exec_lo, s19
	v_lshrrev_b32_e32 v10, 24, v9
	s_mov_b32 s2, 0
	s_mov_b32 s20, exec_lo
                                        ; implicit-def: $sgpr19
	s_delay_alu instid0(VALU_DEP_1)
	v_cmpx_lt_i16_e32 0x7f, v10
	s_xor_b32 s20, exec_lo, s20
	s_cbranch_execnz .LBB267_31
; %bb.17:                               ;   in Loop: Header=BB267_4 Depth=1
	s_or_saveexec_b32 s20, s20
	v_mov_b32_e32 v4, s19
	s_xor_b32 exec_lo, exec_lo, s20
	s_cbranch_execnz .LBB267_34
.LBB267_18:                             ;   in Loop: Header=BB267_4 Depth=1
	s_or_b32 exec_lo, exec_lo, s20
	s_and_saveexec_b32 s19, s2
	s_cbranch_execz .LBB267_3
	s_branch .LBB267_35
.LBB267_19:                             ;   in Loop: Header=BB267_4 Depth=1
	s_mov_b32 s2, -1
	s_mov_b32 s21, exec_lo
                                        ; implicit-def: $sgpr19
	v_cmpx_eq_u16_e32 0x80, v2
; %bb.20:                               ;   in Loop: Header=BB267_4 Depth=1
	s_mov_b32 s19, 0x7f800001
	s_xor_b32 s2, exec_lo, -1
; %bb.21:                               ;   in Loop: Header=BB267_4 Depth=1
	s_or_b32 exec_lo, exec_lo, s21
	s_delay_alu instid0(SALU_CYCLE_1)
	s_and_b32 s2, s2, exec_lo
                                        ; implicit-def: $vgpr2
	s_or_saveexec_b32 s20, s20
	v_mov_b32_e32 v1, s19
	s_xor_b32 exec_lo, exec_lo, s20
	s_cbranch_execz .LBB267_6
.LBB267_22:                             ;   in Loop: Header=BB267_4 Depth=1
	v_cmp_ne_u16_e32 vcc_lo, 0, v2
	v_and_b32_e32 v1, 0xffff, v2
	s_and_not1_b32 s2, s2, exec_lo
	s_and_b32 s19, vcc_lo, exec_lo
	s_delay_alu instid0(SALU_CYCLE_1)
	s_or_b32 s2, s2, s19
	s_or_b32 exec_lo, exec_lo, s20
	s_and_saveexec_b32 s19, s2
	s_cbranch_execnz .LBB267_7
	s_branch .LBB267_8
.LBB267_23:                             ;   in Loop: Header=BB267_4 Depth=1
	s_mov_b32 s2, -1
	s_mov_b32 s21, exec_lo
                                        ; implicit-def: $sgpr19
	v_cmpx_eq_u16_e32 0x80, v4
; %bb.24:                               ;   in Loop: Header=BB267_4 Depth=1
	s_mov_b32 s19, 0x7f800001
	s_xor_b32 s2, exec_lo, -1
; %bb.25:                               ;   in Loop: Header=BB267_4 Depth=1
	s_or_b32 exec_lo, exec_lo, s21
	s_delay_alu instid0(SALU_CYCLE_1)
	s_and_b32 s2, s2, exec_lo
                                        ; implicit-def: $vgpr4
	s_or_saveexec_b32 s20, s20
	v_mov_b32_e32 v2, s19
	s_xor_b32 exec_lo, exec_lo, s20
	s_cbranch_execz .LBB267_10
.LBB267_26:                             ;   in Loop: Header=BB267_4 Depth=1
	v_cmp_ne_u16_e32 vcc_lo, 0, v4
	v_and_b32_e32 v2, 0xffff, v4
	s_and_not1_b32 s2, s2, exec_lo
	s_and_b32 s19, vcc_lo, exec_lo
	s_delay_alu instid0(SALU_CYCLE_1)
	s_or_b32 s2, s2, s19
	s_or_b32 exec_lo, exec_lo, s20
	s_and_saveexec_b32 s19, s2
	s_cbranch_execnz .LBB267_11
	s_branch .LBB267_12
.LBB267_27:                             ;   in Loop: Header=BB267_4 Depth=1
	s_mov_b32 s2, -1
	s_mov_b32 s21, exec_lo
                                        ; implicit-def: $sgpr19
	v_cmpx_eq_u16_e32 0x80, v10
; %bb.28:                               ;   in Loop: Header=BB267_4 Depth=1
	s_mov_b32 s19, 0x7f800001
	s_xor_b32 s2, exec_lo, -1
; %bb.29:                               ;   in Loop: Header=BB267_4 Depth=1
	s_or_b32 exec_lo, exec_lo, s21
	s_delay_alu instid0(SALU_CYCLE_1)
	s_and_b32 s2, s2, exec_lo
                                        ; implicit-def: $vgpr10
	s_or_saveexec_b32 s20, s20
	v_mov_b32_e32 v3, s19
	s_xor_b32 exec_lo, exec_lo, s20
	s_cbranch_execz .LBB267_14
.LBB267_30:                             ;   in Loop: Header=BB267_4 Depth=1
	v_cmp_ne_u16_e32 vcc_lo, 0, v10
	v_and_b32_e32 v3, 0xffff, v10
	s_and_not1_b32 s2, s2, exec_lo
	s_and_b32 s19, vcc_lo, exec_lo
	s_delay_alu instid0(SALU_CYCLE_1)
	s_or_b32 s2, s2, s19
	s_or_b32 exec_lo, exec_lo, s20
	s_and_saveexec_b32 s19, s2
	s_cbranch_execnz .LBB267_15
	s_branch .LBB267_16
.LBB267_31:                             ;   in Loop: Header=BB267_4 Depth=1
	s_mov_b32 s2, -1
	s_mov_b32 s21, exec_lo
                                        ; implicit-def: $sgpr19
	v_cmpx_eq_u16_e32 0x80, v10
; %bb.32:                               ;   in Loop: Header=BB267_4 Depth=1
	s_mov_b32 s19, 0x7f800001
	s_xor_b32 s2, exec_lo, -1
; %bb.33:                               ;   in Loop: Header=BB267_4 Depth=1
	s_or_b32 exec_lo, exec_lo, s21
	s_delay_alu instid0(SALU_CYCLE_1)
	s_and_b32 s2, s2, exec_lo
	s_or_saveexec_b32 s20, s20
	v_mov_b32_e32 v4, s19
	s_xor_b32 exec_lo, exec_lo, s20
	s_cbranch_execz .LBB267_18
.LBB267_34:                             ;   in Loop: Header=BB267_4 Depth=1
	v_cmp_ne_u16_e32 vcc_lo, 0, v10
	v_and_b32_e32 v4, 0xffff, v10
	s_and_not1_b32 s2, s2, exec_lo
	s_and_b32 s19, vcc_lo, exec_lo
	s_delay_alu instid0(SALU_CYCLE_1)
	s_or_b32 s2, s2, s19
	s_or_b32 exec_lo, exec_lo, s20
	s_and_saveexec_b32 s19, s2
	s_cbranch_execz .LBB267_3
.LBB267_35:                             ;   in Loop: Header=BB267_4 Depth=1
	v_bfe_u32 v4, v9, 24, 2
	s_delay_alu instid0(VALU_DEP_1) | instskip(NEXT) | instid1(VALU_DEP_1)
	v_clz_i32_u32_e32 v11, v4
	v_min_u32_e32 v11, 32, v11
	s_delay_alu instid0(VALU_DEP_1) | instskip(SKIP_1) | instid1(VALU_DEP_2)
	v_subrev_nc_u32_e32 v12, 29, v11
	v_sub_nc_u32_e32 v11, 30, v11
	v_lshlrev_b32_e32 v10, v12, v10
	v_bfe_u32 v12, v9, 26, 5
	v_and_b32_e32 v9, 0x80000000, v9
	s_delay_alu instid0(VALU_DEP_2) | instskip(NEXT) | instid1(VALU_DEP_4)
	v_cmp_eq_u32_e32 vcc_lo, 0, v12
	v_dual_cndmask_b32 v11, v12, v11 :: v_dual_and_b32 v10, 3, v10
	s_delay_alu instid0(VALU_DEP_1) | instskip(NEXT) | instid1(VALU_DEP_2)
	v_cndmask_b32_e32 v4, v4, v10, vcc_lo
	v_lshl_add_u32 v10, v11, 23, 0x37800000
	s_delay_alu instid0(VALU_DEP_2) | instskip(NEXT) | instid1(VALU_DEP_1)
	v_lshlrev_b32_e32 v4, 21, v4
	v_or3_b32 v4, v9, v10, v4
	s_branch .LBB267_3
.LBB267_36:
	s_or_b32 exec_lo, exec_lo, s15
	s_mov_b32 s2, 0
.LBB267_37:
	s_delay_alu instid0(SALU_CYCLE_1)
	s_and_not1_b32 vcc_lo, exec_lo, s2
	s_cbranch_vccnz .LBB267_89
; %bb.38:
	v_cmp_lt_i64_e64 s2, s[4:5], 1
	s_delay_alu instid0(VALU_DEP_1)
	s_and_b32 vcc_lo, exec_lo, s2
	s_cbranch_vccnz .LBB267_89
; %bb.39:
	s_load_b32 s0, s[0:1], 0xc5c
	v_cmp_gt_u64_e64 s1, 0x10000, s[4:5]
	v_add_co_u32 v3, s2, s8, v0
	v_lshlrev_b32_e32 v1, 2, v0
	v_add_co_ci_u32_e64 v4, null, s9, 0, s2
	s_delay_alu instid0(VALU_DEP_3) | instskip(NEXT) | instid1(VALU_DEP_2)
	v_add_co_u32 v13, vcc_lo, s6, v3
                                        ; implicit-def: $vgpr27
                                        ; implicit-def: $vgpr28
                                        ; implicit-def: $vgpr29
                                        ; implicit-def: $vgpr30
	v_add_co_ci_u32_e32 v14, vcc_lo, s7, v4, vcc_lo
	s_waitcnt lgkmcnt(0)
	s_and_b32 s0, s0, 0xffff
	s_and_b32 s1, s1, exec_lo
	s_cselect_b32 s3, s5, 0
	s_cselect_b32 s2, s4, 0x10000
	s_lshl_b64 s[10:11], s[10:11], 18
	s_lshl_b32 s14, s0, 1
	s_lshl_b32 s1, s0, 2
	s_add_u32 s12, s12, s10
	s_mul_i32 s15, s0, 3
	s_addc_u32 s11, s13, s11
	s_lshl_b32 s10, s0, 4
	v_add_co_u32 v1, s16, s12, v1
	s_add_u32 s13, s8, s15
	v_add_co_ci_u32_e64 v2, null, s11, 0, s16
	s_addc_u32 s16, s9, 0
	s_add_u32 s13, s6, s13
	s_addc_u32 s16, s7, s16
	s_add_u32 s8, s8, s14
	s_addc_u32 s9, s9, 0
	s_add_u32 s8, s6, s8
	s_addc_u32 s9, s7, s9
	v_add_co_u32 v19, s8, s8, v0
	s_delay_alu instid0(VALU_DEP_1) | instskip(SKIP_1) | instid1(VALU_DEP_1)
	v_add_co_ci_u32_e64 v20, null, s9, 0, s8
	v_add_co_u32 v21, s9, s14, v0
	v_add_co_ci_u32_e64 v22, null, 0, 0, s9
	v_add_co_u32 v23, s9, v0, s0
	s_lshl_b32 s8, s0, 3
	v_add_co_u32 v15, s13, s13, v0
	s_delay_alu instid0(VALU_DEP_2)
	v_lshlrev_b32_e32 v5, 2, v23
	s_add_u32 s6, s6, s0
	v_add_co_ci_u32_e64 v16, null, s16, 0, s13
	v_add_co_u32 v17, s13, s15, v0
	s_addc_u32 s7, s7, 0
	v_add_co_u32 v25, vcc_lo, s6, v3
	v_add_co_u32 v3, s6, s12, v5
	v_add_co_ci_u32_e64 v18, null, 0, 0, s13
	v_add_co_ci_u32_e64 v24, null, 0, 0, s9
	v_add_co_ci_u32_e32 v26, vcc_lo, s7, v4, vcc_lo
	v_add_co_ci_u32_e64 v4, null, s11, 0, s6
	s_mul_i32 s9, s0, 12
	s_mov_b64 s[6:7], 0
	s_branch .LBB267_41
.LBB267_40:                             ;   in Loop: Header=BB267_41 Depth=1
	s_or_b32 exec_lo, exec_lo, s0
	s_add_u32 s6, s6, s1
	s_addc_u32 s7, s7, 0
	v_add_co_u32 v1, vcc_lo, v1, s10
	v_cmp_ge_i64_e64 s0, s[6:7], s[4:5]
	v_cmp_lt_u64_e64 s11, 0xffff, s[6:7]
	v_add_co_ci_u32_e32 v2, vcc_lo, 0, v2, vcc_lo
	v_add_co_u32 v3, vcc_lo, v3, s10
	v_add_co_ci_u32_e32 v4, vcc_lo, 0, v4, vcc_lo
	s_delay_alu instid0(VALU_DEP_4) | instskip(NEXT) | instid1(SALU_CYCLE_1)
	s_or_b32 s0, s0, s11
	s_and_b32 vcc_lo, exec_lo, s0
	s_cbranch_vccnz .LBB267_89
.LBB267_41:                             ; =>This Inner Loop Header: Depth=1
	v_add_co_u32 v5, s0, v0, s6
	s_delay_alu instid0(VALU_DEP_1) | instskip(NEXT) | instid1(VALU_DEP_1)
	v_add_co_ci_u32_e64 v6, null, 0, s7, s0
	v_cmp_gt_i64_e32 vcc_lo, s[4:5], v[5:6]
	v_cmp_gt_u64_e64 s0, 0x10000, v[5:6]
	s_delay_alu instid0(VALU_DEP_1) | instskip(NEXT) | instid1(SALU_CYCLE_1)
	s_and_b32 s11, vcc_lo, s0
	s_and_saveexec_b32 s0, s11
	s_cbranch_execz .LBB267_43
; %bb.42:                               ;   in Loop: Header=BB267_41 Depth=1
	v_add_co_u32 v7, vcc_lo, v13, s6
	v_add_co_ci_u32_e32 v8, vcc_lo, s7, v14, vcc_lo
	global_load_u8 v30, v[7:8], off
.LBB267_43:                             ;   in Loop: Header=BB267_41 Depth=1
	s_or_b32 exec_lo, exec_lo, s0
	v_add_co_u32 v7, vcc_lo, v23, s6
	v_add_co_ci_u32_e32 v8, vcc_lo, s7, v24, vcc_lo
	s_delay_alu instid0(VALU_DEP_1) | instskip(SKIP_1) | instid1(VALU_DEP_1)
	v_cmp_gt_i64_e32 vcc_lo, s[4:5], v[7:8]
	v_cmp_gt_u64_e64 s0, 0x10000, v[7:8]
	s_and_b32 s11, vcc_lo, s0
	s_delay_alu instid0(SALU_CYCLE_1)
	s_and_saveexec_b32 s0, s11
	s_cbranch_execz .LBB267_45
; %bb.44:                               ;   in Loop: Header=BB267_41 Depth=1
	v_add_co_u32 v9, vcc_lo, v25, s6
	v_add_co_ci_u32_e32 v10, vcc_lo, s7, v26, vcc_lo
	global_load_u8 v29, v[9:10], off
.LBB267_45:                             ;   in Loop: Header=BB267_41 Depth=1
	s_or_b32 exec_lo, exec_lo, s0
	v_add_co_u32 v9, vcc_lo, v21, s6
	v_add_co_ci_u32_e32 v10, vcc_lo, s7, v22, vcc_lo
	s_delay_alu instid0(VALU_DEP_1) | instskip(SKIP_1) | instid1(VALU_DEP_1)
	v_cmp_gt_i64_e32 vcc_lo, s[4:5], v[9:10]
	v_cmp_gt_u64_e64 s0, 0x10000, v[9:10]
	s_and_b32 s11, vcc_lo, s0
	s_delay_alu instid0(SALU_CYCLE_1)
	;; [unrolled: 15-line block ×3, first 2 shown]
	s_and_saveexec_b32 s0, s11
	s_cbranch_execz .LBB267_49
; %bb.48:                               ;   in Loop: Header=BB267_41 Depth=1
	v_add_co_u32 v31, vcc_lo, v15, s6
	v_add_co_ci_u32_e32 v32, vcc_lo, s7, v16, vcc_lo
	global_load_u8 v27, v[31:32], off
.LBB267_49:                             ;   in Loop: Header=BB267_41 Depth=1
	s_or_b32 exec_lo, exec_lo, s0
	s_waitcnt vmcnt(0)
	v_and_b32_e32 v32, 0xff, v30
	s_mov_b32 s0, 0
	s_mov_b32 s12, exec_lo
                                        ; implicit-def: $sgpr11
	s_delay_alu instid0(VALU_DEP_1)
	v_cmpx_lt_i16_e32 0x7f, v32
	s_xor_b32 s12, exec_lo, s12
	s_cbranch_execnz .LBB267_69
; %bb.50:                               ;   in Loop: Header=BB267_41 Depth=1
	s_or_saveexec_b32 s12, s12
	v_mov_b32_e32 v31, s11
	s_xor_b32 exec_lo, exec_lo, s12
	s_cbranch_execnz .LBB267_72
.LBB267_51:                             ;   in Loop: Header=BB267_41 Depth=1
	s_or_b32 exec_lo, exec_lo, s12
	s_and_saveexec_b32 s11, s0
	s_cbranch_execz .LBB267_53
.LBB267_52:                             ;   in Loop: Header=BB267_41 Depth=1
	v_lshrrev_b16 v34, 2, v30
	v_lshlrev_b32_e32 v35, 24, v30
	s_delay_alu instid0(VALU_DEP_2) | instskip(NEXT) | instid1(VALU_DEP_1)
	v_and_b32_e32 v34, 31, v34
	v_cmp_eq_u32_e32 vcc_lo, 0, v34
	v_and_b32_e32 v31, 3, v30
	s_delay_alu instid0(VALU_DEP_1) | instskip(NEXT) | instid1(VALU_DEP_1)
	v_clz_i32_u32_e32 v32, v31
	v_min_u32_e32 v32, 32, v32
	s_delay_alu instid0(VALU_DEP_1) | instskip(SKIP_1) | instid1(VALU_DEP_1)
	v_subrev_nc_u32_e32 v33, 29, v32
	v_sub_nc_u32_e32 v32, 30, v32
	v_dual_cndmask_b32 v32, v34, v32 :: v_dual_lshlrev_b32 v33, v33, v30
	s_delay_alu instid0(VALU_DEP_1) | instskip(NEXT) | instid1(VALU_DEP_2)
	v_and_b32_e32 v33, 3, v33
	v_lshl_add_u32 v32, v32, 23, 0x37800000
	s_delay_alu instid0(VALU_DEP_2) | instskip(SKIP_1) | instid1(VALU_DEP_2)
	v_cndmask_b32_e32 v31, v31, v33, vcc_lo
	v_and_b32_e32 v33, 0x80000000, v35
	v_lshlrev_b32_e32 v31, 21, v31
	s_delay_alu instid0(VALU_DEP_1)
	v_or3_b32 v31, v33, v32, v31
.LBB267_53:                             ;   in Loop: Header=BB267_41 Depth=1
	s_or_b32 exec_lo, exec_lo, s11
	v_and_b32_e32 v33, 0xff, v29
	s_mov_b32 s0, 0
	s_mov_b32 s12, exec_lo
                                        ; implicit-def: $sgpr11
	s_delay_alu instid0(VALU_DEP_1)
	v_cmpx_lt_i16_e32 0x7f, v33
	s_xor_b32 s12, exec_lo, s12
	s_cbranch_execnz .LBB267_73
; %bb.54:                               ;   in Loop: Header=BB267_41 Depth=1
	s_or_saveexec_b32 s12, s12
	v_mov_b32_e32 v32, s11
	s_xor_b32 exec_lo, exec_lo, s12
	s_cbranch_execnz .LBB267_76
.LBB267_55:                             ;   in Loop: Header=BB267_41 Depth=1
	s_or_b32 exec_lo, exec_lo, s12
	s_and_saveexec_b32 s11, s0
	s_cbranch_execz .LBB267_57
.LBB267_56:                             ;   in Loop: Header=BB267_41 Depth=1
	v_and_b32_e32 v32, 3, v29
	v_lshrrev_b16 v35, 2, v29
	v_lshlrev_b32_e32 v36, 24, v29
	s_delay_alu instid0(VALU_DEP_3) | instskip(NEXT) | instid1(VALU_DEP_1)
	v_clz_i32_u32_e32 v33, v32
	v_min_u32_e32 v33, 32, v33
	s_delay_alu instid0(VALU_DEP_1) | instskip(SKIP_1) | instid1(VALU_DEP_2)
	v_subrev_nc_u32_e32 v34, 29, v33
	v_sub_nc_u32_e32 v33, 30, v33
	v_lshlrev_b32_e32 v34, v34, v29
	s_delay_alu instid0(VALU_DEP_1) | instskip(SKIP_1) | instid1(VALU_DEP_1)
	v_and_b32_e32 v34, 3, v34
	v_and_b32_e32 v35, 31, v35
	v_cmp_eq_u32_e32 vcc_lo, 0, v35
	s_delay_alu instid0(VALU_DEP_3) | instskip(SKIP_1) | instid1(VALU_DEP_2)
	v_dual_cndmask_b32 v32, v32, v34 :: v_dual_cndmask_b32 v33, v35, v33
	v_and_b32_e32 v34, 0x80000000, v36
	v_lshlrev_b32_e32 v32, 21, v32
	s_delay_alu instid0(VALU_DEP_3) | instskip(NEXT) | instid1(VALU_DEP_1)
	v_lshl_add_u32 v33, v33, 23, 0x37800000
	v_or3_b32 v32, v34, v33, v32
.LBB267_57:                             ;   in Loop: Header=BB267_41 Depth=1
	s_or_b32 exec_lo, exec_lo, s11
	v_and_b32_e32 v34, 0xff, v28
	s_mov_b32 s0, 0
	s_mov_b32 s12, exec_lo
                                        ; implicit-def: $sgpr11
	s_delay_alu instid0(VALU_DEP_1)
	v_cmpx_lt_i16_e32 0x7f, v34
	s_xor_b32 s12, exec_lo, s12
	s_cbranch_execnz .LBB267_77
; %bb.58:                               ;   in Loop: Header=BB267_41 Depth=1
	s_or_saveexec_b32 s12, s12
	v_mov_b32_e32 v33, s11
	s_xor_b32 exec_lo, exec_lo, s12
	s_cbranch_execnz .LBB267_80
.LBB267_59:                             ;   in Loop: Header=BB267_41 Depth=1
	s_or_b32 exec_lo, exec_lo, s12
	s_and_saveexec_b32 s11, s0
	s_cbranch_execz .LBB267_61
.LBB267_60:                             ;   in Loop: Header=BB267_41 Depth=1
	v_lshrrev_b16 v36, 2, v28
	v_lshlrev_b32_e32 v37, 24, v28
	s_delay_alu instid0(VALU_DEP_2) | instskip(NEXT) | instid1(VALU_DEP_1)
	v_and_b32_e32 v36, 31, v36
	v_cmp_eq_u32_e32 vcc_lo, 0, v36
	v_and_b32_e32 v33, 3, v28
	s_delay_alu instid0(VALU_DEP_1) | instskip(NEXT) | instid1(VALU_DEP_1)
	v_clz_i32_u32_e32 v34, v33
	v_min_u32_e32 v34, 32, v34
	s_delay_alu instid0(VALU_DEP_1) | instskip(SKIP_1) | instid1(VALU_DEP_1)
	v_subrev_nc_u32_e32 v35, 29, v34
	v_sub_nc_u32_e32 v34, 30, v34
	v_dual_cndmask_b32 v34, v36, v34 :: v_dual_lshlrev_b32 v35, v35, v28
	s_delay_alu instid0(VALU_DEP_1) | instskip(NEXT) | instid1(VALU_DEP_2)
	v_and_b32_e32 v35, 3, v35
	v_lshl_add_u32 v34, v34, 23, 0x37800000
	s_delay_alu instid0(VALU_DEP_2) | instskip(SKIP_1) | instid1(VALU_DEP_2)
	v_cndmask_b32_e32 v33, v33, v35, vcc_lo
	v_and_b32_e32 v35, 0x80000000, v37
	v_lshlrev_b32_e32 v33, 21, v33
	s_delay_alu instid0(VALU_DEP_1)
	v_or3_b32 v33, v35, v34, v33
.LBB267_61:                             ;   in Loop: Header=BB267_41 Depth=1
	s_or_b32 exec_lo, exec_lo, s11
	v_and_b32_e32 v35, 0xff, v27
	s_mov_b32 s0, 0
	s_mov_b32 s12, exec_lo
                                        ; implicit-def: $sgpr11
	s_delay_alu instid0(VALU_DEP_1)
	v_cmpx_lt_i16_e32 0x7f, v35
	s_xor_b32 s12, exec_lo, s12
	s_cbranch_execnz .LBB267_81
; %bb.62:                               ;   in Loop: Header=BB267_41 Depth=1
	s_or_saveexec_b32 s12, s12
	v_mov_b32_e32 v34, s11
	s_xor_b32 exec_lo, exec_lo, s12
	s_cbranch_execnz .LBB267_84
.LBB267_63:                             ;   in Loop: Header=BB267_41 Depth=1
	s_or_b32 exec_lo, exec_lo, s12
	s_and_saveexec_b32 s11, s0
	s_cbranch_execz .LBB267_65
.LBB267_64:                             ;   in Loop: Header=BB267_41 Depth=1
	v_and_b32_e32 v34, 3, v27
	v_lshrrev_b16 v37, 2, v27
	v_lshlrev_b32_e32 v38, 24, v27
	s_delay_alu instid0(VALU_DEP_3) | instskip(NEXT) | instid1(VALU_DEP_1)
	v_clz_i32_u32_e32 v35, v34
	v_min_u32_e32 v35, 32, v35
	s_delay_alu instid0(VALU_DEP_1) | instskip(SKIP_1) | instid1(VALU_DEP_2)
	v_subrev_nc_u32_e32 v36, 29, v35
	v_sub_nc_u32_e32 v35, 30, v35
	v_lshlrev_b32_e32 v36, v36, v27
	s_delay_alu instid0(VALU_DEP_1) | instskip(SKIP_1) | instid1(VALU_DEP_1)
	v_and_b32_e32 v36, 3, v36
	v_and_b32_e32 v37, 31, v37
	v_cmp_eq_u32_e32 vcc_lo, 0, v37
	s_delay_alu instid0(VALU_DEP_3) | instskip(SKIP_1) | instid1(VALU_DEP_2)
	v_dual_cndmask_b32 v34, v34, v36 :: v_dual_cndmask_b32 v35, v37, v35
	v_and_b32_e32 v36, 0x80000000, v38
	v_lshlrev_b32_e32 v34, 21, v34
	s_delay_alu instid0(VALU_DEP_3) | instskip(NEXT) | instid1(VALU_DEP_1)
	v_lshl_add_u32 v35, v35, 23, 0x37800000
	v_or3_b32 v34, v36, v35, v34
.LBB267_65:                             ;   in Loop: Header=BB267_41 Depth=1
	s_or_b32 exec_lo, exec_lo, s11
	s_delay_alu instid0(SALU_CYCLE_1)
	s_mov_b32 s0, exec_lo
	v_cmpx_gt_u64_e64 s[2:3], v[5:6]
	s_xor_b32 s0, exec_lo, s0
	s_cbranch_execnz .LBB267_85
; %bb.66:                               ;   in Loop: Header=BB267_41 Depth=1
	s_or_b32 exec_lo, exec_lo, s0
	s_delay_alu instid0(SALU_CYCLE_1)
	s_mov_b32 s0, exec_lo
	v_cmpx_gt_u64_e64 s[2:3], v[7:8]
	s_cbranch_execnz .LBB267_86
.LBB267_67:                             ;   in Loop: Header=BB267_41 Depth=1
	s_or_b32 exec_lo, exec_lo, s0
	s_delay_alu instid0(SALU_CYCLE_1)
	s_mov_b32 s0, exec_lo
	v_cmpx_gt_u64_e64 s[2:3], v[9:10]
	s_cbranch_execnz .LBB267_87
.LBB267_68:                             ;   in Loop: Header=BB267_41 Depth=1
	s_or_b32 exec_lo, exec_lo, s0
	s_delay_alu instid0(SALU_CYCLE_1)
	s_mov_b32 s0, exec_lo
	v_cmpx_gt_u64_e64 s[2:3], v[11:12]
	s_cbranch_execz .LBB267_40
	s_branch .LBB267_88
.LBB267_69:                             ;   in Loop: Header=BB267_41 Depth=1
	s_mov_b32 s0, -1
	s_mov_b32 s13, exec_lo
                                        ; implicit-def: $sgpr11
	v_cmpx_eq_u16_e32 0x80, v32
; %bb.70:                               ;   in Loop: Header=BB267_41 Depth=1
	s_mov_b32 s11, 0x7f800001
	s_xor_b32 s0, exec_lo, -1
; %bb.71:                               ;   in Loop: Header=BB267_41 Depth=1
	s_or_b32 exec_lo, exec_lo, s13
	s_delay_alu instid0(SALU_CYCLE_1)
	s_and_b32 s0, s0, exec_lo
                                        ; implicit-def: $vgpr32
	s_or_saveexec_b32 s12, s12
	v_mov_b32_e32 v31, s11
	s_xor_b32 exec_lo, exec_lo, s12
	s_cbranch_execz .LBB267_51
.LBB267_72:                             ;   in Loop: Header=BB267_41 Depth=1
	v_cmp_ne_u16_e32 vcc_lo, 0, v32
	v_and_b32_e32 v31, 0xffff, v32
	s_and_not1_b32 s0, s0, exec_lo
	s_and_b32 s11, vcc_lo, exec_lo
	s_delay_alu instid0(SALU_CYCLE_1)
	s_or_b32 s0, s0, s11
	s_or_b32 exec_lo, exec_lo, s12
	s_and_saveexec_b32 s11, s0
	s_cbranch_execnz .LBB267_52
	s_branch .LBB267_53
.LBB267_73:                             ;   in Loop: Header=BB267_41 Depth=1
	s_mov_b32 s0, -1
	s_mov_b32 s13, exec_lo
                                        ; implicit-def: $sgpr11
	v_cmpx_eq_u16_e32 0x80, v33
; %bb.74:                               ;   in Loop: Header=BB267_41 Depth=1
	s_mov_b32 s11, 0x7f800001
	s_xor_b32 s0, exec_lo, -1
; %bb.75:                               ;   in Loop: Header=BB267_41 Depth=1
	s_or_b32 exec_lo, exec_lo, s13
	s_delay_alu instid0(SALU_CYCLE_1)
	s_and_b32 s0, s0, exec_lo
                                        ; implicit-def: $vgpr33
	s_or_saveexec_b32 s12, s12
	v_mov_b32_e32 v32, s11
	s_xor_b32 exec_lo, exec_lo, s12
	s_cbranch_execz .LBB267_55
.LBB267_76:                             ;   in Loop: Header=BB267_41 Depth=1
	v_cmp_ne_u16_e32 vcc_lo, 0, v33
	v_and_b32_e32 v32, 0xffff, v33
	s_and_not1_b32 s0, s0, exec_lo
	s_and_b32 s11, vcc_lo, exec_lo
	s_delay_alu instid0(SALU_CYCLE_1)
	s_or_b32 s0, s0, s11
	s_or_b32 exec_lo, exec_lo, s12
	s_and_saveexec_b32 s11, s0
	s_cbranch_execnz .LBB267_56
	s_branch .LBB267_57
.LBB267_77:                             ;   in Loop: Header=BB267_41 Depth=1
	s_mov_b32 s0, -1
	s_mov_b32 s13, exec_lo
                                        ; implicit-def: $sgpr11
	v_cmpx_eq_u16_e32 0x80, v34
; %bb.78:                               ;   in Loop: Header=BB267_41 Depth=1
	s_mov_b32 s11, 0x7f800001
	s_xor_b32 s0, exec_lo, -1
; %bb.79:                               ;   in Loop: Header=BB267_41 Depth=1
	s_or_b32 exec_lo, exec_lo, s13
	s_delay_alu instid0(SALU_CYCLE_1)
	s_and_b32 s0, s0, exec_lo
                                        ; implicit-def: $vgpr34
	s_or_saveexec_b32 s12, s12
	v_mov_b32_e32 v33, s11
	s_xor_b32 exec_lo, exec_lo, s12
	s_cbranch_execz .LBB267_59
.LBB267_80:                             ;   in Loop: Header=BB267_41 Depth=1
	v_cmp_ne_u16_e32 vcc_lo, 0, v34
	v_and_b32_e32 v33, 0xffff, v34
	s_and_not1_b32 s0, s0, exec_lo
	s_and_b32 s11, vcc_lo, exec_lo
	s_delay_alu instid0(SALU_CYCLE_1)
	s_or_b32 s0, s0, s11
	s_or_b32 exec_lo, exec_lo, s12
	s_and_saveexec_b32 s11, s0
	s_cbranch_execnz .LBB267_60
	s_branch .LBB267_61
.LBB267_81:                             ;   in Loop: Header=BB267_41 Depth=1
	s_mov_b32 s0, -1
	s_mov_b32 s13, exec_lo
                                        ; implicit-def: $sgpr11
	v_cmpx_eq_u16_e32 0x80, v35
; %bb.82:                               ;   in Loop: Header=BB267_41 Depth=1
	s_mov_b32 s11, 0x7f800001
	s_xor_b32 s0, exec_lo, -1
; %bb.83:                               ;   in Loop: Header=BB267_41 Depth=1
	s_or_b32 exec_lo, exec_lo, s13
	s_delay_alu instid0(SALU_CYCLE_1)
	s_and_b32 s0, s0, exec_lo
                                        ; implicit-def: $vgpr35
	s_or_saveexec_b32 s12, s12
	v_mov_b32_e32 v34, s11
	s_xor_b32 exec_lo, exec_lo, s12
	s_cbranch_execz .LBB267_63
.LBB267_84:                             ;   in Loop: Header=BB267_41 Depth=1
	v_cmp_ne_u16_e32 vcc_lo, 0, v35
	v_and_b32_e32 v34, 0xffff, v35
	s_and_not1_b32 s0, s0, exec_lo
	s_and_b32 s11, vcc_lo, exec_lo
	s_delay_alu instid0(SALU_CYCLE_1)
	s_or_b32 s0, s0, s11
	s_or_b32 exec_lo, exec_lo, s12
	s_and_saveexec_b32 s11, s0
	s_cbranch_execnz .LBB267_64
	s_branch .LBB267_65
.LBB267_85:                             ;   in Loop: Header=BB267_41 Depth=1
	global_store_b32 v[1:2], v31, off
	s_or_b32 exec_lo, exec_lo, s0
	s_delay_alu instid0(SALU_CYCLE_1)
	s_mov_b32 s0, exec_lo
	v_cmpx_gt_u64_e64 s[2:3], v[7:8]
	s_cbranch_execz .LBB267_67
.LBB267_86:                             ;   in Loop: Header=BB267_41 Depth=1
	global_store_b32 v[3:4], v32, off
	s_or_b32 exec_lo, exec_lo, s0
	s_delay_alu instid0(SALU_CYCLE_1)
	s_mov_b32 s0, exec_lo
	v_cmpx_gt_u64_e64 s[2:3], v[9:10]
	s_cbranch_execz .LBB267_68
.LBB267_87:                             ;   in Loop: Header=BB267_41 Depth=1
	v_add_co_u32 v5, vcc_lo, v1, s8
	v_add_co_ci_u32_e32 v6, vcc_lo, 0, v2, vcc_lo
	global_store_b32 v[5:6], v33, off
	s_or_b32 exec_lo, exec_lo, s0
	s_delay_alu instid0(SALU_CYCLE_1)
	s_mov_b32 s0, exec_lo
	v_cmpx_gt_u64_e64 s[2:3], v[11:12]
	s_cbranch_execz .LBB267_40
.LBB267_88:                             ;   in Loop: Header=BB267_41 Depth=1
	v_add_co_u32 v5, vcc_lo, v1, s9
	v_add_co_ci_u32_e32 v6, vcc_lo, 0, v2, vcc_lo
	global_store_b32 v[5:6], v34, off
	s_branch .LBB267_40
.LBB267_89:
	s_nop 0
	s_sendmsg sendmsg(MSG_DEALLOC_VGPRS)
	s_endpgm
	.section	.rodata,"a",@progbits
	.p2align	6, 0x0
	.amdhsa_kernel _ZN2at6native12_GLOBAL__N_125multi_tensor_apply_kernelINS1_18TensorListMetadataILi2EEENS1_11CopyFunctorIfN3c1015Float8_e5m2fnuzELi2ELi1ELi1EEEJNS0_4CopyIfS7_EEEEEvT_T0_DpT1_
		.amdhsa_group_segment_fixed_size 0
		.amdhsa_private_segment_fixed_size 0
		.amdhsa_kernarg_size 3408
		.amdhsa_user_sgpr_count 15
		.amdhsa_user_sgpr_dispatch_ptr 0
		.amdhsa_user_sgpr_queue_ptr 0
		.amdhsa_user_sgpr_kernarg_segment_ptr 1
		.amdhsa_user_sgpr_dispatch_id 0
		.amdhsa_user_sgpr_private_segment_size 0
		.amdhsa_wavefront_size32 1
		.amdhsa_uses_dynamic_stack 0
		.amdhsa_enable_private_segment 0
		.amdhsa_system_sgpr_workgroup_id_x 1
		.amdhsa_system_sgpr_workgroup_id_y 0
		.amdhsa_system_sgpr_workgroup_id_z 0
		.amdhsa_system_sgpr_workgroup_info 0
		.amdhsa_system_vgpr_workitem_id 0
		.amdhsa_next_free_vgpr 39
		.amdhsa_next_free_sgpr 22
		.amdhsa_reserve_vcc 1
		.amdhsa_float_round_mode_32 0
		.amdhsa_float_round_mode_16_64 0
		.amdhsa_float_denorm_mode_32 3
		.amdhsa_float_denorm_mode_16_64 3
		.amdhsa_dx10_clamp 1
		.amdhsa_ieee_mode 1
		.amdhsa_fp16_overflow 0
		.amdhsa_workgroup_processor_mode 1
		.amdhsa_memory_ordered 1
		.amdhsa_forward_progress 0
		.amdhsa_shared_vgpr_count 0
		.amdhsa_exception_fp_ieee_invalid_op 0
		.amdhsa_exception_fp_denorm_src 0
		.amdhsa_exception_fp_ieee_div_zero 0
		.amdhsa_exception_fp_ieee_overflow 0
		.amdhsa_exception_fp_ieee_underflow 0
		.amdhsa_exception_fp_ieee_inexact 0
		.amdhsa_exception_int_div_zero 0
	.end_amdhsa_kernel
	.section	.text._ZN2at6native12_GLOBAL__N_125multi_tensor_apply_kernelINS1_18TensorListMetadataILi2EEENS1_11CopyFunctorIfN3c1015Float8_e5m2fnuzELi2ELi1ELi1EEEJNS0_4CopyIfS7_EEEEEvT_T0_DpT1_,"axG",@progbits,_ZN2at6native12_GLOBAL__N_125multi_tensor_apply_kernelINS1_18TensorListMetadataILi2EEENS1_11CopyFunctorIfN3c1015Float8_e5m2fnuzELi2ELi1ELi1EEEJNS0_4CopyIfS7_EEEEEvT_T0_DpT1_,comdat
.Lfunc_end267:
	.size	_ZN2at6native12_GLOBAL__N_125multi_tensor_apply_kernelINS1_18TensorListMetadataILi2EEENS1_11CopyFunctorIfN3c1015Float8_e5m2fnuzELi2ELi1ELi1EEEJNS0_4CopyIfS7_EEEEEvT_T0_DpT1_, .Lfunc_end267-_ZN2at6native12_GLOBAL__N_125multi_tensor_apply_kernelINS1_18TensorListMetadataILi2EEENS1_11CopyFunctorIfN3c1015Float8_e5m2fnuzELi2ELi1ELi1EEEJNS0_4CopyIfS7_EEEEEvT_T0_DpT1_
                                        ; -- End function
	.section	.AMDGPU.csdata,"",@progbits
; Kernel info:
; codeLenInByte = 3540
; NumSgprs: 24
; NumVgprs: 39
; ScratchSize: 0
; MemoryBound: 0
; FloatMode: 240
; IeeeMode: 1
; LDSByteSize: 0 bytes/workgroup (compile time only)
; SGPRBlocks: 2
; VGPRBlocks: 4
; NumSGPRsForWavesPerEU: 24
; NumVGPRsForWavesPerEU: 39
; Occupancy: 16
; WaveLimiterHint : 0
; COMPUTE_PGM_RSRC2:SCRATCH_EN: 0
; COMPUTE_PGM_RSRC2:USER_SGPR: 15
; COMPUTE_PGM_RSRC2:TRAP_HANDLER: 0
; COMPUTE_PGM_RSRC2:TGID_X_EN: 1
; COMPUTE_PGM_RSRC2:TGID_Y_EN: 0
; COMPUTE_PGM_RSRC2:TGID_Z_EN: 0
; COMPUTE_PGM_RSRC2:TIDIG_COMP_CNT: 0
	.section	.text._ZN2at6native12_GLOBAL__N_125multi_tensor_apply_kernelINS1_18TensorListMetadataILi2EEENS1_11CopyFunctorIN3c107complexIdEEhLi2ELi1ELi1EEEJNS0_4CopyIS8_hEEEEEvT_T0_DpT1_,"axG",@progbits,_ZN2at6native12_GLOBAL__N_125multi_tensor_apply_kernelINS1_18TensorListMetadataILi2EEENS1_11CopyFunctorIN3c107complexIdEEhLi2ELi1ELi1EEEJNS0_4CopyIS8_hEEEEEvT_T0_DpT1_,comdat
	.globl	_ZN2at6native12_GLOBAL__N_125multi_tensor_apply_kernelINS1_18TensorListMetadataILi2EEENS1_11CopyFunctorIN3c107complexIdEEhLi2ELi1ELi1EEEJNS0_4CopyIS8_hEEEEEvT_T0_DpT1_ ; -- Begin function _ZN2at6native12_GLOBAL__N_125multi_tensor_apply_kernelINS1_18TensorListMetadataILi2EEENS1_11CopyFunctorIN3c107complexIdEEhLi2ELi1ELi1EEEJNS0_4CopyIS8_hEEEEEvT_T0_DpT1_
	.p2align	8
	.type	_ZN2at6native12_GLOBAL__N_125multi_tensor_apply_kernelINS1_18TensorListMetadataILi2EEENS1_11CopyFunctorIN3c107complexIdEEhLi2ELi1ELi1EEEJNS0_4CopyIS8_hEEEEEvT_T0_DpT1_,@function
_ZN2at6native12_GLOBAL__N_125multi_tensor_apply_kernelINS1_18TensorListMetadataILi2EEENS1_11CopyFunctorIN3c107complexIdEEhLi2ELi1ELi1EEEJNS0_4CopyIS8_hEEEEEvT_T0_DpT1_: ; @_ZN2at6native12_GLOBAL__N_125multi_tensor_apply_kernelINS1_18TensorListMetadataILi2EEENS1_11CopyFunctorIN3c107complexIdEEhLi2ELi1ELi1EEEJNS0_4CopyIS8_hEEEEEvT_T0_DpT1_
; %bb.0:
	v_mov_b32_e32 v1, s15
	s_add_u32 s2, s0, s15
	s_mul_hi_u32 s3, s15, 3
	s_mul_i32 s15, s15, 3
	s_addc_u32 s4, s1, 0
	global_load_u8 v1, v1, s[0:1] offset:1536
	s_add_u32 s2, s2, s15
	s_addc_u32 s3, s4, s3
	s_mov_b32 s19, 0
	s_load_b32 s4, s[2:3], 0x740
	s_mov_b32 s21, s19
	s_waitcnt vmcnt(0)
	v_readfirstlane_b32 s5, v1
	s_delay_alu instid0(VALU_DEP_1)
	s_lshl_b32 s5, s5, 3
	s_clause 0x2
	s_load_b64 s[6:7], s[0:1], s5 offset:0x0
	s_load_b64 s[2:3], s[0:1], s5 offset:0x200
	;; [unrolled: 1-line block ×3, first 2 shown]
	s_waitcnt lgkmcnt(0)
	s_ashr_i32 s5, s4, 31
	s_delay_alu instid0(SALU_CYCLE_1) | instskip(NEXT) | instid1(SALU_CYCLE_1)
	s_lshl_b64 s[8:9], s[4:5], 16
	s_add_u32 s14, s6, s8
	s_addc_u32 s15, s7, s9
	s_lshl_b64 s[10:11], s[4:5], 20
	s_mov_b32 s5, s19
	s_add_u32 s12, s2, s10
	s_addc_u32 s13, s3, s11
	s_and_b32 s20, s16, 3
	s_and_b32 s4, s12, 63
	;; [unrolled: 1-line block ×3, first 2 shown]
	s_or_b64 s[4:5], s[4:5], s[20:21]
	s_delay_alu instid0(SALU_CYCLE_1)
	s_or_b64 s[18:19], s[18:19], s[4:5]
	s_sub_u32 s4, s16, s8
	s_subb_u32 s5, s17, s9
	s_cmp_eq_u64 s[18:19], 0
	s_mov_b32 s16, -1
	s_cbranch_scc0 .LBB268_5
; %bb.1:
	v_dual_mov_b32 v3, 0 :: v_dual_lshlrev_b32 v2, 2, v0
	s_mov_b32 s16, exec_lo
	s_delay_alu instid0(VALU_DEP_1)
	v_cmpx_gt_i64_e64 s[4:5], v[2:3]
	s_cbranch_execz .LBB268_4
; %bb.2:
	s_load_b32 s17, s[0:1], 0xc5c
	v_dual_mov_b32 v8, v3 :: v_dual_lshlrev_b32 v1, 6, v0
	v_mov_b32_e32 v7, v2
	s_waitcnt lgkmcnt(0)
	s_and_b32 s18, s17, 0xffff
	s_delay_alu instid0(SALU_CYCLE_1) | instskip(SKIP_3) | instid1(VALU_DEP_1)
	s_lshl_b32 s17, s18, 2
	s_add_u32 s2, s2, s10
	s_addc_u32 s3, s3, s11
	v_add_co_u32 v5, s2, s2, v1
	v_add_co_ci_u32_e64 v6, null, s3, 0, s2
	s_mov_b32 s3, 0
	s_lshl_b32 s10, s18, 6
	s_set_inst_prefetch_distance 0x1
	.p2align	6
.LBB268_3:                              ; =>This Inner Loop Header: Depth=1
	v_add_co_u32 v1, vcc_lo, s14, v7
	v_add_co_ci_u32_e32 v2, vcc_lo, s15, v8, vcc_lo
	v_add_co_u32 v7, vcc_lo, s17, v7
	v_add_co_ci_u32_e32 v8, vcc_lo, 0, v8, vcc_lo
	global_load_b32 v1, v[1:2], off
	v_mov_b32_e32 v15, v3
	v_mov_b32_e32 v16, v3
	v_cmp_le_i64_e32 vcc_lo, s[4:5], v[7:8]
	v_cmp_lt_u64_e64 s2, 0xffff, v[7:8]
	v_mov_b32_e32 v19, v3
	v_mov_b32_e32 v20, v3
	s_delay_alu instid0(VALU_DEP_3) | instskip(NEXT) | instid1(SALU_CYCLE_1)
	s_or_b32 s2, vcc_lo, s2
	s_and_b32 s2, exec_lo, s2
	s_delay_alu instid0(SALU_CYCLE_1)
	s_or_b32 s3, s2, s3
	s_waitcnt vmcnt(0)
	v_and_b32_e32 v2, 0xff, v1
	v_bfe_u32 v11, v1, 16, 8
	v_bfe_u32 v4, v1, 8, 8
	v_lshrrev_b32_e32 v12, 24, v1
	s_delay_alu instid0(VALU_DEP_3)
	v_cvt_f64_u32_e32 v[13:14], v11
	v_mov_b32_e32 v11, v3
	v_cvt_f64_u32_e32 v[1:2], v2
	v_cvt_f64_u32_e32 v[9:10], v4
	;; [unrolled: 1-line block ×3, first 2 shown]
	v_mov_b32_e32 v4, v3
	v_mov_b32_e32 v12, v3
	s_clause 0x3
	global_store_b128 v[5:6], v[1:4], off
	global_store_b128 v[5:6], v[9:12], off offset:16
	global_store_b128 v[5:6], v[13:16], off offset:32
	;; [unrolled: 1-line block ×3, first 2 shown]
	v_add_co_u32 v5, vcc_lo, v5, s10
	v_add_co_ci_u32_e32 v6, vcc_lo, 0, v6, vcc_lo
	s_and_not1_b32 exec_lo, exec_lo, s3
	s_cbranch_execnz .LBB268_3
.LBB268_4:
	s_set_inst_prefetch_distance 0x2
	s_or_b32 exec_lo, exec_lo, s16
	s_mov_b32 s16, 0
.LBB268_5:
	s_delay_alu instid0(SALU_CYCLE_1)
	s_and_not1_b32 vcc_lo, exec_lo, s16
	s_cbranch_vccnz .LBB268_25
; %bb.6:
	v_cmp_lt_i64_e64 s2, s[4:5], 1
	s_delay_alu instid0(VALU_DEP_1)
	s_and_b32 vcc_lo, exec_lo, s2
	s_cbranch_vccnz .LBB268_25
; %bb.7:
	s_load_b32 s0, s[0:1], 0xc5c
	v_cmp_gt_u64_e64 s1, 0x10000, s[4:5]
	v_add_co_u32 v1, s2, s8, v0
	s_delay_alu instid0(VALU_DEP_1) | instskip(NEXT) | instid1(VALU_DEP_2)
	v_add_co_ci_u32_e64 v2, null, s9, 0, s2
                                        ; implicit-def: $vgpr31
                                        ; implicit-def: $vgpr32
                                        ; implicit-def: $vgpr33
                                        ; implicit-def: $vgpr34
	v_add_co_u32 v15, vcc_lo, s6, v1
	s_delay_alu instid0(VALU_DEP_2)
	v_add_co_ci_u32_e32 v16, vcc_lo, s7, v2, vcc_lo
	s_waitcnt lgkmcnt(0)
	s_and_b32 s0, s0, 0xffff
	s_and_b32 s1, s1, exec_lo
	v_add_co_u32 v17, s10, v0, s0
	v_mov_b32_e32 v3, 0
	s_mul_i32 s14, s0, 3
	s_cselect_b32 s3, s5, 0
	s_delay_alu instid0(VALU_DEP_2)
	v_lshlrev_b32_e32 v20, 4, v17
	s_cselect_b32 s2, s4, 0x10000
	s_lshl_b32 s11, s0, 1
	s_lshl_b32 s1, s0, 2
	v_add_co_ci_u32_e64 v18, null, 0, 0, s10
	s_lshl_b32 s10, s0, 6
	s_add_u32 s15, s8, s14
	s_addc_u32 s16, s9, 0
	s_add_u32 s15, s6, s15
	v_dual_mov_b32 v6, v3 :: v_dual_lshlrev_b32 v5, 4, v0
	s_addc_u32 s16, s7, s16
	s_add_u32 s8, s8, s11
	s_addc_u32 s9, s9, 0
	s_add_u32 s8, s6, s8
	s_addc_u32 s9, s7, s9
	v_mad_u64_u32 v[7:8], null, s0, 48, v[5:6]
	s_add_u32 s6, s6, s0
	s_addc_u32 s7, s7, 0
	s_lshl_b32 s0, s0, 5
	v_add_co_u32 v6, s15, s15, v0
	v_add_co_u32 v4, s0, s0, v5
	;; [unrolled: 1-line block ×4, first 2 shown]
	v_add_co_u32 v25, vcc_lo, s6, v1
	v_add_co_ci_u32_e64 v27, null, 0, 0, s0
	v_add_co_u32 v29, s0, s11, v0
	v_add_co_ci_u32_e64 v19, null, s16, 0, s15
	v_or_b32_e32 v7, 8, v7
	v_add_co_ci_u32_e64 v22, null, 0, 0, s14
	v_add_co_ci_u32_e64 v24, null, s9, 0, s8
	v_add_co_ci_u32_e32 v26, vcc_lo, s7, v2, vcc_lo
	v_or_b32_e32 v28, 8, v4
	v_add_co_ci_u32_e64 v30, null, 0, 0, s0
	s_mov_b64 s[6:7], 0
	s_branch .LBB268_9
.LBB268_8:                              ;   in Loop: Header=BB268_9 Depth=1
	s_or_b32 exec_lo, exec_lo, s0
	s_add_u32 s6, s6, s1
	s_addc_u32 s7, s7, 0
	s_delay_alu instid0(SALU_CYCLE_1) | instskip(SKIP_1) | instid1(VALU_DEP_1)
	v_cmp_ge_i64_e64 s0, s[6:7], s[4:5]
	v_cmp_lt_u64_e64 s8, 0xffff, s[6:7]
	s_or_b32 s0, s0, s8
	s_add_u32 s12, s12, s10
	s_addc_u32 s13, s13, 0
	s_and_b32 vcc_lo, exec_lo, s0
	s_cbranch_vccnz .LBB268_25
.LBB268_9:                              ; =>This Inner Loop Header: Depth=1
	v_add_co_u32 v1, s0, v0, s6
	s_delay_alu instid0(VALU_DEP_1) | instskip(NEXT) | instid1(VALU_DEP_1)
	v_add_co_ci_u32_e64 v2, null, 0, s7, s0
	v_cmp_gt_i64_e32 vcc_lo, s[4:5], v[1:2]
	v_cmp_gt_u64_e64 s0, 0x10000, v[1:2]
	s_delay_alu instid0(VALU_DEP_1) | instskip(NEXT) | instid1(SALU_CYCLE_1)
	s_and_b32 s8, vcc_lo, s0
	s_and_saveexec_b32 s0, s8
	s_cbranch_execz .LBB268_11
; %bb.10:                               ;   in Loop: Header=BB268_9 Depth=1
	v_add_co_u32 v9, vcc_lo, v15, s6
	v_add_co_ci_u32_e32 v10, vcc_lo, s7, v16, vcc_lo
	global_load_u8 v31, v[9:10], off
.LBB268_11:                             ;   in Loop: Header=BB268_9 Depth=1
	s_or_b32 exec_lo, exec_lo, s0
	v_add_co_u32 v9, vcc_lo, v17, s6
	v_add_co_ci_u32_e32 v10, vcc_lo, s7, v18, vcc_lo
	s_delay_alu instid0(VALU_DEP_1) | instskip(SKIP_1) | instid1(VALU_DEP_1)
	v_cmp_gt_i64_e32 vcc_lo, s[4:5], v[9:10]
	v_cmp_gt_u64_e64 s0, 0x10000, v[9:10]
	s_and_b32 s8, vcc_lo, s0
	s_delay_alu instid0(SALU_CYCLE_1)
	s_and_saveexec_b32 s0, s8
	s_cbranch_execz .LBB268_13
; %bb.12:                               ;   in Loop: Header=BB268_9 Depth=1
	v_add_co_u32 v11, vcc_lo, v25, s6
	v_add_co_ci_u32_e32 v12, vcc_lo, s7, v26, vcc_lo
	global_load_u8 v32, v[11:12], off
.LBB268_13:                             ;   in Loop: Header=BB268_9 Depth=1
	s_or_b32 exec_lo, exec_lo, s0
	v_add_co_u32 v11, vcc_lo, v29, s6
	v_add_co_ci_u32_e32 v12, vcc_lo, s7, v30, vcc_lo
	s_delay_alu instid0(VALU_DEP_1) | instskip(SKIP_1) | instid1(VALU_DEP_1)
	v_cmp_gt_i64_e32 vcc_lo, s[4:5], v[11:12]
	v_cmp_gt_u64_e64 s0, 0x10000, v[11:12]
	s_and_b32 s8, vcc_lo, s0
	s_delay_alu instid0(SALU_CYCLE_1)
	s_and_saveexec_b32 s0, s8
	s_cbranch_execz .LBB268_15
; %bb.14:                               ;   in Loop: Header=BB268_9 Depth=1
	v_add_co_u32 v13, vcc_lo, v23, s6
	v_add_co_ci_u32_e32 v14, vcc_lo, s7, v24, vcc_lo
	global_load_u8 v33, v[13:14], off
.LBB268_15:                             ;   in Loop: Header=BB268_9 Depth=1
	s_or_b32 exec_lo, exec_lo, s0
	v_add_co_u32 v13, vcc_lo, v21, s6
	v_add_co_ci_u32_e32 v14, vcc_lo, s7, v22, vcc_lo
	s_delay_alu instid0(VALU_DEP_1) | instskip(SKIP_1) | instid1(VALU_DEP_1)
	v_cmp_gt_i64_e32 vcc_lo, s[4:5], v[13:14]
	v_cmp_gt_u64_e64 s0, 0x10000, v[13:14]
	s_and_b32 s8, vcc_lo, s0
	s_delay_alu instid0(SALU_CYCLE_1)
	s_and_saveexec_b32 s0, s8
	s_cbranch_execnz .LBB268_20
; %bb.16:                               ;   in Loop: Header=BB268_9 Depth=1
	s_or_b32 exec_lo, exec_lo, s0
	s_delay_alu instid0(SALU_CYCLE_1)
	s_mov_b32 s0, exec_lo
	v_cmpx_gt_u64_e64 s[2:3], v[1:2]
	s_cbranch_execnz .LBB268_21
.LBB268_17:                             ;   in Loop: Header=BB268_9 Depth=1
	s_or_b32 exec_lo, exec_lo, s0
	s_delay_alu instid0(SALU_CYCLE_1)
	s_mov_b32 s0, exec_lo
	v_cmpx_gt_u64_e64 s[2:3], v[9:10]
	s_cbranch_execnz .LBB268_22
.LBB268_18:                             ;   in Loop: Header=BB268_9 Depth=1
	s_or_b32 exec_lo, exec_lo, s0
	s_delay_alu instid0(SALU_CYCLE_1)
	s_mov_b32 s0, exec_lo
	v_cmpx_gt_u64_e64 s[2:3], v[11:12]
	s_cbranch_execnz .LBB268_23
.LBB268_19:                             ;   in Loop: Header=BB268_9 Depth=1
	s_or_b32 exec_lo, exec_lo, s0
	s_delay_alu instid0(SALU_CYCLE_1)
	s_mov_b32 s0, exec_lo
	v_cmpx_gt_u64_e64 s[2:3], v[13:14]
	s_cbranch_execz .LBB268_8
	s_branch .LBB268_24
.LBB268_20:                             ;   in Loop: Header=BB268_9 Depth=1
	s_waitcnt vmcnt(0)
	v_add_co_u32 v34, vcc_lo, v6, s6
	v_add_co_ci_u32_e32 v35, vcc_lo, s7, v19, vcc_lo
	global_load_u8 v34, v[34:35], off
	s_or_b32 exec_lo, exec_lo, s0
	s_delay_alu instid0(SALU_CYCLE_1)
	s_mov_b32 s0, exec_lo
	v_cmpx_gt_u64_e64 s[2:3], v[1:2]
	s_cbranch_execz .LBB268_17
.LBB268_21:                             ;   in Loop: Header=BB268_9 Depth=1
	s_waitcnt vmcnt(0)
	v_dual_mov_b32 v4, v3 :: v_dual_and_b32 v1, 0xff, v31
	v_add_co_u32 v35, s8, s12, v5
	s_delay_alu instid0(VALU_DEP_1) | instskip(NEXT) | instid1(VALU_DEP_3)
	v_add_co_ci_u32_e64 v36, null, s13, 0, s8
	v_and_b32_e32 v1, 0xffff, v1
	s_delay_alu instid0(VALU_DEP_1) | instskip(SKIP_2) | instid1(SALU_CYCLE_1)
	v_cvt_f64_u32_e32 v[1:2], v1
	global_store_b128 v[35:36], v[1:4], off
	s_or_b32 exec_lo, exec_lo, s0
	s_mov_b32 s0, exec_lo
	v_cmpx_gt_u64_e64 s[2:3], v[9:10]
	s_cbranch_execz .LBB268_18
.LBB268_22:                             ;   in Loop: Header=BB268_9 Depth=1
	s_waitcnt vmcnt(0)
	v_dual_mov_b32 v4, v3 :: v_dual_and_b32 v1, 0xff, v32
	v_add_co_u32 v9, s8, s12, v20
	s_delay_alu instid0(VALU_DEP_1) | instskip(NEXT) | instid1(VALU_DEP_3)
	v_add_co_ci_u32_e64 v10, null, s13, 0, s8
	v_and_b32_e32 v1, 0xffff, v1
	s_delay_alu instid0(VALU_DEP_1) | instskip(SKIP_2) | instid1(SALU_CYCLE_1)
	v_cvt_f64_u32_e32 v[1:2], v1
	global_store_b128 v[9:10], v[1:4], off
	s_or_b32 exec_lo, exec_lo, s0
	s_mov_b32 s0, exec_lo
	v_cmpx_gt_u64_e64 s[2:3], v[11:12]
	s_cbranch_execz .LBB268_19
.LBB268_23:                             ;   in Loop: Header=BB268_9 Depth=1
	s_waitcnt vmcnt(0)
	v_dual_mov_b32 v4, v3 :: v_dual_and_b32 v1, 0xff, v33
	v_add_co_u32 v9, vcc_lo, s12, v28
	v_add_co_ci_u32_e32 v10, vcc_lo, s13, v27, vcc_lo
	s_delay_alu instid0(VALU_DEP_3) | instskip(NEXT) | instid1(VALU_DEP_1)
	v_and_b32_e32 v1, 0xffff, v1
	v_cvt_f64_u32_e32 v[1:2], v1
	global_store_b128 v[9:10], v[1:4], off offset:-8
	s_or_b32 exec_lo, exec_lo, s0
	s_delay_alu instid0(SALU_CYCLE_1)
	s_mov_b32 s0, exec_lo
	v_cmpx_gt_u64_e64 s[2:3], v[13:14]
	s_cbranch_execz .LBB268_8
.LBB268_24:                             ;   in Loop: Header=BB268_9 Depth=1
	s_waitcnt vmcnt(0)
	v_dual_mov_b32 v4, v3 :: v_dual_and_b32 v1, 0xff, v34
	v_add_co_u32 v9, vcc_lo, s12, v7
	v_add_co_ci_u32_e32 v10, vcc_lo, s13, v8, vcc_lo
	s_delay_alu instid0(VALU_DEP_3) | instskip(NEXT) | instid1(VALU_DEP_1)
	v_and_b32_e32 v1, 0xffff, v1
	v_cvt_f64_u32_e32 v[1:2], v1
	global_store_b128 v[9:10], v[1:4], off offset:-8
	s_branch .LBB268_8
.LBB268_25:
	s_nop 0
	s_sendmsg sendmsg(MSG_DEALLOC_VGPRS)
	s_endpgm
	.section	.rodata,"a",@progbits
	.p2align	6, 0x0
	.amdhsa_kernel _ZN2at6native12_GLOBAL__N_125multi_tensor_apply_kernelINS1_18TensorListMetadataILi2EEENS1_11CopyFunctorIN3c107complexIdEEhLi2ELi1ELi1EEEJNS0_4CopyIS8_hEEEEEvT_T0_DpT1_
		.amdhsa_group_segment_fixed_size 0
		.amdhsa_private_segment_fixed_size 0
		.amdhsa_kernarg_size 3408
		.amdhsa_user_sgpr_count 15
		.amdhsa_user_sgpr_dispatch_ptr 0
		.amdhsa_user_sgpr_queue_ptr 0
		.amdhsa_user_sgpr_kernarg_segment_ptr 1
		.amdhsa_user_sgpr_dispatch_id 0
		.amdhsa_user_sgpr_private_segment_size 0
		.amdhsa_wavefront_size32 1
		.amdhsa_uses_dynamic_stack 0
		.amdhsa_enable_private_segment 0
		.amdhsa_system_sgpr_workgroup_id_x 1
		.amdhsa_system_sgpr_workgroup_id_y 0
		.amdhsa_system_sgpr_workgroup_id_z 0
		.amdhsa_system_sgpr_workgroup_info 0
		.amdhsa_system_vgpr_workitem_id 0
		.amdhsa_next_free_vgpr 37
		.amdhsa_next_free_sgpr 22
		.amdhsa_reserve_vcc 1
		.amdhsa_float_round_mode_32 0
		.amdhsa_float_round_mode_16_64 0
		.amdhsa_float_denorm_mode_32 3
		.amdhsa_float_denorm_mode_16_64 3
		.amdhsa_dx10_clamp 1
		.amdhsa_ieee_mode 1
		.amdhsa_fp16_overflow 0
		.amdhsa_workgroup_processor_mode 1
		.amdhsa_memory_ordered 1
		.amdhsa_forward_progress 0
		.amdhsa_shared_vgpr_count 0
		.amdhsa_exception_fp_ieee_invalid_op 0
		.amdhsa_exception_fp_denorm_src 0
		.amdhsa_exception_fp_ieee_div_zero 0
		.amdhsa_exception_fp_ieee_overflow 0
		.amdhsa_exception_fp_ieee_underflow 0
		.amdhsa_exception_fp_ieee_inexact 0
		.amdhsa_exception_int_div_zero 0
	.end_amdhsa_kernel
	.section	.text._ZN2at6native12_GLOBAL__N_125multi_tensor_apply_kernelINS1_18TensorListMetadataILi2EEENS1_11CopyFunctorIN3c107complexIdEEhLi2ELi1ELi1EEEJNS0_4CopyIS8_hEEEEEvT_T0_DpT1_,"axG",@progbits,_ZN2at6native12_GLOBAL__N_125multi_tensor_apply_kernelINS1_18TensorListMetadataILi2EEENS1_11CopyFunctorIN3c107complexIdEEhLi2ELi1ELi1EEEJNS0_4CopyIS8_hEEEEEvT_T0_DpT1_,comdat
.Lfunc_end268:
	.size	_ZN2at6native12_GLOBAL__N_125multi_tensor_apply_kernelINS1_18TensorListMetadataILi2EEENS1_11CopyFunctorIN3c107complexIdEEhLi2ELi1ELi1EEEJNS0_4CopyIS8_hEEEEEvT_T0_DpT1_, .Lfunc_end268-_ZN2at6native12_GLOBAL__N_125multi_tensor_apply_kernelINS1_18TensorListMetadataILi2EEENS1_11CopyFunctorIN3c107complexIdEEhLi2ELi1ELi1EEEJNS0_4CopyIS8_hEEEEEvT_T0_DpT1_
                                        ; -- End function
	.section	.AMDGPU.csdata,"",@progbits
; Kernel info:
; codeLenInByte = 1604
; NumSgprs: 24
; NumVgprs: 37
; ScratchSize: 0
; MemoryBound: 0
; FloatMode: 240
; IeeeMode: 1
; LDSByteSize: 0 bytes/workgroup (compile time only)
; SGPRBlocks: 2
; VGPRBlocks: 4
; NumSGPRsForWavesPerEU: 24
; NumVGPRsForWavesPerEU: 37
; Occupancy: 16
; WaveLimiterHint : 0
; COMPUTE_PGM_RSRC2:SCRATCH_EN: 0
; COMPUTE_PGM_RSRC2:USER_SGPR: 15
; COMPUTE_PGM_RSRC2:TRAP_HANDLER: 0
; COMPUTE_PGM_RSRC2:TGID_X_EN: 1
; COMPUTE_PGM_RSRC2:TGID_Y_EN: 0
; COMPUTE_PGM_RSRC2:TGID_Z_EN: 0
; COMPUTE_PGM_RSRC2:TIDIG_COMP_CNT: 0
	.section	.text._ZN2at6native12_GLOBAL__N_125multi_tensor_apply_kernelINS1_18TensorListMetadataILi2EEENS1_11CopyFunctorIN3c107complexIdEEaLi2ELi1ELi1EEEJNS0_4CopyIS8_aEEEEEvT_T0_DpT1_,"axG",@progbits,_ZN2at6native12_GLOBAL__N_125multi_tensor_apply_kernelINS1_18TensorListMetadataILi2EEENS1_11CopyFunctorIN3c107complexIdEEaLi2ELi1ELi1EEEJNS0_4CopyIS8_aEEEEEvT_T0_DpT1_,comdat
	.globl	_ZN2at6native12_GLOBAL__N_125multi_tensor_apply_kernelINS1_18TensorListMetadataILi2EEENS1_11CopyFunctorIN3c107complexIdEEaLi2ELi1ELi1EEEJNS0_4CopyIS8_aEEEEEvT_T0_DpT1_ ; -- Begin function _ZN2at6native12_GLOBAL__N_125multi_tensor_apply_kernelINS1_18TensorListMetadataILi2EEENS1_11CopyFunctorIN3c107complexIdEEaLi2ELi1ELi1EEEJNS0_4CopyIS8_aEEEEEvT_T0_DpT1_
	.p2align	8
	.type	_ZN2at6native12_GLOBAL__N_125multi_tensor_apply_kernelINS1_18TensorListMetadataILi2EEENS1_11CopyFunctorIN3c107complexIdEEaLi2ELi1ELi1EEEJNS0_4CopyIS8_aEEEEEvT_T0_DpT1_,@function
_ZN2at6native12_GLOBAL__N_125multi_tensor_apply_kernelINS1_18TensorListMetadataILi2EEENS1_11CopyFunctorIN3c107complexIdEEaLi2ELi1ELi1EEEJNS0_4CopyIS8_aEEEEEvT_T0_DpT1_: ; @_ZN2at6native12_GLOBAL__N_125multi_tensor_apply_kernelINS1_18TensorListMetadataILi2EEENS1_11CopyFunctorIN3c107complexIdEEaLi2ELi1ELi1EEEJNS0_4CopyIS8_aEEEEEvT_T0_DpT1_
; %bb.0:
	v_mov_b32_e32 v1, s15
	s_add_u32 s2, s0, s15
	s_mul_hi_u32 s3, s15, 3
	s_mul_i32 s15, s15, 3
	s_addc_u32 s4, s1, 0
	global_load_u8 v1, v1, s[0:1] offset:1536
	s_add_u32 s2, s2, s15
	s_addc_u32 s3, s4, s3
	s_mov_b32 s19, 0
	s_load_b32 s4, s[2:3], 0x740
	s_mov_b32 s21, s19
	s_waitcnt vmcnt(0)
	v_readfirstlane_b32 s5, v1
	s_delay_alu instid0(VALU_DEP_1)
	s_lshl_b32 s5, s5, 3
	s_clause 0x2
	s_load_b64 s[6:7], s[0:1], s5 offset:0x0
	s_load_b64 s[2:3], s[0:1], s5 offset:0x200
	;; [unrolled: 1-line block ×3, first 2 shown]
	s_waitcnt lgkmcnt(0)
	s_ashr_i32 s5, s4, 31
	s_delay_alu instid0(SALU_CYCLE_1) | instskip(NEXT) | instid1(SALU_CYCLE_1)
	s_lshl_b64 s[8:9], s[4:5], 16
	s_add_u32 s14, s6, s8
	s_addc_u32 s15, s7, s9
	s_lshl_b64 s[10:11], s[4:5], 20
	s_mov_b32 s5, s19
	s_add_u32 s12, s2, s10
	s_addc_u32 s13, s3, s11
	s_and_b32 s20, s16, 3
	s_and_b32 s4, s12, 63
	;; [unrolled: 1-line block ×3, first 2 shown]
	s_or_b64 s[4:5], s[4:5], s[20:21]
	s_delay_alu instid0(SALU_CYCLE_1)
	s_or_b64 s[18:19], s[18:19], s[4:5]
	s_sub_u32 s4, s16, s8
	s_subb_u32 s5, s17, s9
	s_cmp_eq_u64 s[18:19], 0
	s_mov_b32 s16, -1
	s_cbranch_scc0 .LBB269_5
; %bb.1:
	v_dual_mov_b32 v3, 0 :: v_dual_lshlrev_b32 v2, 2, v0
	s_mov_b32 s16, exec_lo
	s_delay_alu instid0(VALU_DEP_1)
	v_cmpx_gt_i64_e64 s[4:5], v[2:3]
	s_cbranch_execz .LBB269_4
; %bb.2:
	s_load_b32 s17, s[0:1], 0xc5c
	v_dual_mov_b32 v8, v3 :: v_dual_lshlrev_b32 v1, 6, v0
	v_mov_b32_e32 v7, v2
	s_waitcnt lgkmcnt(0)
	s_and_b32 s18, s17, 0xffff
	s_delay_alu instid0(SALU_CYCLE_1) | instskip(SKIP_3) | instid1(VALU_DEP_1)
	s_lshl_b32 s17, s18, 2
	s_add_u32 s2, s2, s10
	s_addc_u32 s3, s3, s11
	v_add_co_u32 v5, s2, s2, v1
	v_add_co_ci_u32_e64 v6, null, s3, 0, s2
	s_mov_b32 s3, 0
	s_lshl_b32 s10, s18, 6
.LBB269_3:                              ; =>This Inner Loop Header: Depth=1
	v_add_co_u32 v1, vcc_lo, s14, v7
	v_add_co_ci_u32_e32 v2, vcc_lo, s15, v8, vcc_lo
	v_add_co_u32 v7, vcc_lo, s17, v7
	v_add_co_ci_u32_e32 v8, vcc_lo, 0, v8, vcc_lo
	global_load_b32 v1, v[1:2], off
	v_mov_b32_e32 v12, v3
	v_mov_b32_e32 v15, v3
	v_cmp_le_i64_e32 vcc_lo, s[4:5], v[7:8]
	v_cmp_lt_u64_e64 s2, 0xffff, v[7:8]
	v_mov_b32_e32 v16, v3
	v_mov_b32_e32 v19, v3
	;; [unrolled: 1-line block ×3, first 2 shown]
	s_delay_alu instid0(VALU_DEP_4) | instskip(NEXT) | instid1(SALU_CYCLE_1)
	s_or_b32 s2, vcc_lo, s2
	s_and_b32 s2, exec_lo, s2
	s_delay_alu instid0(SALU_CYCLE_1)
	s_or_b32 s3, s2, s3
	s_waitcnt vmcnt(0)
	v_lshrrev_b32_e32 v2, 8, v1
	v_lshrrev_b32_e32 v4, 16, v1
	;; [unrolled: 1-line block ×3, first 2 shown]
	v_bfe_i32 v1, v1, 0, 8
	s_delay_alu instid0(VALU_DEP_4) | instskip(NEXT) | instid1(VALU_DEP_4)
	v_bfe_i32 v2, v2, 0, 8
	v_bfe_i32 v4, v4, 0, 8
	s_delay_alu instid0(VALU_DEP_4) | instskip(NEXT) | instid1(VALU_DEP_4)
	v_bfe_i32 v9, v9, 0, 8
	;; [unrolled: 3-line block ×4, first 2 shown]
	v_cvt_f64_i32_e32 v[1:2], v1
	s_delay_alu instid0(VALU_DEP_4) | instskip(NEXT) | instid1(VALU_DEP_4)
	v_cvt_f64_i32_e32 v[9:10], v10
	v_cvt_f64_i32_e32 v[13:14], v4
	s_delay_alu instid0(VALU_DEP_4)
	v_cvt_f64_i32_e32 v[17:18], v11
	v_mov_b32_e32 v4, v3
	v_mov_b32_e32 v11, v3
	s_clause 0x3
	global_store_b128 v[5:6], v[1:4], off
	global_store_b128 v[5:6], v[9:12], off offset:16
	global_store_b128 v[5:6], v[13:16], off offset:32
	;; [unrolled: 1-line block ×3, first 2 shown]
	v_add_co_u32 v5, vcc_lo, v5, s10
	v_add_co_ci_u32_e32 v6, vcc_lo, 0, v6, vcc_lo
	s_and_not1_b32 exec_lo, exec_lo, s3
	s_cbranch_execnz .LBB269_3
.LBB269_4:
	s_or_b32 exec_lo, exec_lo, s16
	s_mov_b32 s16, 0
.LBB269_5:
	s_delay_alu instid0(SALU_CYCLE_1)
	s_and_not1_b32 vcc_lo, exec_lo, s16
	s_cbranch_vccnz .LBB269_25
; %bb.6:
	v_cmp_lt_i64_e64 s2, s[4:5], 1
	s_delay_alu instid0(VALU_DEP_1)
	s_and_b32 vcc_lo, exec_lo, s2
	s_cbranch_vccnz .LBB269_25
; %bb.7:
	s_load_b32 s0, s[0:1], 0xc5c
	v_cmp_gt_u64_e64 s1, 0x10000, s[4:5]
	v_add_co_u32 v1, s2, s8, v0
	s_delay_alu instid0(VALU_DEP_1) | instskip(NEXT) | instid1(VALU_DEP_2)
	v_add_co_ci_u32_e64 v2, null, s9, 0, s2
                                        ; implicit-def: $vgpr31
                                        ; implicit-def: $vgpr32
                                        ; implicit-def: $vgpr33
                                        ; implicit-def: $vgpr34
	v_add_co_u32 v15, vcc_lo, s6, v1
	s_delay_alu instid0(VALU_DEP_2)
	v_add_co_ci_u32_e32 v16, vcc_lo, s7, v2, vcc_lo
	s_waitcnt lgkmcnt(0)
	s_and_b32 s0, s0, 0xffff
	s_and_b32 s1, s1, exec_lo
	v_add_co_u32 v17, s10, v0, s0
	v_mov_b32_e32 v3, 0
	s_mul_i32 s14, s0, 3
	s_cselect_b32 s3, s5, 0
	s_delay_alu instid0(VALU_DEP_2)
	v_lshlrev_b32_e32 v20, 4, v17
	s_cselect_b32 s2, s4, 0x10000
	s_lshl_b32 s11, s0, 1
	s_lshl_b32 s1, s0, 2
	v_add_co_ci_u32_e64 v18, null, 0, 0, s10
	s_lshl_b32 s10, s0, 6
	s_add_u32 s15, s8, s14
	s_addc_u32 s16, s9, 0
	s_add_u32 s15, s6, s15
	v_dual_mov_b32 v6, v3 :: v_dual_lshlrev_b32 v5, 4, v0
	s_addc_u32 s16, s7, s16
	s_add_u32 s8, s8, s11
	s_addc_u32 s9, s9, 0
	s_add_u32 s8, s6, s8
	s_addc_u32 s9, s7, s9
	v_mad_u64_u32 v[7:8], null, s0, 48, v[5:6]
	s_add_u32 s6, s6, s0
	s_addc_u32 s7, s7, 0
	s_lshl_b32 s0, s0, 5
	v_add_co_u32 v6, s15, s15, v0
	v_add_co_u32 v4, s0, s0, v5
	;; [unrolled: 1-line block ×4, first 2 shown]
	v_add_co_u32 v25, vcc_lo, s6, v1
	v_add_co_ci_u32_e64 v27, null, 0, 0, s0
	v_add_co_u32 v29, s0, s11, v0
	v_add_co_ci_u32_e64 v19, null, s16, 0, s15
	v_or_b32_e32 v7, 8, v7
	v_add_co_ci_u32_e64 v22, null, 0, 0, s14
	v_add_co_ci_u32_e64 v24, null, s9, 0, s8
	v_add_co_ci_u32_e32 v26, vcc_lo, s7, v2, vcc_lo
	v_or_b32_e32 v28, 8, v4
	v_add_co_ci_u32_e64 v30, null, 0, 0, s0
	s_mov_b64 s[6:7], 0
	s_branch .LBB269_9
.LBB269_8:                              ;   in Loop: Header=BB269_9 Depth=1
	s_or_b32 exec_lo, exec_lo, s0
	s_add_u32 s6, s6, s1
	s_addc_u32 s7, s7, 0
	s_delay_alu instid0(SALU_CYCLE_1) | instskip(SKIP_1) | instid1(VALU_DEP_1)
	v_cmp_ge_i64_e64 s0, s[6:7], s[4:5]
	v_cmp_lt_u64_e64 s8, 0xffff, s[6:7]
	s_or_b32 s0, s0, s8
	s_add_u32 s12, s12, s10
	s_addc_u32 s13, s13, 0
	s_and_b32 vcc_lo, exec_lo, s0
	s_cbranch_vccnz .LBB269_25
.LBB269_9:                              ; =>This Inner Loop Header: Depth=1
	v_add_co_u32 v1, s0, v0, s6
	s_delay_alu instid0(VALU_DEP_1) | instskip(NEXT) | instid1(VALU_DEP_1)
	v_add_co_ci_u32_e64 v2, null, 0, s7, s0
	v_cmp_gt_i64_e32 vcc_lo, s[4:5], v[1:2]
	v_cmp_gt_u64_e64 s0, 0x10000, v[1:2]
	s_delay_alu instid0(VALU_DEP_1) | instskip(NEXT) | instid1(SALU_CYCLE_1)
	s_and_b32 s8, vcc_lo, s0
	s_and_saveexec_b32 s0, s8
	s_cbranch_execz .LBB269_11
; %bb.10:                               ;   in Loop: Header=BB269_9 Depth=1
	v_add_co_u32 v9, vcc_lo, v15, s6
	v_add_co_ci_u32_e32 v10, vcc_lo, s7, v16, vcc_lo
	global_load_u8 v31, v[9:10], off
.LBB269_11:                             ;   in Loop: Header=BB269_9 Depth=1
	s_or_b32 exec_lo, exec_lo, s0
	v_add_co_u32 v9, vcc_lo, v17, s6
	v_add_co_ci_u32_e32 v10, vcc_lo, s7, v18, vcc_lo
	s_delay_alu instid0(VALU_DEP_1) | instskip(SKIP_1) | instid1(VALU_DEP_1)
	v_cmp_gt_i64_e32 vcc_lo, s[4:5], v[9:10]
	v_cmp_gt_u64_e64 s0, 0x10000, v[9:10]
	s_and_b32 s8, vcc_lo, s0
	s_delay_alu instid0(SALU_CYCLE_1)
	s_and_saveexec_b32 s0, s8
	s_cbranch_execz .LBB269_13
; %bb.12:                               ;   in Loop: Header=BB269_9 Depth=1
	v_add_co_u32 v11, vcc_lo, v25, s6
	v_add_co_ci_u32_e32 v12, vcc_lo, s7, v26, vcc_lo
	global_load_u8 v32, v[11:12], off
.LBB269_13:                             ;   in Loop: Header=BB269_9 Depth=1
	s_or_b32 exec_lo, exec_lo, s0
	v_add_co_u32 v11, vcc_lo, v29, s6
	v_add_co_ci_u32_e32 v12, vcc_lo, s7, v30, vcc_lo
	s_delay_alu instid0(VALU_DEP_1) | instskip(SKIP_1) | instid1(VALU_DEP_1)
	v_cmp_gt_i64_e32 vcc_lo, s[4:5], v[11:12]
	v_cmp_gt_u64_e64 s0, 0x10000, v[11:12]
	s_and_b32 s8, vcc_lo, s0
	s_delay_alu instid0(SALU_CYCLE_1)
	;; [unrolled: 15-line block ×3, first 2 shown]
	s_and_saveexec_b32 s0, s8
	s_cbranch_execnz .LBB269_20
; %bb.16:                               ;   in Loop: Header=BB269_9 Depth=1
	s_or_b32 exec_lo, exec_lo, s0
	s_delay_alu instid0(SALU_CYCLE_1)
	s_mov_b32 s0, exec_lo
	v_cmpx_gt_u64_e64 s[2:3], v[1:2]
	s_cbranch_execnz .LBB269_21
.LBB269_17:                             ;   in Loop: Header=BB269_9 Depth=1
	s_or_b32 exec_lo, exec_lo, s0
	s_delay_alu instid0(SALU_CYCLE_1)
	s_mov_b32 s0, exec_lo
	v_cmpx_gt_u64_e64 s[2:3], v[9:10]
	s_cbranch_execnz .LBB269_22
.LBB269_18:                             ;   in Loop: Header=BB269_9 Depth=1
	s_or_b32 exec_lo, exec_lo, s0
	s_delay_alu instid0(SALU_CYCLE_1)
	s_mov_b32 s0, exec_lo
	v_cmpx_gt_u64_e64 s[2:3], v[11:12]
	s_cbranch_execnz .LBB269_23
.LBB269_19:                             ;   in Loop: Header=BB269_9 Depth=1
	s_or_b32 exec_lo, exec_lo, s0
	s_delay_alu instid0(SALU_CYCLE_1)
	s_mov_b32 s0, exec_lo
	v_cmpx_gt_u64_e64 s[2:3], v[13:14]
	s_cbranch_execz .LBB269_8
	s_branch .LBB269_24
.LBB269_20:                             ;   in Loop: Header=BB269_9 Depth=1
	s_waitcnt vmcnt(0)
	v_add_co_u32 v34, vcc_lo, v6, s6
	v_add_co_ci_u32_e32 v35, vcc_lo, s7, v19, vcc_lo
	global_load_u8 v34, v[34:35], off
	s_or_b32 exec_lo, exec_lo, s0
	s_delay_alu instid0(SALU_CYCLE_1)
	s_mov_b32 s0, exec_lo
	v_cmpx_gt_u64_e64 s[2:3], v[1:2]
	s_cbranch_execz .LBB269_17
.LBB269_21:                             ;   in Loop: Header=BB269_9 Depth=1
	s_waitcnt vmcnt(0)
	v_bfe_i32 v1, v31, 0, 8
	v_add_co_u32 v35, s8, s12, v5
	s_delay_alu instid0(VALU_DEP_1) | instskip(NEXT) | instid1(VALU_DEP_3)
	v_add_co_ci_u32_e64 v36, null, s13, 0, s8
	v_bfe_i32 v1, v1, 0, 16
	v_mov_b32_e32 v4, v3
	s_delay_alu instid0(VALU_DEP_2) | instskip(SKIP_2) | instid1(SALU_CYCLE_1)
	v_cvt_f64_i32_e32 v[1:2], v1
	global_store_b128 v[35:36], v[1:4], off
	s_or_b32 exec_lo, exec_lo, s0
	s_mov_b32 s0, exec_lo
	v_cmpx_gt_u64_e64 s[2:3], v[9:10]
	s_cbranch_execz .LBB269_18
.LBB269_22:                             ;   in Loop: Header=BB269_9 Depth=1
	s_waitcnt vmcnt(0)
	v_bfe_i32 v1, v32, 0, 8
	v_add_co_u32 v9, s8, s12, v20
	s_delay_alu instid0(VALU_DEP_1) | instskip(NEXT) | instid1(VALU_DEP_3)
	v_add_co_ci_u32_e64 v10, null, s13, 0, s8
	v_bfe_i32 v1, v1, 0, 16
	v_mov_b32_e32 v4, v3
	s_delay_alu instid0(VALU_DEP_2) | instskip(SKIP_2) | instid1(SALU_CYCLE_1)
	v_cvt_f64_i32_e32 v[1:2], v1
	global_store_b128 v[9:10], v[1:4], off
	s_or_b32 exec_lo, exec_lo, s0
	s_mov_b32 s0, exec_lo
	v_cmpx_gt_u64_e64 s[2:3], v[11:12]
	s_cbranch_execz .LBB269_19
.LBB269_23:                             ;   in Loop: Header=BB269_9 Depth=1
	s_waitcnt vmcnt(0)
	v_bfe_i32 v1, v33, 0, 8
	v_add_co_u32 v9, vcc_lo, s12, v28
	v_add_co_ci_u32_e32 v10, vcc_lo, s13, v27, vcc_lo
	s_delay_alu instid0(VALU_DEP_3) | instskip(SKIP_1) | instid1(VALU_DEP_2)
	v_bfe_i32 v1, v1, 0, 16
	v_mov_b32_e32 v4, v3
	v_cvt_f64_i32_e32 v[1:2], v1
	global_store_b128 v[9:10], v[1:4], off offset:-8
	s_or_b32 exec_lo, exec_lo, s0
	s_delay_alu instid0(SALU_CYCLE_1)
	s_mov_b32 s0, exec_lo
	v_cmpx_gt_u64_e64 s[2:3], v[13:14]
	s_cbranch_execz .LBB269_8
.LBB269_24:                             ;   in Loop: Header=BB269_9 Depth=1
	s_waitcnt vmcnt(0)
	v_bfe_i32 v1, v34, 0, 8
	v_add_co_u32 v9, vcc_lo, s12, v7
	v_add_co_ci_u32_e32 v10, vcc_lo, s13, v8, vcc_lo
	s_delay_alu instid0(VALU_DEP_3) | instskip(SKIP_1) | instid1(VALU_DEP_2)
	v_bfe_i32 v1, v1, 0, 16
	v_mov_b32_e32 v4, v3
	v_cvt_f64_i32_e32 v[1:2], v1
	global_store_b128 v[9:10], v[1:4], off offset:-8
	s_branch .LBB269_8
.LBB269_25:
	s_nop 0
	s_sendmsg sendmsg(MSG_DEALLOC_VGPRS)
	s_endpgm
	.section	.rodata,"a",@progbits
	.p2align	6, 0x0
	.amdhsa_kernel _ZN2at6native12_GLOBAL__N_125multi_tensor_apply_kernelINS1_18TensorListMetadataILi2EEENS1_11CopyFunctorIN3c107complexIdEEaLi2ELi1ELi1EEEJNS0_4CopyIS8_aEEEEEvT_T0_DpT1_
		.amdhsa_group_segment_fixed_size 0
		.amdhsa_private_segment_fixed_size 0
		.amdhsa_kernarg_size 3408
		.amdhsa_user_sgpr_count 15
		.amdhsa_user_sgpr_dispatch_ptr 0
		.amdhsa_user_sgpr_queue_ptr 0
		.amdhsa_user_sgpr_kernarg_segment_ptr 1
		.amdhsa_user_sgpr_dispatch_id 0
		.amdhsa_user_sgpr_private_segment_size 0
		.amdhsa_wavefront_size32 1
		.amdhsa_uses_dynamic_stack 0
		.amdhsa_enable_private_segment 0
		.amdhsa_system_sgpr_workgroup_id_x 1
		.amdhsa_system_sgpr_workgroup_id_y 0
		.amdhsa_system_sgpr_workgroup_id_z 0
		.amdhsa_system_sgpr_workgroup_info 0
		.amdhsa_system_vgpr_workitem_id 0
		.amdhsa_next_free_vgpr 37
		.amdhsa_next_free_sgpr 22
		.amdhsa_reserve_vcc 1
		.amdhsa_float_round_mode_32 0
		.amdhsa_float_round_mode_16_64 0
		.amdhsa_float_denorm_mode_32 3
		.amdhsa_float_denorm_mode_16_64 3
		.amdhsa_dx10_clamp 1
		.amdhsa_ieee_mode 1
		.amdhsa_fp16_overflow 0
		.amdhsa_workgroup_processor_mode 1
		.amdhsa_memory_ordered 1
		.amdhsa_forward_progress 0
		.amdhsa_shared_vgpr_count 0
		.amdhsa_exception_fp_ieee_invalid_op 0
		.amdhsa_exception_fp_denorm_src 0
		.amdhsa_exception_fp_ieee_div_zero 0
		.amdhsa_exception_fp_ieee_overflow 0
		.amdhsa_exception_fp_ieee_underflow 0
		.amdhsa_exception_fp_ieee_inexact 0
		.amdhsa_exception_int_div_zero 0
	.end_amdhsa_kernel
	.section	.text._ZN2at6native12_GLOBAL__N_125multi_tensor_apply_kernelINS1_18TensorListMetadataILi2EEENS1_11CopyFunctorIN3c107complexIdEEaLi2ELi1ELi1EEEJNS0_4CopyIS8_aEEEEEvT_T0_DpT1_,"axG",@progbits,_ZN2at6native12_GLOBAL__N_125multi_tensor_apply_kernelINS1_18TensorListMetadataILi2EEENS1_11CopyFunctorIN3c107complexIdEEaLi2ELi1ELi1EEEJNS0_4CopyIS8_aEEEEEvT_T0_DpT1_,comdat
.Lfunc_end269:
	.size	_ZN2at6native12_GLOBAL__N_125multi_tensor_apply_kernelINS1_18TensorListMetadataILi2EEENS1_11CopyFunctorIN3c107complexIdEEaLi2ELi1ELi1EEEJNS0_4CopyIS8_aEEEEEvT_T0_DpT1_, .Lfunc_end269-_ZN2at6native12_GLOBAL__N_125multi_tensor_apply_kernelINS1_18TensorListMetadataILi2EEENS1_11CopyFunctorIN3c107complexIdEEaLi2ELi1ELi1EEEJNS0_4CopyIS8_aEEEEEvT_T0_DpT1_
                                        ; -- End function
	.section	.AMDGPU.csdata,"",@progbits
; Kernel info:
; codeLenInByte = 1664
; NumSgprs: 24
; NumVgprs: 37
; ScratchSize: 0
; MemoryBound: 0
; FloatMode: 240
; IeeeMode: 1
; LDSByteSize: 0 bytes/workgroup (compile time only)
; SGPRBlocks: 2
; VGPRBlocks: 4
; NumSGPRsForWavesPerEU: 24
; NumVGPRsForWavesPerEU: 37
; Occupancy: 16
; WaveLimiterHint : 0
; COMPUTE_PGM_RSRC2:SCRATCH_EN: 0
; COMPUTE_PGM_RSRC2:USER_SGPR: 15
; COMPUTE_PGM_RSRC2:TRAP_HANDLER: 0
; COMPUTE_PGM_RSRC2:TGID_X_EN: 1
; COMPUTE_PGM_RSRC2:TGID_Y_EN: 0
; COMPUTE_PGM_RSRC2:TGID_Z_EN: 0
; COMPUTE_PGM_RSRC2:TIDIG_COMP_CNT: 0
	.section	.text._ZN2at6native12_GLOBAL__N_125multi_tensor_apply_kernelINS1_18TensorListMetadataILi2EEENS1_11CopyFunctorIN3c107complexIdEElLi2ELi1ELi1EEEJNS0_4CopyIS8_lEEEEEvT_T0_DpT1_,"axG",@progbits,_ZN2at6native12_GLOBAL__N_125multi_tensor_apply_kernelINS1_18TensorListMetadataILi2EEENS1_11CopyFunctorIN3c107complexIdEElLi2ELi1ELi1EEEJNS0_4CopyIS8_lEEEEEvT_T0_DpT1_,comdat
	.globl	_ZN2at6native12_GLOBAL__N_125multi_tensor_apply_kernelINS1_18TensorListMetadataILi2EEENS1_11CopyFunctorIN3c107complexIdEElLi2ELi1ELi1EEEJNS0_4CopyIS8_lEEEEEvT_T0_DpT1_ ; -- Begin function _ZN2at6native12_GLOBAL__N_125multi_tensor_apply_kernelINS1_18TensorListMetadataILi2EEENS1_11CopyFunctorIN3c107complexIdEElLi2ELi1ELi1EEEJNS0_4CopyIS8_lEEEEEvT_T0_DpT1_
	.p2align	8
	.type	_ZN2at6native12_GLOBAL__N_125multi_tensor_apply_kernelINS1_18TensorListMetadataILi2EEENS1_11CopyFunctorIN3c107complexIdEElLi2ELi1ELi1EEEJNS0_4CopyIS8_lEEEEEvT_T0_DpT1_,@function
_ZN2at6native12_GLOBAL__N_125multi_tensor_apply_kernelINS1_18TensorListMetadataILi2EEENS1_11CopyFunctorIN3c107complexIdEElLi2ELi1ELi1EEEJNS0_4CopyIS8_lEEEEEvT_T0_DpT1_: ; @_ZN2at6native12_GLOBAL__N_125multi_tensor_apply_kernelINS1_18TensorListMetadataILi2EEENS1_11CopyFunctorIN3c107complexIdEElLi2ELi1ELi1EEEJNS0_4CopyIS8_lEEEEEvT_T0_DpT1_
; %bb.0:
	v_mov_b32_e32 v1, s15
	s_add_u32 s2, s0, s15
	s_mul_hi_u32 s3, s15, 3
	s_mul_i32 s15, s15, 3
	s_addc_u32 s4, s1, 0
	global_load_u8 v1, v1, s[0:1] offset:1536
	s_add_u32 s2, s2, s15
	s_addc_u32 s3, s4, s3
	s_mov_b32 s19, 0
	s_load_b32 s4, s[2:3], 0x740
	s_mov_b32 s23, s19
	s_waitcnt vmcnt(0)
	v_readfirstlane_b32 s5, v1
	s_delay_alu instid0(VALU_DEP_1)
	s_lshl_b32 s5, s5, 3
	s_clause 0x2
	s_load_b64 s[2:3], s[0:1], s5 offset:0x0
	s_load_b64 s[6:7], s[0:1], s5 offset:0x200
	;; [unrolled: 1-line block ×3, first 2 shown]
	s_waitcnt lgkmcnt(0)
	s_ashr_i32 s5, s4, 31
	s_delay_alu instid0(SALU_CYCLE_1)
	s_lshl_b64 s[10:11], s[4:5], 19
	s_lshl_b64 s[20:21], s[4:5], 16
	s_add_u32 s12, s2, s10
	s_addc_u32 s13, s3, s11
	s_lshl_b64 s[8:9], s[4:5], 20
	s_mov_b32 s5, s19
	s_add_u32 s14, s6, s8
	s_addc_u32 s15, s7, s9
	s_and_b32 s22, s16, 3
	s_and_b32 s4, s14, 63
	;; [unrolled: 1-line block ×3, first 2 shown]
	s_or_b64 s[4:5], s[4:5], s[22:23]
	s_delay_alu instid0(SALU_CYCLE_1)
	s_or_b64 s[18:19], s[18:19], s[4:5]
	s_sub_u32 s4, s16, s20
	s_subb_u32 s5, s17, s21
	s_cmp_eq_u64 s[18:19], 0
	s_mov_b32 s16, -1
	s_cbranch_scc0 .LBB270_5
; %bb.1:
	v_dual_mov_b32 v3, 0 :: v_dual_lshlrev_b32 v2, 2, v0
	s_mov_b32 s16, exec_lo
	s_delay_alu instid0(VALU_DEP_1)
	v_cmpx_gt_i64_e64 s[4:5], v[2:3]
	s_cbranch_execz .LBB270_4
; %bb.2:
	s_load_b32 s17, s[0:1], 0xc5c
	s_waitcnt lgkmcnt(0)
	s_and_b32 s18, s17, 0xffff
	s_delay_alu instid0(SALU_CYCLE_1) | instskip(SKIP_3) | instid1(VALU_DEP_2)
	v_add_lshl_u32 v2, v0, s18, 2
	v_dual_mov_b32 v10, v3 :: v_dual_lshlrev_b32 v1, 5, v0
	s_lshl_b32 s17, s18, 2
	s_add_u32 s2, s2, s10
	v_dual_mov_b32 v9, v2 :: v_dual_lshlrev_b32 v4, 6, v0
	s_addc_u32 s3, s3, s11
	v_add_co_u32 v1, s2, s2, v1
	s_lshl_b32 s10, s18, 5
	v_add_co_ci_u32_e64 v8, null, s3, 0, s2
	s_add_u32 s6, s6, s8
	s_addc_u32 s2, s7, s9
	v_add_co_u32 v5, s3, s6, v4
	v_add_co_u32 v7, vcc_lo, v1, 16
	v_add_co_ci_u32_e64 v6, null, s2, 0, s3
	v_add_co_ci_u32_e32 v8, vcc_lo, 0, v8, vcc_lo
	s_mov_b32 s6, 0
	s_lshl_b32 s7, s18, 6
.LBB270_3:                              ; =>This Inner Loop Header: Depth=1
	s_clause 0x1
	global_load_b128 v[11:14], v[7:8], off offset:-16
	global_load_b128 v[15:18], v[7:8], off
	v_cmp_le_i64_e32 vcc_lo, s[4:5], v[9:10]
	v_cmp_lt_u64_e64 s2, 0xffff, v[9:10]
	v_mov_b32_e32 v4, v3
	v_add_co_u32 v9, s3, v9, s17
	s_delay_alu instid0(VALU_DEP_1) | instskip(SKIP_4) | instid1(SALU_CYCLE_1)
	v_add_co_ci_u32_e64 v10, s3, 0, v10, s3
	v_add_co_u32 v7, s3, v7, s10
	s_or_b32 s2, vcc_lo, s2
	v_add_co_ci_u32_e64 v8, s3, 0, v8, s3
	s_and_b32 s2, exec_lo, s2
	s_or_b32 s6, s2, s6
	s_waitcnt vmcnt(1)
	v_cvt_f64_i32_e32 v[1:2], v12
	v_cvt_f64_i32_e32 v[19:20], v14
	s_waitcnt vmcnt(0)
	v_cvt_f64_i32_e32 v[21:22], v16
	v_cvt_f64_i32_e32 v[23:24], v18
	v_cvt_f64_u32_e32 v[11:12], v11
	v_cvt_f64_u32_e32 v[13:14], v13
	;; [unrolled: 1-line block ×4, first 2 shown]
	v_ldexp_f64 v[1:2], v[1:2], 32
	v_ldexp_f64 v[19:20], v[19:20], 32
	;; [unrolled: 1-line block ×4, first 2 shown]
	s_delay_alu instid0(VALU_DEP_4) | instskip(NEXT) | instid1(VALU_DEP_4)
	v_add_f64 v[1:2], v[1:2], v[11:12]
	v_add_f64 v[11:12], v[19:20], v[13:14]
	s_delay_alu instid0(VALU_DEP_4) | instskip(NEXT) | instid1(VALU_DEP_4)
	v_add_f64 v[15:16], v[21:22], v[15:16]
	v_add_f64 v[19:20], v[23:24], v[17:18]
	v_mov_b32_e32 v13, v3
	v_mov_b32_e32 v14, v3
	;; [unrolled: 1-line block ×6, first 2 shown]
	s_clause 0x3
	global_store_b128 v[5:6], v[1:4], off
	global_store_b128 v[5:6], v[11:14], off offset:16
	global_store_b128 v[5:6], v[15:18], off offset:32
	;; [unrolled: 1-line block ×3, first 2 shown]
	v_add_co_u32 v5, vcc_lo, v5, s7
	v_add_co_ci_u32_e32 v6, vcc_lo, 0, v6, vcc_lo
	s_and_not1_b32 exec_lo, exec_lo, s6
	s_cbranch_execnz .LBB270_3
.LBB270_4:
	s_or_b32 exec_lo, exec_lo, s16
	s_mov_b32 s16, 0
.LBB270_5:
	s_delay_alu instid0(SALU_CYCLE_1)
	s_and_not1_b32 vcc_lo, exec_lo, s16
	s_cbranch_vccnz .LBB270_25
; %bb.6:
	v_cmp_lt_i64_e64 s2, s[4:5], 1
	s_delay_alu instid0(VALU_DEP_1)
	s_and_b32 vcc_lo, exec_lo, s2
	s_cbranch_vccnz .LBB270_25
; %bb.7:
	s_load_b32 s0, s[0:1], 0xc5c
	v_cmp_gt_u64_e64 s1, 0x10000, s[4:5]
                                        ; implicit-def: $vgpr13_vgpr14
                                        ; implicit-def: $vgpr15_vgpr16
                                        ; implicit-def: $vgpr17_vgpr18
                                        ; implicit-def: $vgpr19_vgpr20
	s_waitcnt lgkmcnt(0)
	s_and_b32 s0, s0, 0xffff
	s_delay_alu instid0(VALU_DEP_1) | instskip(SKIP_4) | instid1(VALU_DEP_2)
	s_and_b32 s1, s1, exec_lo
	v_add_co_u32 v27, s8, v0, s0
	v_mov_b32_e32 v3, 0
	s_mul_i32 s7, s0, 3
	s_cselect_b32 s3, s5, 0
	v_lshlrev_b32_e32 v32, 3, v27
	s_delay_alu instid0(VALU_DEP_2) | instskip(SKIP_3) | instid1(VALU_DEP_2)
	v_dual_mov_b32 v8, v3 :: v_dual_lshlrev_b32 v7, 4, v0
	v_dual_mov_b32 v6, v3 :: v_dual_lshlrev_b32 v5, 3, v0
	s_cselect_b32 s2, s4, 0x10000
	s_lshl_b32 s1, s0, 5
	v_mad_u64_u32 v[11:12], null, s0, 48, v[7:8]
	s_delay_alu instid0(VALU_DEP_2) | instskip(SKIP_1) | instid1(VALU_DEP_1)
	v_mad_u64_u32 v[9:10], null, s0, 24, v[5:6]
	v_add_co_u32 v6, s7, s7, v0
	v_add_co_ci_u32_e64 v8, null, 0, 0, s7
	v_add_co_u32 v1, s7, s1, v7
	s_lshl_b32 s6, s0, 1
	v_add_co_ci_u32_e64 v28, null, 0, 0, s8
	s_lshl_b32 s8, s0, 4
	v_add_co_u32 v35, s6, s6, v0
	v_add_co_u32 v30, s8, s8, v5
	v_lshlrev_b32_e32 v29, 4, v27
	v_or_b32_e32 v11, 8, v11
	v_add_co_ci_u32_e64 v31, null, 0, 0, s8
	v_add_co_ci_u32_e64 v33, null, 0, 0, s7
	v_or_b32_e32 v34, 8, v1
	v_add_co_ci_u32_e64 v36, null, 0, 0, s6
	s_lshl_b32 s8, s0, 2
	s_lshl_b32 s9, s0, 6
	s_mov_b64 s[6:7], 0
	s_branch .LBB270_9
.LBB270_8:                              ;   in Loop: Header=BB270_9 Depth=1
	s_or_b32 exec_lo, exec_lo, s0
	s_add_u32 s6, s6, s8
	s_addc_u32 s7, s7, 0
	s_delay_alu instid0(SALU_CYCLE_1) | instskip(SKIP_1) | instid1(VALU_DEP_1)
	v_cmp_ge_i64_e64 s0, s[6:7], s[4:5]
	v_cmp_lt_u64_e64 s10, 0xffff, s[6:7]
	s_or_b32 s0, s0, s10
	s_add_u32 s12, s12, s1
	s_addc_u32 s13, s13, 0
	s_add_u32 s14, s14, s9
	s_addc_u32 s15, s15, 0
	s_and_b32 vcc_lo, exec_lo, s0
	s_cbranch_vccnz .LBB270_25
.LBB270_9:                              ; =>This Inner Loop Header: Depth=1
	v_add_co_u32 v1, s0, v0, s6
	s_delay_alu instid0(VALU_DEP_1) | instskip(NEXT) | instid1(VALU_DEP_1)
	v_add_co_ci_u32_e64 v2, null, 0, s7, s0
	v_cmp_gt_i64_e32 vcc_lo, s[4:5], v[1:2]
	v_cmp_gt_u64_e64 s0, 0x10000, v[1:2]
	s_delay_alu instid0(VALU_DEP_1) | instskip(NEXT) | instid1(SALU_CYCLE_1)
	s_and_b32 s10, vcc_lo, s0
	s_and_saveexec_b32 s0, s10
	s_cbranch_execz .LBB270_11
; %bb.10:                               ;   in Loop: Header=BB270_9 Depth=1
	s_waitcnt vmcnt(0)
	v_add_co_u32 v19, s10, s12, v5
	s_delay_alu instid0(VALU_DEP_1)
	v_add_co_ci_u32_e64 v20, null, s13, 0, s10
	global_load_b64 v[19:20], v[19:20], off
.LBB270_11:                             ;   in Loop: Header=BB270_9 Depth=1
	s_or_b32 exec_lo, exec_lo, s0
	v_add_co_u32 v25, vcc_lo, v27, s6
	v_add_co_ci_u32_e32 v26, vcc_lo, s7, v28, vcc_lo
	s_delay_alu instid0(VALU_DEP_1) | instskip(SKIP_1) | instid1(VALU_DEP_1)
	v_cmp_gt_i64_e32 vcc_lo, s[4:5], v[25:26]
	v_cmp_gt_u64_e64 s0, 0x10000, v[25:26]
	s_and_b32 s10, vcc_lo, s0
	s_delay_alu instid0(SALU_CYCLE_1)
	s_and_saveexec_b32 s0, s10
	s_cbranch_execz .LBB270_13
; %bb.12:                               ;   in Loop: Header=BB270_9 Depth=1
	s_waitcnt vmcnt(0)
	v_add_co_u32 v17, s10, s12, v32
	s_delay_alu instid0(VALU_DEP_1)
	v_add_co_ci_u32_e64 v18, null, s13, 0, s10
	global_load_b64 v[17:18], v[17:18], off
.LBB270_13:                             ;   in Loop: Header=BB270_9 Depth=1
	s_or_b32 exec_lo, exec_lo, s0
	v_add_co_u32 v23, vcc_lo, v35, s6
	v_add_co_ci_u32_e32 v24, vcc_lo, s7, v36, vcc_lo
	s_delay_alu instid0(VALU_DEP_1) | instskip(SKIP_1) | instid1(VALU_DEP_1)
	v_cmp_gt_i64_e32 vcc_lo, s[4:5], v[23:24]
	v_cmp_gt_u64_e64 s0, 0x10000, v[23:24]
	s_and_b32 s10, vcc_lo, s0
	s_delay_alu instid0(SALU_CYCLE_1)
	s_and_saveexec_b32 s0, s10
	s_cbranch_execz .LBB270_15
; %bb.14:                               ;   in Loop: Header=BB270_9 Depth=1
	s_waitcnt vmcnt(0)
	v_add_co_u32 v15, vcc_lo, s12, v30
	v_add_co_ci_u32_e32 v16, vcc_lo, s13, v31, vcc_lo
	global_load_b64 v[15:16], v[15:16], off
.LBB270_15:                             ;   in Loop: Header=BB270_9 Depth=1
	s_or_b32 exec_lo, exec_lo, s0
	v_add_co_u32 v21, vcc_lo, v6, s6
	v_add_co_ci_u32_e32 v22, vcc_lo, s7, v8, vcc_lo
	s_delay_alu instid0(VALU_DEP_1) | instskip(SKIP_1) | instid1(VALU_DEP_1)
	v_cmp_gt_i64_e32 vcc_lo, s[4:5], v[21:22]
	v_cmp_gt_u64_e64 s0, 0x10000, v[21:22]
	s_and_b32 s10, vcc_lo, s0
	s_delay_alu instid0(SALU_CYCLE_1)
	s_and_saveexec_b32 s0, s10
	s_cbranch_execnz .LBB270_20
; %bb.16:                               ;   in Loop: Header=BB270_9 Depth=1
	s_or_b32 exec_lo, exec_lo, s0
	s_delay_alu instid0(SALU_CYCLE_1)
	s_mov_b32 s0, exec_lo
	v_cmpx_gt_u64_e64 s[2:3], v[1:2]
	s_cbranch_execnz .LBB270_21
.LBB270_17:                             ;   in Loop: Header=BB270_9 Depth=1
	s_or_b32 exec_lo, exec_lo, s0
	s_delay_alu instid0(SALU_CYCLE_1)
	s_mov_b32 s0, exec_lo
	v_cmpx_gt_u64_e64 s[2:3], v[25:26]
	s_cbranch_execnz .LBB270_22
.LBB270_18:                             ;   in Loop: Header=BB270_9 Depth=1
	s_or_b32 exec_lo, exec_lo, s0
	s_delay_alu instid0(SALU_CYCLE_1)
	s_mov_b32 s0, exec_lo
	v_cmpx_gt_u64_e64 s[2:3], v[23:24]
	s_cbranch_execnz .LBB270_23
.LBB270_19:                             ;   in Loop: Header=BB270_9 Depth=1
	s_or_b32 exec_lo, exec_lo, s0
	s_delay_alu instid0(SALU_CYCLE_1)
	s_mov_b32 s0, exec_lo
	v_cmpx_gt_u64_e64 s[2:3], v[21:22]
	s_cbranch_execz .LBB270_8
	s_branch .LBB270_24
.LBB270_20:                             ;   in Loop: Header=BB270_9 Depth=1
	s_waitcnt vmcnt(0)
	v_add_co_u32 v13, vcc_lo, s12, v9
	v_add_co_ci_u32_e32 v14, vcc_lo, s13, v10, vcc_lo
	global_load_b64 v[13:14], v[13:14], off
	s_or_b32 exec_lo, exec_lo, s0
	s_delay_alu instid0(SALU_CYCLE_1)
	s_mov_b32 s0, exec_lo
	v_cmpx_gt_u64_e64 s[2:3], v[1:2]
	s_cbranch_execz .LBB270_17
.LBB270_21:                             ;   in Loop: Header=BB270_9 Depth=1
	s_waitcnt vmcnt(0)
	v_cvt_f64_i32_e32 v[1:2], v20
	v_cvt_f64_u32_e32 v[37:38], v19
	v_mov_b32_e32 v4, v3
	s_delay_alu instid0(VALU_DEP_3) | instskip(NEXT) | instid1(VALU_DEP_1)
	v_ldexp_f64 v[1:2], v[1:2], 32
	v_add_f64 v[1:2], v[1:2], v[37:38]
	v_add_co_u32 v37, s10, s14, v7
	s_delay_alu instid0(VALU_DEP_1) | instskip(SKIP_2) | instid1(SALU_CYCLE_1)
	v_add_co_ci_u32_e64 v38, null, s15, 0, s10
	global_store_b128 v[37:38], v[1:4], off
	s_or_b32 exec_lo, exec_lo, s0
	s_mov_b32 s0, exec_lo
	v_cmpx_gt_u64_e64 s[2:3], v[25:26]
	s_cbranch_execz .LBB270_18
.LBB270_22:                             ;   in Loop: Header=BB270_9 Depth=1
	s_waitcnt vmcnt(0)
	v_cvt_f64_i32_e32 v[1:2], v18
	v_cvt_f64_u32_e32 v[25:26], v17
	v_mov_b32_e32 v4, v3
	s_delay_alu instid0(VALU_DEP_3) | instskip(NEXT) | instid1(VALU_DEP_1)
	v_ldexp_f64 v[1:2], v[1:2], 32
	v_add_f64 v[1:2], v[1:2], v[25:26]
	v_add_co_u32 v25, s10, s14, v29
	s_delay_alu instid0(VALU_DEP_1) | instskip(SKIP_2) | instid1(SALU_CYCLE_1)
	v_add_co_ci_u32_e64 v26, null, s15, 0, s10
	global_store_b128 v[25:26], v[1:4], off
	s_or_b32 exec_lo, exec_lo, s0
	s_mov_b32 s0, exec_lo
	v_cmpx_gt_u64_e64 s[2:3], v[23:24]
	s_cbranch_execz .LBB270_19
.LBB270_23:                             ;   in Loop: Header=BB270_9 Depth=1
	s_waitcnt vmcnt(0)
	v_cvt_f64_i32_e32 v[1:2], v16
	v_cvt_f64_u32_e32 v[23:24], v15
	v_mov_b32_e32 v4, v3
	s_delay_alu instid0(VALU_DEP_3) | instskip(NEXT) | instid1(VALU_DEP_1)
	v_ldexp_f64 v[1:2], v[1:2], 32
	v_add_f64 v[1:2], v[1:2], v[23:24]
	v_add_co_u32 v23, vcc_lo, s14, v34
	v_add_co_ci_u32_e32 v24, vcc_lo, s15, v33, vcc_lo
	global_store_b128 v[23:24], v[1:4], off offset:-8
	s_or_b32 exec_lo, exec_lo, s0
	s_delay_alu instid0(SALU_CYCLE_1)
	s_mov_b32 s0, exec_lo
	v_cmpx_gt_u64_e64 s[2:3], v[21:22]
	s_cbranch_execz .LBB270_8
.LBB270_24:                             ;   in Loop: Header=BB270_9 Depth=1
	s_waitcnt vmcnt(0)
	v_cvt_f64_i32_e32 v[1:2], v14
	v_cvt_f64_u32_e32 v[21:22], v13
	v_mov_b32_e32 v4, v3
	s_delay_alu instid0(VALU_DEP_3) | instskip(NEXT) | instid1(VALU_DEP_1)
	v_ldexp_f64 v[1:2], v[1:2], 32
	v_add_f64 v[1:2], v[1:2], v[21:22]
	v_add_co_u32 v21, vcc_lo, s14, v11
	v_add_co_ci_u32_e32 v22, vcc_lo, s15, v12, vcc_lo
	global_store_b128 v[21:22], v[1:4], off offset:-8
	s_branch .LBB270_8
.LBB270_25:
	s_nop 0
	s_sendmsg sendmsg(MSG_DEALLOC_VGPRS)
	s_endpgm
	.section	.rodata,"a",@progbits
	.p2align	6, 0x0
	.amdhsa_kernel _ZN2at6native12_GLOBAL__N_125multi_tensor_apply_kernelINS1_18TensorListMetadataILi2EEENS1_11CopyFunctorIN3c107complexIdEElLi2ELi1ELi1EEEJNS0_4CopyIS8_lEEEEEvT_T0_DpT1_
		.amdhsa_group_segment_fixed_size 0
		.amdhsa_private_segment_fixed_size 0
		.amdhsa_kernarg_size 3408
		.amdhsa_user_sgpr_count 15
		.amdhsa_user_sgpr_dispatch_ptr 0
		.amdhsa_user_sgpr_queue_ptr 0
		.amdhsa_user_sgpr_kernarg_segment_ptr 1
		.amdhsa_user_sgpr_dispatch_id 0
		.amdhsa_user_sgpr_private_segment_size 0
		.amdhsa_wavefront_size32 1
		.amdhsa_uses_dynamic_stack 0
		.amdhsa_enable_private_segment 0
		.amdhsa_system_sgpr_workgroup_id_x 1
		.amdhsa_system_sgpr_workgroup_id_y 0
		.amdhsa_system_sgpr_workgroup_id_z 0
		.amdhsa_system_sgpr_workgroup_info 0
		.amdhsa_system_vgpr_workitem_id 0
		.amdhsa_next_free_vgpr 39
		.amdhsa_next_free_sgpr 24
		.amdhsa_reserve_vcc 1
		.amdhsa_float_round_mode_32 0
		.amdhsa_float_round_mode_16_64 0
		.amdhsa_float_denorm_mode_32 3
		.amdhsa_float_denorm_mode_16_64 3
		.amdhsa_dx10_clamp 1
		.amdhsa_ieee_mode 1
		.amdhsa_fp16_overflow 0
		.amdhsa_workgroup_processor_mode 1
		.amdhsa_memory_ordered 1
		.amdhsa_forward_progress 0
		.amdhsa_shared_vgpr_count 0
		.amdhsa_exception_fp_ieee_invalid_op 0
		.amdhsa_exception_fp_denorm_src 0
		.amdhsa_exception_fp_ieee_div_zero 0
		.amdhsa_exception_fp_ieee_overflow 0
		.amdhsa_exception_fp_ieee_underflow 0
		.amdhsa_exception_fp_ieee_inexact 0
		.amdhsa_exception_int_div_zero 0
	.end_amdhsa_kernel
	.section	.text._ZN2at6native12_GLOBAL__N_125multi_tensor_apply_kernelINS1_18TensorListMetadataILi2EEENS1_11CopyFunctorIN3c107complexIdEElLi2ELi1ELi1EEEJNS0_4CopyIS8_lEEEEEvT_T0_DpT1_,"axG",@progbits,_ZN2at6native12_GLOBAL__N_125multi_tensor_apply_kernelINS1_18TensorListMetadataILi2EEENS1_11CopyFunctorIN3c107complexIdEElLi2ELi1ELi1EEEJNS0_4CopyIS8_lEEEEEvT_T0_DpT1_,comdat
.Lfunc_end270:
	.size	_ZN2at6native12_GLOBAL__N_125multi_tensor_apply_kernelINS1_18TensorListMetadataILi2EEENS1_11CopyFunctorIN3c107complexIdEElLi2ELi1ELi1EEEJNS0_4CopyIS8_lEEEEEvT_T0_DpT1_, .Lfunc_end270-_ZN2at6native12_GLOBAL__N_125multi_tensor_apply_kernelINS1_18TensorListMetadataILi2EEENS1_11CopyFunctorIN3c107complexIdEElLi2ELi1ELi1EEEJNS0_4CopyIS8_lEEEEEvT_T0_DpT1_
                                        ; -- End function
	.section	.AMDGPU.csdata,"",@progbits
; Kernel info:
; codeLenInByte = 1708
; NumSgprs: 26
; NumVgprs: 39
; ScratchSize: 0
; MemoryBound: 0
; FloatMode: 240
; IeeeMode: 1
; LDSByteSize: 0 bytes/workgroup (compile time only)
; SGPRBlocks: 3
; VGPRBlocks: 4
; NumSGPRsForWavesPerEU: 26
; NumVGPRsForWavesPerEU: 39
; Occupancy: 16
; WaveLimiterHint : 0
; COMPUTE_PGM_RSRC2:SCRATCH_EN: 0
; COMPUTE_PGM_RSRC2:USER_SGPR: 15
; COMPUTE_PGM_RSRC2:TRAP_HANDLER: 0
; COMPUTE_PGM_RSRC2:TGID_X_EN: 1
; COMPUTE_PGM_RSRC2:TGID_Y_EN: 0
; COMPUTE_PGM_RSRC2:TGID_Z_EN: 0
; COMPUTE_PGM_RSRC2:TIDIG_COMP_CNT: 0
	.section	.text._ZN2at6native12_GLOBAL__N_125multi_tensor_apply_kernelINS1_18TensorListMetadataILi2EEENS1_11CopyFunctorIN3c107complexIdEEsLi2ELi1ELi1EEEJNS0_4CopyIS8_sEEEEEvT_T0_DpT1_,"axG",@progbits,_ZN2at6native12_GLOBAL__N_125multi_tensor_apply_kernelINS1_18TensorListMetadataILi2EEENS1_11CopyFunctorIN3c107complexIdEEsLi2ELi1ELi1EEEJNS0_4CopyIS8_sEEEEEvT_T0_DpT1_,comdat
	.globl	_ZN2at6native12_GLOBAL__N_125multi_tensor_apply_kernelINS1_18TensorListMetadataILi2EEENS1_11CopyFunctorIN3c107complexIdEEsLi2ELi1ELi1EEEJNS0_4CopyIS8_sEEEEEvT_T0_DpT1_ ; -- Begin function _ZN2at6native12_GLOBAL__N_125multi_tensor_apply_kernelINS1_18TensorListMetadataILi2EEENS1_11CopyFunctorIN3c107complexIdEEsLi2ELi1ELi1EEEJNS0_4CopyIS8_sEEEEEvT_T0_DpT1_
	.p2align	8
	.type	_ZN2at6native12_GLOBAL__N_125multi_tensor_apply_kernelINS1_18TensorListMetadataILi2EEENS1_11CopyFunctorIN3c107complexIdEEsLi2ELi1ELi1EEEJNS0_4CopyIS8_sEEEEEvT_T0_DpT1_,@function
_ZN2at6native12_GLOBAL__N_125multi_tensor_apply_kernelINS1_18TensorListMetadataILi2EEENS1_11CopyFunctorIN3c107complexIdEEsLi2ELi1ELi1EEEJNS0_4CopyIS8_sEEEEEvT_T0_DpT1_: ; @_ZN2at6native12_GLOBAL__N_125multi_tensor_apply_kernelINS1_18TensorListMetadataILi2EEENS1_11CopyFunctorIN3c107complexIdEEsLi2ELi1ELi1EEEJNS0_4CopyIS8_sEEEEEvT_T0_DpT1_
; %bb.0:
	v_mov_b32_e32 v1, s15
	s_add_u32 s2, s0, s15
	s_mul_hi_u32 s3, s15, 3
	s_mul_i32 s15, s15, 3
	s_addc_u32 s4, s1, 0
	global_load_u8 v1, v1, s[0:1] offset:1536
	s_add_u32 s2, s2, s15
	s_addc_u32 s3, s4, s3
	s_mov_b32 s19, 0
	s_load_b32 s4, s[2:3], 0x740
	s_mov_b32 s23, s19
	s_waitcnt vmcnt(0)
	v_readfirstlane_b32 s5, v1
	s_delay_alu instid0(VALU_DEP_1)
	s_lshl_b32 s5, s5, 3
	s_clause 0x2
	s_load_b64 s[2:3], s[0:1], s5 offset:0x0
	s_load_b64 s[6:7], s[0:1], s5 offset:0x200
	;; [unrolled: 1-line block ×3, first 2 shown]
	s_waitcnt lgkmcnt(0)
	s_ashr_i32 s5, s4, 31
	s_delay_alu instid0(SALU_CYCLE_1)
	s_lshl_b64 s[10:11], s[4:5], 17
	s_lshl_b64 s[20:21], s[4:5], 16
	s_add_u32 s12, s2, s10
	s_addc_u32 s13, s3, s11
	s_lshl_b64 s[8:9], s[4:5], 20
	s_mov_b32 s5, s19
	s_add_u32 s14, s6, s8
	s_addc_u32 s15, s7, s9
	s_and_b32 s22, s16, 3
	s_and_b32 s4, s14, 63
	;; [unrolled: 1-line block ×3, first 2 shown]
	s_or_b64 s[4:5], s[4:5], s[22:23]
	s_delay_alu instid0(SALU_CYCLE_1)
	s_or_b64 s[18:19], s[18:19], s[4:5]
	s_sub_u32 s4, s16, s20
	s_subb_u32 s5, s17, s21
	s_cmp_eq_u64 s[18:19], 0
	s_mov_b32 s16, -1
	s_cbranch_scc0 .LBB271_5
; %bb.1:
	v_dual_mov_b32 v3, 0 :: v_dual_lshlrev_b32 v2, 2, v0
	s_mov_b32 s16, exec_lo
	s_delay_alu instid0(VALU_DEP_1)
	v_cmpx_gt_i64_e64 s[4:5], v[2:3]
	s_cbranch_execz .LBB271_4
; %bb.2:
	s_load_b32 s17, s[0:1], 0xc5c
	s_waitcnt lgkmcnt(0)
	s_and_b32 s17, s17, 0xffff
	s_add_u32 s2, s2, s10
	v_add_lshl_u32 v2, v0, s17, 2
	v_dual_mov_b32 v10, v3 :: v_dual_lshlrev_b32 v1, 3, v0
	v_lshlrev_b32_e32 v4, 6, v0
	s_addc_u32 s3, s3, s11
	s_delay_alu instid0(VALU_DEP_3) | instskip(SKIP_4) | instid1(VALU_DEP_1)
	v_mov_b32_e32 v9, v2
	s_lshl_b32 s10, s17, 3
	s_lshl_b32 s11, s17, 2
	s_add_u32 s6, s6, s8
	v_add_co_u32 v5, s2, s2, v1
	v_add_co_ci_u32_e64 v6, null, s3, 0, s2
	s_addc_u32 s2, s7, s9
	v_add_co_u32 v7, s3, s6, v4
	s_delay_alu instid0(VALU_DEP_1)
	v_add_co_ci_u32_e64 v8, null, s2, 0, s3
	s_mov_b32 s6, 0
	s_lshl_b32 s7, s17, 6
	s_set_inst_prefetch_distance 0x1
	.p2align	6
.LBB271_3:                              ; =>This Inner Loop Header: Depth=1
	global_load_b64 v[1:2], v[5:6], off
	v_cmp_le_i64_e32 vcc_lo, s[4:5], v[9:10]
	v_cmp_lt_u64_e64 s2, 0xffff, v[9:10]
	v_mov_b32_e32 v17, v3
	v_mov_b32_e32 v18, v3
	v_add_co_u32 v5, s3, v5, s10
	v_mov_b32_e32 v21, v3
	v_mov_b32_e32 v22, v3
	v_add_co_ci_u32_e64 v6, s3, 0, v6, s3
	v_add_co_u32 v9, s3, v9, s11
	s_or_b32 s2, vcc_lo, s2
	v_add_co_ci_u32_e64 v10, s3, 0, v10, s3
	s_and_b32 s2, exec_lo, s2
	s_delay_alu instid0(SALU_CYCLE_1)
	s_or_b32 s6, s2, s6
	s_waitcnt vmcnt(0)
	v_bfe_i32 v4, v1, 0, 16
	v_ashrrev_i32_e32 v11, 16, v1
	v_bfe_i32 v13, v2, 0, 16
	v_ashrrev_i32_e32 v14, 16, v2
	s_delay_alu instid0(VALU_DEP_4) | instskip(NEXT) | instid1(VALU_DEP_4)
	v_cvt_f64_i32_e32 v[1:2], v4
	v_cvt_f64_i32_e32 v[11:12], v11
	s_delay_alu instid0(VALU_DEP_4) | instskip(NEXT) | instid1(VALU_DEP_4)
	v_cvt_f64_i32_e32 v[15:16], v13
	v_cvt_f64_i32_e32 v[19:20], v14
	v_mov_b32_e32 v4, v3
	v_mov_b32_e32 v13, v3
	;; [unrolled: 1-line block ×3, first 2 shown]
	s_clause 0x3
	global_store_b128 v[7:8], v[1:4], off
	global_store_b128 v[7:8], v[11:14], off offset:16
	global_store_b128 v[7:8], v[15:18], off offset:32
	;; [unrolled: 1-line block ×3, first 2 shown]
	v_add_co_u32 v7, vcc_lo, v7, s7
	v_add_co_ci_u32_e32 v8, vcc_lo, 0, v8, vcc_lo
	s_and_not1_b32 exec_lo, exec_lo, s6
	s_cbranch_execnz .LBB271_3
.LBB271_4:
	s_set_inst_prefetch_distance 0x2
	s_or_b32 exec_lo, exec_lo, s16
	s_mov_b32 s16, 0
.LBB271_5:
	s_delay_alu instid0(SALU_CYCLE_1)
	s_and_not1_b32 vcc_lo, exec_lo, s16
	s_cbranch_vccnz .LBB271_25
; %bb.6:
	v_cmp_lt_i64_e64 s2, s[4:5], 1
	s_delay_alu instid0(VALU_DEP_1)
	s_and_b32 vcc_lo, exec_lo, s2
	s_cbranch_vccnz .LBB271_25
; %bb.7:
	s_load_b32 s0, s[0:1], 0xc5c
	v_cmp_gt_u64_e64 s1, 0x10000, s[4:5]
                                        ; implicit-def: $vgpr13_vgpr14
	s_waitcnt lgkmcnt(0)
	s_and_b32 s0, s0, 0xffff
	s_delay_alu instid0(VALU_DEP_1) | instskip(SKIP_4) | instid1(VALU_DEP_2)
	s_and_b32 s1, s1, exec_lo
	v_add_co_u32 v21, s8, v0, s0
	v_mov_b32_e32 v3, 0
	s_mul_i32 s7, s0, 3
	s_cselect_b32 s3, s5, 0
	v_lshlrev_b32_e32 v26, 1, v21
	s_delay_alu instid0(VALU_DEP_2) | instskip(SKIP_3) | instid1(VALU_DEP_3)
	v_dual_mov_b32 v8, v3 :: v_dual_lshlrev_b32 v7, 4, v0
	v_dual_mov_b32 v6, v3 :: v_dual_lshlrev_b32 v5, 1, v0
	s_cselect_b32 s2, s4, 0x10000
	v_add_co_ci_u32_e64 v22, null, 0, 0, s8
	v_mad_u64_u32 v[11:12], null, s0, 48, v[7:8]
	s_delay_alu instid0(VALU_DEP_3) | instskip(SKIP_2) | instid1(VALU_DEP_1)
	v_mad_u64_u32 v[9:10], null, s0, 6, v[5:6]
	s_lshl_b32 s8, s0, 5
	v_add_co_u32 v6, s7, s7, v0
	v_add_co_ci_u32_e64 v8, null, 0, 0, s7
	v_add_co_u32 v1, s7, s8, v7
	s_lshl_b32 s6, s0, 1
	s_lshl_b32 s1, s0, 2
	v_add_co_u32 v29, s6, s6, v0
	v_add_co_u32 v24, s8, s1, v5
	v_lshlrev_b32_e32 v23, 4, v21
	v_or_b32_e32 v11, 8, v11
	v_add_co_ci_u32_e64 v25, null, 0, 0, s8
	v_add_co_ci_u32_e64 v27, null, 0, 0, s7
	v_or_b32_e32 v28, 8, v1
	v_add_co_ci_u32_e64 v30, null, 0, 0, s6
	s_lshl_b32 s8, s0, 3
	s_lshl_b32 s9, s0, 6
	s_mov_b64 s[6:7], 0
	s_branch .LBB271_9
.LBB271_8:                              ;   in Loop: Header=BB271_9 Depth=1
	s_or_b32 exec_lo, exec_lo, s0
	s_add_u32 s6, s6, s1
	s_addc_u32 s7, s7, 0
	s_delay_alu instid0(SALU_CYCLE_1) | instskip(SKIP_1) | instid1(VALU_DEP_1)
	v_cmp_ge_i64_e64 s0, s[6:7], s[4:5]
	v_cmp_lt_u64_e64 s10, 0xffff, s[6:7]
	s_or_b32 s0, s0, s10
	s_add_u32 s12, s12, s8
	s_addc_u32 s13, s13, 0
	s_add_u32 s14, s14, s9
	s_addc_u32 s15, s15, 0
	s_and_b32 vcc_lo, exec_lo, s0
	s_cbranch_vccnz .LBB271_25
.LBB271_9:                              ; =>This Inner Loop Header: Depth=1
	v_add_co_u32 v1, s0, v0, s6
	s_delay_alu instid0(VALU_DEP_1) | instskip(NEXT) | instid1(VALU_DEP_1)
	v_add_co_ci_u32_e64 v2, null, 0, s7, s0
	v_cmp_gt_i64_e32 vcc_lo, s[4:5], v[1:2]
	v_cmp_gt_u64_e64 s0, 0x10000, v[1:2]
	s_delay_alu instid0(VALU_DEP_1) | instskip(NEXT) | instid1(SALU_CYCLE_1)
	s_and_b32 s10, vcc_lo, s0
	s_and_saveexec_b32 s0, s10
	s_cbranch_execz .LBB271_11
; %bb.10:                               ;   in Loop: Header=BB271_9 Depth=1
	v_add_co_u32 v15, s10, s12, v5
	s_delay_alu instid0(VALU_DEP_1)
	v_add_co_ci_u32_e64 v16, null, s13, 0, s10
	global_load_d16_b16 v13, v[15:16], off
.LBB271_11:                             ;   in Loop: Header=BB271_9 Depth=1
	s_or_b32 exec_lo, exec_lo, s0
	v_add_co_u32 v15, vcc_lo, v21, s6
	v_add_co_ci_u32_e32 v16, vcc_lo, s7, v22, vcc_lo
	s_delay_alu instid0(VALU_DEP_1) | instskip(SKIP_1) | instid1(VALU_DEP_1)
	v_cmp_gt_i64_e32 vcc_lo, s[4:5], v[15:16]
	v_cmp_gt_u64_e64 s0, 0x10000, v[15:16]
	s_and_b32 s10, vcc_lo, s0
	s_delay_alu instid0(SALU_CYCLE_1)
	s_and_saveexec_b32 s0, s10
	s_cbranch_execz .LBB271_13
; %bb.12:                               ;   in Loop: Header=BB271_9 Depth=1
	v_add_co_u32 v17, s10, s12, v26
	s_delay_alu instid0(VALU_DEP_1)
	v_add_co_ci_u32_e64 v18, null, s13, 0, s10
	global_load_d16_hi_b16 v13, v[17:18], off
.LBB271_13:                             ;   in Loop: Header=BB271_9 Depth=1
	s_or_b32 exec_lo, exec_lo, s0
	v_add_co_u32 v17, vcc_lo, v29, s6
	v_add_co_ci_u32_e32 v18, vcc_lo, s7, v30, vcc_lo
	s_delay_alu instid0(VALU_DEP_1) | instskip(SKIP_1) | instid1(VALU_DEP_1)
	v_cmp_gt_i64_e32 vcc_lo, s[4:5], v[17:18]
	v_cmp_gt_u64_e64 s0, 0x10000, v[17:18]
	s_and_b32 s10, vcc_lo, s0
	s_delay_alu instid0(SALU_CYCLE_1)
	s_and_saveexec_b32 s0, s10
	s_cbranch_execz .LBB271_15
; %bb.14:                               ;   in Loop: Header=BB271_9 Depth=1
	v_add_co_u32 v19, vcc_lo, s12, v24
	v_add_co_ci_u32_e32 v20, vcc_lo, s13, v25, vcc_lo
	global_load_d16_b16 v14, v[19:20], off
.LBB271_15:                             ;   in Loop: Header=BB271_9 Depth=1
	s_or_b32 exec_lo, exec_lo, s0
	v_add_co_u32 v19, vcc_lo, v6, s6
	v_add_co_ci_u32_e32 v20, vcc_lo, s7, v8, vcc_lo
	s_delay_alu instid0(VALU_DEP_1) | instskip(SKIP_1) | instid1(VALU_DEP_1)
	v_cmp_gt_i64_e32 vcc_lo, s[4:5], v[19:20]
	v_cmp_gt_u64_e64 s0, 0x10000, v[19:20]
	s_and_b32 s10, vcc_lo, s0
	s_delay_alu instid0(SALU_CYCLE_1)
	s_and_saveexec_b32 s0, s10
	s_cbranch_execnz .LBB271_20
; %bb.16:                               ;   in Loop: Header=BB271_9 Depth=1
	s_or_b32 exec_lo, exec_lo, s0
	s_delay_alu instid0(SALU_CYCLE_1)
	s_mov_b32 s0, exec_lo
	v_cmpx_gt_u64_e64 s[2:3], v[1:2]
	s_cbranch_execnz .LBB271_21
.LBB271_17:                             ;   in Loop: Header=BB271_9 Depth=1
	s_or_b32 exec_lo, exec_lo, s0
	s_delay_alu instid0(SALU_CYCLE_1)
	s_mov_b32 s0, exec_lo
	v_cmpx_gt_u64_e64 s[2:3], v[15:16]
	s_cbranch_execnz .LBB271_22
.LBB271_18:                             ;   in Loop: Header=BB271_9 Depth=1
	s_or_b32 exec_lo, exec_lo, s0
	s_delay_alu instid0(SALU_CYCLE_1)
	s_mov_b32 s0, exec_lo
	v_cmpx_gt_u64_e64 s[2:3], v[17:18]
	s_cbranch_execnz .LBB271_23
.LBB271_19:                             ;   in Loop: Header=BB271_9 Depth=1
	s_or_b32 exec_lo, exec_lo, s0
	s_delay_alu instid0(SALU_CYCLE_1)
	s_mov_b32 s0, exec_lo
	v_cmpx_gt_u64_e64 s[2:3], v[19:20]
	s_cbranch_execz .LBB271_8
	s_branch .LBB271_24
.LBB271_20:                             ;   in Loop: Header=BB271_9 Depth=1
	v_add_co_u32 v31, vcc_lo, s12, v9
	v_add_co_ci_u32_e32 v32, vcc_lo, s13, v10, vcc_lo
	global_load_d16_hi_b16 v14, v[31:32], off
	s_or_b32 exec_lo, exec_lo, s0
	s_delay_alu instid0(SALU_CYCLE_1)
	s_mov_b32 s0, exec_lo
	v_cmpx_gt_u64_e64 s[2:3], v[1:2]
	s_cbranch_execz .LBB271_17
.LBB271_21:                             ;   in Loop: Header=BB271_9 Depth=1
	s_waitcnt vmcnt(0)
	v_bfe_i32 v1, v13, 0, 16
	v_add_co_u32 v31, s10, s14, v7
	s_delay_alu instid0(VALU_DEP_1) | instskip(NEXT) | instid1(VALU_DEP_3)
	v_add_co_ci_u32_e64 v32, null, s15, 0, s10
	v_cvt_f64_i32_e32 v[1:2], v1
	v_mov_b32_e32 v4, v3
	global_store_b128 v[31:32], v[1:4], off
	s_or_b32 exec_lo, exec_lo, s0
	s_delay_alu instid0(SALU_CYCLE_1)
	s_mov_b32 s0, exec_lo
	v_cmpx_gt_u64_e64 s[2:3], v[15:16]
	s_cbranch_execz .LBB271_18
.LBB271_22:                             ;   in Loop: Header=BB271_9 Depth=1
	s_waitcnt vmcnt(0)
	v_ashrrev_i32_e32 v1, 16, v13
	v_add_co_u32 v15, s10, s14, v23
	s_delay_alu instid0(VALU_DEP_1) | instskip(NEXT) | instid1(VALU_DEP_3)
	v_add_co_ci_u32_e64 v16, null, s15, 0, s10
	v_cvt_f64_i32_e32 v[1:2], v1
	v_mov_b32_e32 v4, v3
	global_store_b128 v[15:16], v[1:4], off
	s_or_b32 exec_lo, exec_lo, s0
	s_delay_alu instid0(SALU_CYCLE_1)
	s_mov_b32 s0, exec_lo
	v_cmpx_gt_u64_e64 s[2:3], v[17:18]
	s_cbranch_execz .LBB271_19
.LBB271_23:                             ;   in Loop: Header=BB271_9 Depth=1
	s_waitcnt vmcnt(0)
	v_bfe_i32 v1, v14, 0, 16
	v_add_co_u32 v15, vcc_lo, s14, v28
	v_add_co_ci_u32_e32 v16, vcc_lo, s15, v27, vcc_lo
	s_delay_alu instid0(VALU_DEP_3) | instskip(SKIP_3) | instid1(SALU_CYCLE_1)
	v_cvt_f64_i32_e32 v[1:2], v1
	v_mov_b32_e32 v4, v3
	global_store_b128 v[15:16], v[1:4], off offset:-8
	s_or_b32 exec_lo, exec_lo, s0
	s_mov_b32 s0, exec_lo
	v_cmpx_gt_u64_e64 s[2:3], v[19:20]
	s_cbranch_execz .LBB271_8
.LBB271_24:                             ;   in Loop: Header=BB271_9 Depth=1
	s_waitcnt vmcnt(0)
	v_ashrrev_i32_e32 v1, 16, v14
	v_add_co_u32 v15, vcc_lo, s14, v11
	v_add_co_ci_u32_e32 v16, vcc_lo, s15, v12, vcc_lo
	s_delay_alu instid0(VALU_DEP_3)
	v_cvt_f64_i32_e32 v[1:2], v1
	v_mov_b32_e32 v4, v3
	global_store_b128 v[15:16], v[1:4], off offset:-8
	s_branch .LBB271_8
.LBB271_25:
	s_nop 0
	s_sendmsg sendmsg(MSG_DEALLOC_VGPRS)
	s_endpgm
	.section	.rodata,"a",@progbits
	.p2align	6, 0x0
	.amdhsa_kernel _ZN2at6native12_GLOBAL__N_125multi_tensor_apply_kernelINS1_18TensorListMetadataILi2EEENS1_11CopyFunctorIN3c107complexIdEEsLi2ELi1ELi1EEEJNS0_4CopyIS8_sEEEEEvT_T0_DpT1_
		.amdhsa_group_segment_fixed_size 0
		.amdhsa_private_segment_fixed_size 0
		.amdhsa_kernarg_size 3408
		.amdhsa_user_sgpr_count 15
		.amdhsa_user_sgpr_dispatch_ptr 0
		.amdhsa_user_sgpr_queue_ptr 0
		.amdhsa_user_sgpr_kernarg_segment_ptr 1
		.amdhsa_user_sgpr_dispatch_id 0
		.amdhsa_user_sgpr_private_segment_size 0
		.amdhsa_wavefront_size32 1
		.amdhsa_uses_dynamic_stack 0
		.amdhsa_enable_private_segment 0
		.amdhsa_system_sgpr_workgroup_id_x 1
		.amdhsa_system_sgpr_workgroup_id_y 0
		.amdhsa_system_sgpr_workgroup_id_z 0
		.amdhsa_system_sgpr_workgroup_info 0
		.amdhsa_system_vgpr_workitem_id 0
		.amdhsa_next_free_vgpr 33
		.amdhsa_next_free_sgpr 24
		.amdhsa_reserve_vcc 1
		.amdhsa_float_round_mode_32 0
		.amdhsa_float_round_mode_16_64 0
		.amdhsa_float_denorm_mode_32 3
		.amdhsa_float_denorm_mode_16_64 3
		.amdhsa_dx10_clamp 1
		.amdhsa_ieee_mode 1
		.amdhsa_fp16_overflow 0
		.amdhsa_workgroup_processor_mode 1
		.amdhsa_memory_ordered 1
		.amdhsa_forward_progress 0
		.amdhsa_shared_vgpr_count 0
		.amdhsa_exception_fp_ieee_invalid_op 0
		.amdhsa_exception_fp_denorm_src 0
		.amdhsa_exception_fp_ieee_div_zero 0
		.amdhsa_exception_fp_ieee_overflow 0
		.amdhsa_exception_fp_ieee_underflow 0
		.amdhsa_exception_fp_ieee_inexact 0
		.amdhsa_exception_int_div_zero 0
	.end_amdhsa_kernel
	.section	.text._ZN2at6native12_GLOBAL__N_125multi_tensor_apply_kernelINS1_18TensorListMetadataILi2EEENS1_11CopyFunctorIN3c107complexIdEEsLi2ELi1ELi1EEEJNS0_4CopyIS8_sEEEEEvT_T0_DpT1_,"axG",@progbits,_ZN2at6native12_GLOBAL__N_125multi_tensor_apply_kernelINS1_18TensorListMetadataILi2EEENS1_11CopyFunctorIN3c107complexIdEEsLi2ELi1ELi1EEEJNS0_4CopyIS8_sEEEEEvT_T0_DpT1_,comdat
.Lfunc_end271:
	.size	_ZN2at6native12_GLOBAL__N_125multi_tensor_apply_kernelINS1_18TensorListMetadataILi2EEENS1_11CopyFunctorIN3c107complexIdEEsLi2ELi1ELi1EEEJNS0_4CopyIS8_sEEEEEvT_T0_DpT1_, .Lfunc_end271-_ZN2at6native12_GLOBAL__N_125multi_tensor_apply_kernelINS1_18TensorListMetadataILi2EEENS1_11CopyFunctorIN3c107complexIdEEsLi2ELi1ELi1EEEJNS0_4CopyIS8_sEEEEEvT_T0_DpT1_
                                        ; -- End function
	.section	.AMDGPU.csdata,"",@progbits
; Kernel info:
; codeLenInByte = 1560
; NumSgprs: 26
; NumVgprs: 33
; ScratchSize: 0
; MemoryBound: 0
; FloatMode: 240
; IeeeMode: 1
; LDSByteSize: 0 bytes/workgroup (compile time only)
; SGPRBlocks: 3
; VGPRBlocks: 4
; NumSGPRsForWavesPerEU: 26
; NumVGPRsForWavesPerEU: 33
; Occupancy: 16
; WaveLimiterHint : 0
; COMPUTE_PGM_RSRC2:SCRATCH_EN: 0
; COMPUTE_PGM_RSRC2:USER_SGPR: 15
; COMPUTE_PGM_RSRC2:TRAP_HANDLER: 0
; COMPUTE_PGM_RSRC2:TGID_X_EN: 1
; COMPUTE_PGM_RSRC2:TGID_Y_EN: 0
; COMPUTE_PGM_RSRC2:TGID_Z_EN: 0
; COMPUTE_PGM_RSRC2:TIDIG_COMP_CNT: 0
	.section	.text._ZN2at6native12_GLOBAL__N_125multi_tensor_apply_kernelINS1_18TensorListMetadataILi2EEENS1_11CopyFunctorIN3c107complexIdEEiLi2ELi1ELi1EEEJNS0_4CopyIS8_iEEEEEvT_T0_DpT1_,"axG",@progbits,_ZN2at6native12_GLOBAL__N_125multi_tensor_apply_kernelINS1_18TensorListMetadataILi2EEENS1_11CopyFunctorIN3c107complexIdEEiLi2ELi1ELi1EEEJNS0_4CopyIS8_iEEEEEvT_T0_DpT1_,comdat
	.globl	_ZN2at6native12_GLOBAL__N_125multi_tensor_apply_kernelINS1_18TensorListMetadataILi2EEENS1_11CopyFunctorIN3c107complexIdEEiLi2ELi1ELi1EEEJNS0_4CopyIS8_iEEEEEvT_T0_DpT1_ ; -- Begin function _ZN2at6native12_GLOBAL__N_125multi_tensor_apply_kernelINS1_18TensorListMetadataILi2EEENS1_11CopyFunctorIN3c107complexIdEEiLi2ELi1ELi1EEEJNS0_4CopyIS8_iEEEEEvT_T0_DpT1_
	.p2align	8
	.type	_ZN2at6native12_GLOBAL__N_125multi_tensor_apply_kernelINS1_18TensorListMetadataILi2EEENS1_11CopyFunctorIN3c107complexIdEEiLi2ELi1ELi1EEEJNS0_4CopyIS8_iEEEEEvT_T0_DpT1_,@function
_ZN2at6native12_GLOBAL__N_125multi_tensor_apply_kernelINS1_18TensorListMetadataILi2EEENS1_11CopyFunctorIN3c107complexIdEEiLi2ELi1ELi1EEEJNS0_4CopyIS8_iEEEEEvT_T0_DpT1_: ; @_ZN2at6native12_GLOBAL__N_125multi_tensor_apply_kernelINS1_18TensorListMetadataILi2EEENS1_11CopyFunctorIN3c107complexIdEEiLi2ELi1ELi1EEEJNS0_4CopyIS8_iEEEEEvT_T0_DpT1_
; %bb.0:
	v_mov_b32_e32 v1, s15
	s_add_u32 s2, s0, s15
	s_mul_hi_u32 s3, s15, 3
	s_mul_i32 s15, s15, 3
	s_addc_u32 s4, s1, 0
	global_load_u8 v1, v1, s[0:1] offset:1536
	s_add_u32 s2, s2, s15
	s_addc_u32 s3, s4, s3
	s_mov_b32 s19, 0
	s_load_b32 s4, s[2:3], 0x740
	s_mov_b32 s23, s19
	s_waitcnt vmcnt(0)
	v_readfirstlane_b32 s5, v1
	s_delay_alu instid0(VALU_DEP_1)
	s_lshl_b32 s5, s5, 3
	s_clause 0x2
	s_load_b64 s[2:3], s[0:1], s5 offset:0x0
	s_load_b64 s[6:7], s[0:1], s5 offset:0x200
	;; [unrolled: 1-line block ×3, first 2 shown]
	s_waitcnt lgkmcnt(0)
	s_ashr_i32 s5, s4, 31
	s_delay_alu instid0(SALU_CYCLE_1)
	s_lshl_b64 s[10:11], s[4:5], 18
	s_lshl_b64 s[20:21], s[4:5], 16
	s_add_u32 s12, s2, s10
	s_addc_u32 s13, s3, s11
	s_lshl_b64 s[8:9], s[4:5], 20
	s_mov_b32 s5, s19
	s_add_u32 s14, s6, s8
	s_addc_u32 s15, s7, s9
	s_and_b32 s22, s16, 3
	s_and_b32 s4, s14, 63
	;; [unrolled: 1-line block ×3, first 2 shown]
	s_or_b64 s[4:5], s[4:5], s[22:23]
	s_delay_alu instid0(SALU_CYCLE_1)
	s_or_b64 s[18:19], s[18:19], s[4:5]
	s_sub_u32 s4, s16, s20
	s_subb_u32 s5, s17, s21
	s_cmp_eq_u64 s[18:19], 0
	s_mov_b32 s16, -1
	s_cbranch_scc0 .LBB272_5
; %bb.1:
	v_dual_mov_b32 v3, 0 :: v_dual_lshlrev_b32 v2, 2, v0
	s_mov_b32 s16, exec_lo
	s_delay_alu instid0(VALU_DEP_1)
	v_cmpx_gt_i64_e64 s[4:5], v[2:3]
	s_cbranch_execz .LBB272_4
; %bb.2:
	s_load_b32 s17, s[0:1], 0xc5c
	s_waitcnt lgkmcnt(0)
	s_and_b32 s18, s17, 0xffff
	s_delay_alu instid0(SALU_CYCLE_1) | instskip(SKIP_3) | instid1(VALU_DEP_2)
	v_add_lshl_u32 v2, v0, s18, 2
	v_dual_mov_b32 v10, v3 :: v_dual_lshlrev_b32 v1, 4, v0
	s_lshl_b32 s17, s18, 2
	s_add_u32 s2, s2, s10
	v_dual_mov_b32 v9, v2 :: v_dual_lshlrev_b32 v4, 6, v0
	s_addc_u32 s3, s3, s11
	v_add_co_u32 v1, s2, s2, v1
	s_lshl_b32 s10, s18, 4
	v_add_co_ci_u32_e64 v8, null, s3, 0, s2
	s_add_u32 s6, s6, s8
	s_addc_u32 s2, s7, s9
	v_add_co_u32 v5, s3, s6, v4
	v_add_co_u32 v7, vcc_lo, v1, 8
	v_add_co_ci_u32_e64 v6, null, s2, 0, s3
	v_add_co_ci_u32_e32 v8, vcc_lo, 0, v8, vcc_lo
	s_mov_b32 s6, 0
	s_lshl_b32 s7, s18, 6
	s_set_inst_prefetch_distance 0x1
	.p2align	6
.LBB272_3:                              ; =>This Inner Loop Header: Depth=1
	global_load_b128 v[11:14], v[7:8], off offset:-8
	v_cmp_le_i64_e32 vcc_lo, s[4:5], v[9:10]
	v_cmp_lt_u64_e64 s2, 0xffff, v[9:10]
	v_mov_b32_e32 v4, v3
	v_mov_b32_e32 v17, v3
	;; [unrolled: 1-line block ×3, first 2 shown]
	v_add_co_u32 v9, s3, v9, s17
	v_mov_b32_e32 v21, v3
	v_mov_b32_e32 v22, v3
	v_add_co_ci_u32_e64 v10, s3, 0, v10, s3
	v_add_co_u32 v7, s3, v7, s10
	s_or_b32 s2, vcc_lo, s2
	v_add_co_ci_u32_e64 v8, s3, 0, v8, s3
	s_and_b32 s2, exec_lo, s2
	s_delay_alu instid0(SALU_CYCLE_1)
	s_or_b32 s6, s2, s6
	s_waitcnt vmcnt(0)
	v_cvt_f64_i32_e32 v[1:2], v11
	v_cvt_f64_i32_e32 v[11:12], v12
	;; [unrolled: 1-line block ×4, first 2 shown]
	v_mov_b32_e32 v13, v3
	v_mov_b32_e32 v14, v3
	s_clause 0x3
	global_store_b128 v[5:6], v[1:4], off
	global_store_b128 v[5:6], v[11:14], off offset:16
	global_store_b128 v[5:6], v[15:18], off offset:32
	;; [unrolled: 1-line block ×3, first 2 shown]
	v_add_co_u32 v5, vcc_lo, v5, s7
	v_add_co_ci_u32_e32 v6, vcc_lo, 0, v6, vcc_lo
	s_and_not1_b32 exec_lo, exec_lo, s6
	s_cbranch_execnz .LBB272_3
.LBB272_4:
	s_set_inst_prefetch_distance 0x2
	s_or_b32 exec_lo, exec_lo, s16
	s_mov_b32 s16, 0
.LBB272_5:
	s_delay_alu instid0(SALU_CYCLE_1)
	s_and_not1_b32 vcc_lo, exec_lo, s16
	s_cbranch_vccnz .LBB272_25
; %bb.6:
	v_cmp_lt_i64_e64 s2, s[4:5], 1
	s_delay_alu instid0(VALU_DEP_1)
	s_and_b32 vcc_lo, exec_lo, s2
	s_cbranch_vccnz .LBB272_25
; %bb.7:
	s_load_b32 s0, s[0:1], 0xc5c
	v_cmp_gt_u64_e64 s1, 0x10000, s[4:5]
                                        ; implicit-def: $vgpr29
                                        ; implicit-def: $vgpr30
                                        ; implicit-def: $vgpr31
                                        ; implicit-def: $vgpr32
	s_waitcnt lgkmcnt(0)
	s_and_b32 s0, s0, 0xffff
	s_delay_alu instid0(VALU_DEP_1) | instskip(SKIP_4) | instid1(VALU_DEP_2)
	s_and_b32 s1, s1, exec_lo
	v_add_co_u32 v19, s8, v0, s0
	v_mov_b32_e32 v3, 0
	s_mul_i32 s7, s0, 3
	s_cselect_b32 s3, s5, 0
	v_lshlrev_b32_e32 v24, 2, v19
	s_delay_alu instid0(VALU_DEP_2) | instskip(SKIP_3) | instid1(VALU_DEP_2)
	v_dual_mov_b32 v8, v3 :: v_dual_lshlrev_b32 v7, 4, v0
	v_dual_mov_b32 v6, v3 :: v_dual_lshlrev_b32 v5, 2, v0
	s_cselect_b32 s2, s4, 0x10000
	s_lshl_b32 s9, s0, 5
	v_mad_u64_u32 v[11:12], null, s0, 48, v[7:8]
	s_delay_alu instid0(VALU_DEP_2) | instskip(SKIP_1) | instid1(VALU_DEP_1)
	v_mad_u64_u32 v[9:10], null, s0, 12, v[5:6]
	v_add_co_u32 v6, s7, s7, v0
	v_add_co_ci_u32_e64 v8, null, 0, 0, s7
	v_add_co_u32 v1, s7, s9, v7
	s_lshl_b32 s6, s0, 1
	v_add_co_ci_u32_e64 v20, null, 0, 0, s8
	s_lshl_b32 s8, s0, 3
	v_add_co_u32 v27, s6, s6, v0
	v_add_co_u32 v22, s8, s8, v5
	v_lshlrev_b32_e32 v21, 4, v19
	v_or_b32_e32 v11, 8, v11
	v_add_co_ci_u32_e64 v23, null, 0, 0, s8
	v_add_co_ci_u32_e64 v25, null, 0, 0, s7
	v_or_b32_e32 v26, 8, v1
	v_add_co_ci_u32_e64 v28, null, 0, 0, s6
	s_lshl_b32 s1, s0, 2
	s_lshl_b32 s8, s0, 4
	;; [unrolled: 1-line block ×3, first 2 shown]
	s_mov_b64 s[6:7], 0
	s_branch .LBB272_9
.LBB272_8:                              ;   in Loop: Header=BB272_9 Depth=1
	s_or_b32 exec_lo, exec_lo, s0
	s_add_u32 s6, s6, s1
	s_addc_u32 s7, s7, 0
	s_delay_alu instid0(SALU_CYCLE_1) | instskip(SKIP_1) | instid1(VALU_DEP_1)
	v_cmp_ge_i64_e64 s0, s[6:7], s[4:5]
	v_cmp_lt_u64_e64 s10, 0xffff, s[6:7]
	s_or_b32 s0, s0, s10
	s_add_u32 s12, s12, s8
	s_addc_u32 s13, s13, 0
	s_add_u32 s14, s14, s9
	s_addc_u32 s15, s15, 0
	s_and_b32 vcc_lo, exec_lo, s0
	s_cbranch_vccnz .LBB272_25
.LBB272_9:                              ; =>This Inner Loop Header: Depth=1
	v_add_co_u32 v1, s0, v0, s6
	s_delay_alu instid0(VALU_DEP_1) | instskip(NEXT) | instid1(VALU_DEP_1)
	v_add_co_ci_u32_e64 v2, null, 0, s7, s0
	v_cmp_gt_i64_e32 vcc_lo, s[4:5], v[1:2]
	v_cmp_gt_u64_e64 s0, 0x10000, v[1:2]
	s_delay_alu instid0(VALU_DEP_1) | instskip(NEXT) | instid1(SALU_CYCLE_1)
	s_and_b32 s10, vcc_lo, s0
	s_and_saveexec_b32 s0, s10
	s_cbranch_execz .LBB272_11
; %bb.10:                               ;   in Loop: Header=BB272_9 Depth=1
	v_add_co_u32 v13, s10, s12, v5
	s_delay_alu instid0(VALU_DEP_1)
	v_add_co_ci_u32_e64 v14, null, s13, 0, s10
	global_load_b32 v32, v[13:14], off
.LBB272_11:                             ;   in Loop: Header=BB272_9 Depth=1
	s_or_b32 exec_lo, exec_lo, s0
	v_add_co_u32 v13, vcc_lo, v19, s6
	v_add_co_ci_u32_e32 v14, vcc_lo, s7, v20, vcc_lo
	s_delay_alu instid0(VALU_DEP_1) | instskip(SKIP_1) | instid1(VALU_DEP_1)
	v_cmp_gt_i64_e32 vcc_lo, s[4:5], v[13:14]
	v_cmp_gt_u64_e64 s0, 0x10000, v[13:14]
	s_and_b32 s10, vcc_lo, s0
	s_delay_alu instid0(SALU_CYCLE_1)
	s_and_saveexec_b32 s0, s10
	s_cbranch_execz .LBB272_13
; %bb.12:                               ;   in Loop: Header=BB272_9 Depth=1
	v_add_co_u32 v15, s10, s12, v24
	s_delay_alu instid0(VALU_DEP_1)
	v_add_co_ci_u32_e64 v16, null, s13, 0, s10
	global_load_b32 v31, v[15:16], off
.LBB272_13:                             ;   in Loop: Header=BB272_9 Depth=1
	s_or_b32 exec_lo, exec_lo, s0
	v_add_co_u32 v15, vcc_lo, v27, s6
	v_add_co_ci_u32_e32 v16, vcc_lo, s7, v28, vcc_lo
	s_delay_alu instid0(VALU_DEP_1) | instskip(SKIP_1) | instid1(VALU_DEP_1)
	v_cmp_gt_i64_e32 vcc_lo, s[4:5], v[15:16]
	v_cmp_gt_u64_e64 s0, 0x10000, v[15:16]
	s_and_b32 s10, vcc_lo, s0
	s_delay_alu instid0(SALU_CYCLE_1)
	s_and_saveexec_b32 s0, s10
	s_cbranch_execz .LBB272_15
; %bb.14:                               ;   in Loop: Header=BB272_9 Depth=1
	v_add_co_u32 v17, vcc_lo, s12, v22
	v_add_co_ci_u32_e32 v18, vcc_lo, s13, v23, vcc_lo
	global_load_b32 v30, v[17:18], off
.LBB272_15:                             ;   in Loop: Header=BB272_9 Depth=1
	s_or_b32 exec_lo, exec_lo, s0
	v_add_co_u32 v17, vcc_lo, v6, s6
	v_add_co_ci_u32_e32 v18, vcc_lo, s7, v8, vcc_lo
	s_delay_alu instid0(VALU_DEP_1) | instskip(SKIP_1) | instid1(VALU_DEP_1)
	v_cmp_gt_i64_e32 vcc_lo, s[4:5], v[17:18]
	v_cmp_gt_u64_e64 s0, 0x10000, v[17:18]
	s_and_b32 s10, vcc_lo, s0
	s_delay_alu instid0(SALU_CYCLE_1)
	s_and_saveexec_b32 s0, s10
	s_cbranch_execnz .LBB272_20
; %bb.16:                               ;   in Loop: Header=BB272_9 Depth=1
	s_or_b32 exec_lo, exec_lo, s0
	s_delay_alu instid0(SALU_CYCLE_1)
	s_mov_b32 s0, exec_lo
	v_cmpx_gt_u64_e64 s[2:3], v[1:2]
	s_cbranch_execnz .LBB272_21
.LBB272_17:                             ;   in Loop: Header=BB272_9 Depth=1
	s_or_b32 exec_lo, exec_lo, s0
	s_delay_alu instid0(SALU_CYCLE_1)
	s_mov_b32 s0, exec_lo
	v_cmpx_gt_u64_e64 s[2:3], v[13:14]
	s_cbranch_execnz .LBB272_22
.LBB272_18:                             ;   in Loop: Header=BB272_9 Depth=1
	s_or_b32 exec_lo, exec_lo, s0
	s_delay_alu instid0(SALU_CYCLE_1)
	s_mov_b32 s0, exec_lo
	v_cmpx_gt_u64_e64 s[2:3], v[15:16]
	s_cbranch_execnz .LBB272_23
.LBB272_19:                             ;   in Loop: Header=BB272_9 Depth=1
	s_or_b32 exec_lo, exec_lo, s0
	s_delay_alu instid0(SALU_CYCLE_1)
	s_mov_b32 s0, exec_lo
	v_cmpx_gt_u64_e64 s[2:3], v[17:18]
	s_cbranch_execz .LBB272_8
	s_branch .LBB272_24
.LBB272_20:                             ;   in Loop: Header=BB272_9 Depth=1
	v_add_co_u32 v33, vcc_lo, s12, v9
	v_add_co_ci_u32_e32 v34, vcc_lo, s13, v10, vcc_lo
	global_load_b32 v29, v[33:34], off
	s_or_b32 exec_lo, exec_lo, s0
	s_delay_alu instid0(SALU_CYCLE_1)
	s_mov_b32 s0, exec_lo
	v_cmpx_gt_u64_e64 s[2:3], v[1:2]
	s_cbranch_execz .LBB272_17
.LBB272_21:                             ;   in Loop: Header=BB272_9 Depth=1
	s_waitcnt vmcnt(0)
	v_cvt_f64_i32_e32 v[1:2], v32
	v_add_co_u32 v33, s10, s14, v7
	s_delay_alu instid0(VALU_DEP_1) | instskip(SKIP_3) | instid1(SALU_CYCLE_1)
	v_add_co_ci_u32_e64 v34, null, s15, 0, s10
	v_mov_b32_e32 v4, v3
	global_store_b128 v[33:34], v[1:4], off
	s_or_b32 exec_lo, exec_lo, s0
	s_mov_b32 s0, exec_lo
	v_cmpx_gt_u64_e64 s[2:3], v[13:14]
	s_cbranch_execz .LBB272_18
.LBB272_22:                             ;   in Loop: Header=BB272_9 Depth=1
	s_waitcnt vmcnt(0)
	v_cvt_f64_i32_e32 v[1:2], v31
	v_add_co_u32 v13, s10, s14, v21
	s_delay_alu instid0(VALU_DEP_1) | instskip(SKIP_3) | instid1(SALU_CYCLE_1)
	v_add_co_ci_u32_e64 v14, null, s15, 0, s10
	v_mov_b32_e32 v4, v3
	global_store_b128 v[13:14], v[1:4], off
	s_or_b32 exec_lo, exec_lo, s0
	s_mov_b32 s0, exec_lo
	v_cmpx_gt_u64_e64 s[2:3], v[15:16]
	s_cbranch_execz .LBB272_19
.LBB272_23:                             ;   in Loop: Header=BB272_9 Depth=1
	s_waitcnt vmcnt(0)
	v_cvt_f64_i32_e32 v[1:2], v30
	v_add_co_u32 v13, vcc_lo, s14, v26
	v_add_co_ci_u32_e32 v14, vcc_lo, s15, v25, vcc_lo
	v_mov_b32_e32 v4, v3
	global_store_b128 v[13:14], v[1:4], off offset:-8
	s_or_b32 exec_lo, exec_lo, s0
	s_delay_alu instid0(SALU_CYCLE_1)
	s_mov_b32 s0, exec_lo
	v_cmpx_gt_u64_e64 s[2:3], v[17:18]
	s_cbranch_execz .LBB272_8
.LBB272_24:                             ;   in Loop: Header=BB272_9 Depth=1
	s_waitcnt vmcnt(0)
	v_cvt_f64_i32_e32 v[1:2], v29
	v_add_co_u32 v13, vcc_lo, s14, v11
	v_add_co_ci_u32_e32 v14, vcc_lo, s15, v12, vcc_lo
	v_mov_b32_e32 v4, v3
	global_store_b128 v[13:14], v[1:4], off offset:-8
	s_branch .LBB272_8
.LBB272_25:
	s_nop 0
	s_sendmsg sendmsg(MSG_DEALLOC_VGPRS)
	s_endpgm
	.section	.rodata,"a",@progbits
	.p2align	6, 0x0
	.amdhsa_kernel _ZN2at6native12_GLOBAL__N_125multi_tensor_apply_kernelINS1_18TensorListMetadataILi2EEENS1_11CopyFunctorIN3c107complexIdEEiLi2ELi1ELi1EEEJNS0_4CopyIS8_iEEEEEvT_T0_DpT1_
		.amdhsa_group_segment_fixed_size 0
		.amdhsa_private_segment_fixed_size 0
		.amdhsa_kernarg_size 3408
		.amdhsa_user_sgpr_count 15
		.amdhsa_user_sgpr_dispatch_ptr 0
		.amdhsa_user_sgpr_queue_ptr 0
		.amdhsa_user_sgpr_kernarg_segment_ptr 1
		.amdhsa_user_sgpr_dispatch_id 0
		.amdhsa_user_sgpr_private_segment_size 0
		.amdhsa_wavefront_size32 1
		.amdhsa_uses_dynamic_stack 0
		.amdhsa_enable_private_segment 0
		.amdhsa_system_sgpr_workgroup_id_x 1
		.amdhsa_system_sgpr_workgroup_id_y 0
		.amdhsa_system_sgpr_workgroup_id_z 0
		.amdhsa_system_sgpr_workgroup_info 0
		.amdhsa_system_vgpr_workitem_id 0
		.amdhsa_next_free_vgpr 35
		.amdhsa_next_free_sgpr 24
		.amdhsa_reserve_vcc 1
		.amdhsa_float_round_mode_32 0
		.amdhsa_float_round_mode_16_64 0
		.amdhsa_float_denorm_mode_32 3
		.amdhsa_float_denorm_mode_16_64 3
		.amdhsa_dx10_clamp 1
		.amdhsa_ieee_mode 1
		.amdhsa_fp16_overflow 0
		.amdhsa_workgroup_processor_mode 1
		.amdhsa_memory_ordered 1
		.amdhsa_forward_progress 0
		.amdhsa_shared_vgpr_count 0
		.amdhsa_exception_fp_ieee_invalid_op 0
		.amdhsa_exception_fp_denorm_src 0
		.amdhsa_exception_fp_ieee_div_zero 0
		.amdhsa_exception_fp_ieee_overflow 0
		.amdhsa_exception_fp_ieee_underflow 0
		.amdhsa_exception_fp_ieee_inexact 0
		.amdhsa_exception_int_div_zero 0
	.end_amdhsa_kernel
	.section	.text._ZN2at6native12_GLOBAL__N_125multi_tensor_apply_kernelINS1_18TensorListMetadataILi2EEENS1_11CopyFunctorIN3c107complexIdEEiLi2ELi1ELi1EEEJNS0_4CopyIS8_iEEEEEvT_T0_DpT1_,"axG",@progbits,_ZN2at6native12_GLOBAL__N_125multi_tensor_apply_kernelINS1_18TensorListMetadataILi2EEENS1_11CopyFunctorIN3c107complexIdEEiLi2ELi1ELi1EEEJNS0_4CopyIS8_iEEEEEvT_T0_DpT1_,comdat
.Lfunc_end272:
	.size	_ZN2at6native12_GLOBAL__N_125multi_tensor_apply_kernelINS1_18TensorListMetadataILi2EEENS1_11CopyFunctorIN3c107complexIdEEiLi2ELi1ELi1EEEJNS0_4CopyIS8_iEEEEEvT_T0_DpT1_, .Lfunc_end272-_ZN2at6native12_GLOBAL__N_125multi_tensor_apply_kernelINS1_18TensorListMetadataILi2EEENS1_11CopyFunctorIN3c107complexIdEEiLi2ELi1ELi1EEEJNS0_4CopyIS8_iEEEEEvT_T0_DpT1_
                                        ; -- End function
	.section	.AMDGPU.csdata,"",@progbits
; Kernel info:
; codeLenInByte = 1504
; NumSgprs: 26
; NumVgprs: 35
; ScratchSize: 0
; MemoryBound: 0
; FloatMode: 240
; IeeeMode: 1
; LDSByteSize: 0 bytes/workgroup (compile time only)
; SGPRBlocks: 3
; VGPRBlocks: 4
; NumSGPRsForWavesPerEU: 26
; NumVGPRsForWavesPerEU: 35
; Occupancy: 16
; WaveLimiterHint : 0
; COMPUTE_PGM_RSRC2:SCRATCH_EN: 0
; COMPUTE_PGM_RSRC2:USER_SGPR: 15
; COMPUTE_PGM_RSRC2:TRAP_HANDLER: 0
; COMPUTE_PGM_RSRC2:TGID_X_EN: 1
; COMPUTE_PGM_RSRC2:TGID_Y_EN: 0
; COMPUTE_PGM_RSRC2:TGID_Z_EN: 0
; COMPUTE_PGM_RSRC2:TIDIG_COMP_CNT: 0
	.section	.text._ZN2at6native12_GLOBAL__N_125multi_tensor_apply_kernelINS1_18TensorListMetadataILi2EEENS1_11CopyFunctorIN3c107complexIdEEdLi2ELi1ELi1EEEJNS0_4CopyIS8_dEEEEEvT_T0_DpT1_,"axG",@progbits,_ZN2at6native12_GLOBAL__N_125multi_tensor_apply_kernelINS1_18TensorListMetadataILi2EEENS1_11CopyFunctorIN3c107complexIdEEdLi2ELi1ELi1EEEJNS0_4CopyIS8_dEEEEEvT_T0_DpT1_,comdat
	.globl	_ZN2at6native12_GLOBAL__N_125multi_tensor_apply_kernelINS1_18TensorListMetadataILi2EEENS1_11CopyFunctorIN3c107complexIdEEdLi2ELi1ELi1EEEJNS0_4CopyIS8_dEEEEEvT_T0_DpT1_ ; -- Begin function _ZN2at6native12_GLOBAL__N_125multi_tensor_apply_kernelINS1_18TensorListMetadataILi2EEENS1_11CopyFunctorIN3c107complexIdEEdLi2ELi1ELi1EEEJNS0_4CopyIS8_dEEEEEvT_T0_DpT1_
	.p2align	8
	.type	_ZN2at6native12_GLOBAL__N_125multi_tensor_apply_kernelINS1_18TensorListMetadataILi2EEENS1_11CopyFunctorIN3c107complexIdEEdLi2ELi1ELi1EEEJNS0_4CopyIS8_dEEEEEvT_T0_DpT1_,@function
_ZN2at6native12_GLOBAL__N_125multi_tensor_apply_kernelINS1_18TensorListMetadataILi2EEENS1_11CopyFunctorIN3c107complexIdEEdLi2ELi1ELi1EEEJNS0_4CopyIS8_dEEEEEvT_T0_DpT1_: ; @_ZN2at6native12_GLOBAL__N_125multi_tensor_apply_kernelINS1_18TensorListMetadataILi2EEENS1_11CopyFunctorIN3c107complexIdEEdLi2ELi1ELi1EEEJNS0_4CopyIS8_dEEEEEvT_T0_DpT1_
; %bb.0:
	v_mov_b32_e32 v1, s15
	s_add_u32 s2, s0, s15
	s_mul_hi_u32 s3, s15, 3
	s_mul_i32 s15, s15, 3
	s_addc_u32 s4, s1, 0
	global_load_u8 v1, v1, s[0:1] offset:1536
	s_add_u32 s2, s2, s15
	s_addc_u32 s3, s4, s3
	s_mov_b32 s19, 0
	s_load_b32 s4, s[2:3], 0x740
	s_mov_b32 s23, s19
	s_waitcnt vmcnt(0)
	v_readfirstlane_b32 s5, v1
	s_delay_alu instid0(VALU_DEP_1)
	s_lshl_b32 s5, s5, 3
	s_clause 0x2
	s_load_b64 s[2:3], s[0:1], s5 offset:0x0
	s_load_b64 s[6:7], s[0:1], s5 offset:0x200
	;; [unrolled: 1-line block ×3, first 2 shown]
	s_waitcnt lgkmcnt(0)
	s_ashr_i32 s5, s4, 31
	s_delay_alu instid0(SALU_CYCLE_1)
	s_lshl_b64 s[10:11], s[4:5], 19
	s_lshl_b64 s[20:21], s[4:5], 16
	s_add_u32 s12, s2, s10
	s_addc_u32 s13, s3, s11
	s_lshl_b64 s[8:9], s[4:5], 20
	s_mov_b32 s5, s19
	s_add_u32 s14, s6, s8
	s_addc_u32 s15, s7, s9
	s_and_b32 s22, s16, 3
	s_and_b32 s4, s14, 63
	;; [unrolled: 1-line block ×3, first 2 shown]
	s_or_b64 s[4:5], s[4:5], s[22:23]
	s_delay_alu instid0(SALU_CYCLE_1)
	s_or_b64 s[18:19], s[18:19], s[4:5]
	s_sub_u32 s4, s16, s20
	s_subb_u32 s5, s17, s21
	s_cmp_eq_u64 s[18:19], 0
	s_mov_b32 s16, -1
	s_cbranch_scc0 .LBB273_5
; %bb.1:
	v_dual_mov_b32 v3, 0 :: v_dual_lshlrev_b32 v2, 2, v0
	s_mov_b32 s16, exec_lo
	s_delay_alu instid0(VALU_DEP_1)
	v_cmpx_gt_i64_e64 s[4:5], v[2:3]
	s_cbranch_execz .LBB273_4
; %bb.2:
	s_load_b32 s17, s[0:1], 0xc5c
	s_waitcnt lgkmcnt(0)
	s_and_b32 s18, s17, 0xffff
	s_delay_alu instid0(SALU_CYCLE_1) | instskip(SKIP_3) | instid1(VALU_DEP_2)
	v_add_lshl_u32 v2, v0, s18, 2
	v_dual_mov_b32 v10, v3 :: v_dual_lshlrev_b32 v1, 5, v0
	s_lshl_b32 s17, s18, 2
	s_add_u32 s2, s2, s10
	v_dual_mov_b32 v9, v2 :: v_dual_lshlrev_b32 v4, 6, v0
	s_addc_u32 s3, s3, s11
	v_add_co_u32 v1, s2, s2, v1
	s_lshl_b32 s10, s18, 5
	v_add_co_ci_u32_e64 v8, null, s3, 0, s2
	s_add_u32 s6, s6, s8
	s_addc_u32 s2, s7, s9
	v_add_co_u32 v5, s3, s6, v4
	v_add_co_u32 v7, vcc_lo, v1, 16
	v_add_co_ci_u32_e64 v6, null, s2, 0, s3
	v_add_co_ci_u32_e32 v8, vcc_lo, 0, v8, vcc_lo
	s_mov_b32 s6, 0
	s_lshl_b32 s7, s18, 6
	s_set_inst_prefetch_distance 0x1
	.p2align	6
.LBB273_3:                              ; =>This Inner Loop Header: Depth=1
	s_clause 0x1
	global_load_b128 v[11:14], v[7:8], off offset:-16
	global_load_b128 v[15:18], v[7:8], off
	v_mov_b32_e32 v4, v3
	v_cmp_le_i64_e32 vcc_lo, s[4:5], v[9:10]
	v_cmp_lt_u64_e64 s2, 0xffff, v[9:10]
	v_add_co_u32 v9, s3, v9, s17
	s_delay_alu instid0(VALU_DEP_1) | instskip(SKIP_1) | instid1(VALU_DEP_4)
	v_add_co_ci_u32_e64 v10, s3, 0, v10, s3
	v_add_co_u32 v7, s3, v7, s10
	s_or_b32 s2, vcc_lo, s2
	v_add_co_ci_u32_e64 v8, s3, 0, v8, s3
	s_and_b32 s2, exec_lo, s2
	s_delay_alu instid0(SALU_CYCLE_1)
	s_or_b32 s6, s2, s6
	s_waitcnt vmcnt(1)
	v_dual_mov_b32 v1, v11 :: v_dual_mov_b32 v2, v12
	global_store_b128 v[5:6], v[1:4], off
	v_dual_mov_b32 v1, v13 :: v_dual_mov_b32 v2, v14
	global_store_b128 v[5:6], v[1:4], off offset:16
	s_waitcnt vmcnt(0)
	v_dual_mov_b32 v1, v15 :: v_dual_mov_b32 v2, v16
	global_store_b128 v[5:6], v[1:4], off offset:32
	v_dual_mov_b32 v1, v17 :: v_dual_mov_b32 v2, v18
	global_store_b128 v[5:6], v[1:4], off offset:48
	v_add_co_u32 v5, vcc_lo, v5, s7
	v_add_co_ci_u32_e32 v6, vcc_lo, 0, v6, vcc_lo
	s_and_not1_b32 exec_lo, exec_lo, s6
	s_cbranch_execnz .LBB273_3
.LBB273_4:
	s_set_inst_prefetch_distance 0x2
	s_or_b32 exec_lo, exec_lo, s16
	s_mov_b32 s16, 0
.LBB273_5:
	s_delay_alu instid0(SALU_CYCLE_1)
	s_and_not1_b32 vcc_lo, exec_lo, s16
	s_cbranch_vccnz .LBB273_25
; %bb.6:
	v_cmp_lt_i64_e64 s2, s[4:5], 1
	s_delay_alu instid0(VALU_DEP_1)
	s_and_b32 vcc_lo, exec_lo, s2
	s_cbranch_vccnz .LBB273_25
; %bb.7:
	s_load_b32 s0, s[0:1], 0xc5c
	v_cmp_gt_u64_e64 s1, 0x10000, s[4:5]
                                        ; implicit-def: $vgpr5_vgpr6
                                        ; implicit-def: $vgpr9_vgpr10
                                        ; implicit-def: $vgpr13_vgpr14
	s_waitcnt lgkmcnt(0)
	s_and_b32 s0, s0, 0xffff
	s_delay_alu instid0(VALU_DEP_1) | instskip(SKIP_4) | instid1(VALU_DEP_2)
	s_and_b32 s1, s1, exec_lo
	v_add_co_u32 v29, s8, v0, s0
	v_mov_b32_e32 v3, 0
	s_mul_i32 s7, s0, 3
	s_cselect_b32 s3, s5, 0
	v_lshlrev_b32_e32 v34, 3, v29
	s_delay_alu instid0(VALU_DEP_2) | instskip(SKIP_3) | instid1(VALU_DEP_2)
	v_dual_mov_b32 v20, v3 :: v_dual_lshlrev_b32 v19, 4, v0
	v_dual_mov_b32 v18, v3 :: v_dual_lshlrev_b32 v17, 3, v0
	s_cselect_b32 s2, s4, 0x10000
	s_lshl_b32 s1, s0, 5
	v_mad_u64_u32 v[23:24], null, s0, 48, v[19:20]
	s_delay_alu instid0(VALU_DEP_2) | instskip(SKIP_1) | instid1(VALU_DEP_1)
	v_mad_u64_u32 v[21:22], null, s0, 24, v[17:18]
	v_add_co_u32 v18, s7, s7, v0
	v_add_co_ci_u32_e64 v20, null, 0, 0, s7
	v_add_co_u32 v1, s7, s1, v19
	s_lshl_b32 s6, s0, 1
	v_add_co_ci_u32_e64 v30, null, 0, 0, s8
	s_lshl_b32 s8, s0, 4
	v_add_co_u32 v37, s6, s6, v0
	v_add_co_u32 v32, s8, s8, v17
	v_lshlrev_b32_e32 v31, 4, v29
	v_or_b32_e32 v23, 8, v23
	v_add_co_ci_u32_e64 v33, null, 0, 0, s8
	v_add_co_ci_u32_e64 v35, null, 0, 0, s7
	v_or_b32_e32 v36, 8, v1
	v_add_co_ci_u32_e64 v38, null, 0, 0, s6
	s_lshl_b32 s8, s0, 2
	s_lshl_b32 s9, s0, 6
	s_mov_b64 s[6:7], 0
	s_branch .LBB273_9
.LBB273_8:                              ;   in Loop: Header=BB273_9 Depth=1
	s_or_b32 exec_lo, exec_lo, s0
	s_add_u32 s6, s6, s8
	s_addc_u32 s7, s7, 0
	s_delay_alu instid0(SALU_CYCLE_1) | instskip(SKIP_1) | instid1(VALU_DEP_1)
	v_cmp_ge_i64_e64 s0, s[6:7], s[4:5]
	v_cmp_lt_u64_e64 s10, 0xffff, s[6:7]
	s_or_b32 s0, s0, s10
	s_add_u32 s12, s12, s1
	s_addc_u32 s13, s13, 0
	s_add_u32 s14, s14, s9
	s_addc_u32 s15, s15, 0
	s_and_b32 vcc_lo, exec_lo, s0
	s_cbranch_vccnz .LBB273_25
.LBB273_9:                              ; =>This Inner Loop Header: Depth=1
	v_add_co_u32 v7, s0, v0, s6
	s_delay_alu instid0(VALU_DEP_1) | instskip(NEXT) | instid1(VALU_DEP_1)
	v_add_co_ci_u32_e64 v8, null, 0, s7, s0
	v_cmp_gt_i64_e32 vcc_lo, s[4:5], v[7:8]
	v_cmp_gt_u64_e64 s0, 0x10000, v[7:8]
	s_delay_alu instid0(VALU_DEP_1) | instskip(NEXT) | instid1(SALU_CYCLE_1)
	s_and_b32 s10, vcc_lo, s0
	s_and_saveexec_b32 s0, s10
	s_cbranch_execz .LBB273_11
; %bb.10:                               ;   in Loop: Header=BB273_9 Depth=1
	s_waitcnt vmcnt(0)
	v_add_co_u32 v1, s10, s12, v17
	s_delay_alu instid0(VALU_DEP_1)
	v_add_co_ci_u32_e64 v2, null, s13, 0, s10
	global_load_b64 v[1:2], v[1:2], off
.LBB273_11:                             ;   in Loop: Header=BB273_9 Depth=1
	s_or_b32 exec_lo, exec_lo, s0
	v_add_co_u32 v11, vcc_lo, v29, s6
	v_add_co_ci_u32_e32 v12, vcc_lo, s7, v30, vcc_lo
	s_delay_alu instid0(VALU_DEP_1) | instskip(SKIP_1) | instid1(VALU_DEP_1)
	v_cmp_gt_i64_e32 vcc_lo, s[4:5], v[11:12]
	v_cmp_gt_u64_e64 s0, 0x10000, v[11:12]
	s_and_b32 s10, vcc_lo, s0
	s_delay_alu instid0(SALU_CYCLE_1)
	s_and_saveexec_b32 s0, s10
	s_cbranch_execz .LBB273_13
; %bb.12:                               ;   in Loop: Header=BB273_9 Depth=1
	s_waitcnt vmcnt(0)
	v_add_co_u32 v13, s10, s12, v34
	s_delay_alu instid0(VALU_DEP_1)
	v_add_co_ci_u32_e64 v14, null, s13, 0, s10
	global_load_b64 v[13:14], v[13:14], off
.LBB273_13:                             ;   in Loop: Header=BB273_9 Depth=1
	s_or_b32 exec_lo, exec_lo, s0
	v_add_co_u32 v25, vcc_lo, v37, s6
	v_add_co_ci_u32_e32 v26, vcc_lo, s7, v38, vcc_lo
	s_delay_alu instid0(VALU_DEP_1) | instskip(SKIP_1) | instid1(VALU_DEP_1)
	v_cmp_gt_i64_e32 vcc_lo, s[4:5], v[25:26]
	v_cmp_gt_u64_e64 s0, 0x10000, v[25:26]
	s_and_b32 s10, vcc_lo, s0
	s_delay_alu instid0(SALU_CYCLE_1)
	s_and_saveexec_b32 s0, s10
	s_cbranch_execz .LBB273_15
; %bb.14:                               ;   in Loop: Header=BB273_9 Depth=1
	s_waitcnt vmcnt(0)
	v_add_co_u32 v9, vcc_lo, s12, v32
	v_add_co_ci_u32_e32 v10, vcc_lo, s13, v33, vcc_lo
	global_load_b64 v[9:10], v[9:10], off
.LBB273_15:                             ;   in Loop: Header=BB273_9 Depth=1
	s_or_b32 exec_lo, exec_lo, s0
	v_add_co_u32 v27, vcc_lo, v18, s6
	v_add_co_ci_u32_e32 v28, vcc_lo, s7, v20, vcc_lo
	s_delay_alu instid0(VALU_DEP_1) | instskip(SKIP_1) | instid1(VALU_DEP_1)
	v_cmp_gt_i64_e32 vcc_lo, s[4:5], v[27:28]
	v_cmp_gt_u64_e64 s0, 0x10000, v[27:28]
	s_and_b32 s10, vcc_lo, s0
	s_delay_alu instid0(SALU_CYCLE_1)
	s_and_saveexec_b32 s0, s10
	s_cbranch_execnz .LBB273_20
; %bb.16:                               ;   in Loop: Header=BB273_9 Depth=1
	s_or_b32 exec_lo, exec_lo, s0
	s_delay_alu instid0(SALU_CYCLE_1)
	s_mov_b32 s0, exec_lo
	v_cmpx_gt_u64_e64 s[2:3], v[7:8]
	s_cbranch_execnz .LBB273_21
.LBB273_17:                             ;   in Loop: Header=BB273_9 Depth=1
	s_or_b32 exec_lo, exec_lo, s0
	s_delay_alu instid0(SALU_CYCLE_1)
	s_mov_b32 s0, exec_lo
	v_cmpx_gt_u64_e64 s[2:3], v[11:12]
	s_cbranch_execnz .LBB273_22
.LBB273_18:                             ;   in Loop: Header=BB273_9 Depth=1
	s_or_b32 exec_lo, exec_lo, s0
	s_delay_alu instid0(SALU_CYCLE_1)
	s_mov_b32 s0, exec_lo
	v_cmpx_gt_u64_e64 s[2:3], v[25:26]
	s_cbranch_execnz .LBB273_23
.LBB273_19:                             ;   in Loop: Header=BB273_9 Depth=1
	s_or_b32 exec_lo, exec_lo, s0
	s_delay_alu instid0(SALU_CYCLE_1)
	s_mov_b32 s0, exec_lo
	v_cmpx_gt_u64_e64 s[2:3], v[27:28]
	s_cbranch_execz .LBB273_8
	s_branch .LBB273_24
.LBB273_20:                             ;   in Loop: Header=BB273_9 Depth=1
	v_add_co_u32 v4, vcc_lo, s12, v21
	s_waitcnt vmcnt(0)
	v_add_co_ci_u32_e32 v5, vcc_lo, s13, v22, vcc_lo
	global_load_b64 v[5:6], v[4:5], off
	s_or_b32 exec_lo, exec_lo, s0
	s_delay_alu instid0(SALU_CYCLE_1)
	s_mov_b32 s0, exec_lo
	v_cmpx_gt_u64_e64 s[2:3], v[7:8]
	s_cbranch_execz .LBB273_17
.LBB273_21:                             ;   in Loop: Header=BB273_9 Depth=1
	v_add_co_u32 v7, s10, s14, v19
	s_delay_alu instid0(VALU_DEP_1) | instskip(SKIP_4) | instid1(SALU_CYCLE_1)
	v_add_co_ci_u32_e64 v8, null, s15, 0, s10
	v_mov_b32_e32 v4, v3
	s_waitcnt vmcnt(0)
	global_store_b128 v[7:8], v[1:4], off
	s_or_b32 exec_lo, exec_lo, s0
	s_mov_b32 s0, exec_lo
	v_cmpx_gt_u64_e64 s[2:3], v[11:12]
	s_cbranch_execz .LBB273_18
.LBB273_22:                             ;   in Loop: Header=BB273_9 Depth=1
	v_add_co_u32 v7, s10, s14, v31
	s_delay_alu instid0(VALU_DEP_1)
	v_add_co_ci_u32_e64 v8, null, s15, 0, s10
	v_mov_b32_e32 v15, v3
	v_mov_b32_e32 v16, v3
	s_waitcnt vmcnt(0)
	global_store_b128 v[7:8], v[13:16], off
	s_or_b32 exec_lo, exec_lo, s0
	s_delay_alu instid0(SALU_CYCLE_1)
	s_mov_b32 s0, exec_lo
	v_cmpx_gt_u64_e64 s[2:3], v[25:26]
	s_cbranch_execz .LBB273_19
.LBB273_23:                             ;   in Loop: Header=BB273_9 Depth=1
	v_add_co_u32 v7, vcc_lo, s14, v36
	v_add_co_ci_u32_e32 v8, vcc_lo, s15, v35, vcc_lo
	v_mov_b32_e32 v11, v3
	v_mov_b32_e32 v12, v3
	s_waitcnt vmcnt(0)
	global_store_b128 v[7:8], v[9:12], off offset:-8
	s_or_b32 exec_lo, exec_lo, s0
	s_delay_alu instid0(SALU_CYCLE_1)
	s_mov_b32 s0, exec_lo
	v_cmpx_gt_u64_e64 s[2:3], v[27:28]
	s_cbranch_execz .LBB273_8
.LBB273_24:                             ;   in Loop: Header=BB273_9 Depth=1
	v_add_co_u32 v11, vcc_lo, s14, v23
	v_add_co_ci_u32_e32 v12, vcc_lo, s15, v24, vcc_lo
	v_mov_b32_e32 v7, v3
	v_mov_b32_e32 v8, v3
	s_waitcnt vmcnt(0)
	global_store_b128 v[11:12], v[5:8], off offset:-8
	s_branch .LBB273_8
.LBB273_25:
	s_nop 0
	s_sendmsg sendmsg(MSG_DEALLOC_VGPRS)
	s_endpgm
	.section	.rodata,"a",@progbits
	.p2align	6, 0x0
	.amdhsa_kernel _ZN2at6native12_GLOBAL__N_125multi_tensor_apply_kernelINS1_18TensorListMetadataILi2EEENS1_11CopyFunctorIN3c107complexIdEEdLi2ELi1ELi1EEEJNS0_4CopyIS8_dEEEEEvT_T0_DpT1_
		.amdhsa_group_segment_fixed_size 0
		.amdhsa_private_segment_fixed_size 0
		.amdhsa_kernarg_size 3408
		.amdhsa_user_sgpr_count 15
		.amdhsa_user_sgpr_dispatch_ptr 0
		.amdhsa_user_sgpr_queue_ptr 0
		.amdhsa_user_sgpr_kernarg_segment_ptr 1
		.amdhsa_user_sgpr_dispatch_id 0
		.amdhsa_user_sgpr_private_segment_size 0
		.amdhsa_wavefront_size32 1
		.amdhsa_uses_dynamic_stack 0
		.amdhsa_enable_private_segment 0
		.amdhsa_system_sgpr_workgroup_id_x 1
		.amdhsa_system_sgpr_workgroup_id_y 0
		.amdhsa_system_sgpr_workgroup_id_z 0
		.amdhsa_system_sgpr_workgroup_info 0
		.amdhsa_system_vgpr_workitem_id 0
		.amdhsa_next_free_vgpr 39
		.amdhsa_next_free_sgpr 24
		.amdhsa_reserve_vcc 1
		.amdhsa_float_round_mode_32 0
		.amdhsa_float_round_mode_16_64 0
		.amdhsa_float_denorm_mode_32 3
		.amdhsa_float_denorm_mode_16_64 3
		.amdhsa_dx10_clamp 1
		.amdhsa_ieee_mode 1
		.amdhsa_fp16_overflow 0
		.amdhsa_workgroup_processor_mode 1
		.amdhsa_memory_ordered 1
		.amdhsa_forward_progress 0
		.amdhsa_shared_vgpr_count 0
		.amdhsa_exception_fp_ieee_invalid_op 0
		.amdhsa_exception_fp_denorm_src 0
		.amdhsa_exception_fp_ieee_div_zero 0
		.amdhsa_exception_fp_ieee_overflow 0
		.amdhsa_exception_fp_ieee_underflow 0
		.amdhsa_exception_fp_ieee_inexact 0
		.amdhsa_exception_int_div_zero 0
	.end_amdhsa_kernel
	.section	.text._ZN2at6native12_GLOBAL__N_125multi_tensor_apply_kernelINS1_18TensorListMetadataILi2EEENS1_11CopyFunctorIN3c107complexIdEEdLi2ELi1ELi1EEEJNS0_4CopyIS8_dEEEEEvT_T0_DpT1_,"axG",@progbits,_ZN2at6native12_GLOBAL__N_125multi_tensor_apply_kernelINS1_18TensorListMetadataILi2EEENS1_11CopyFunctorIN3c107complexIdEEdLi2ELi1ELi1EEEJNS0_4CopyIS8_dEEEEEvT_T0_DpT1_,comdat
.Lfunc_end273:
	.size	_ZN2at6native12_GLOBAL__N_125multi_tensor_apply_kernelINS1_18TensorListMetadataILi2EEENS1_11CopyFunctorIN3c107complexIdEEdLi2ELi1ELi1EEEJNS0_4CopyIS8_dEEEEEvT_T0_DpT1_, .Lfunc_end273-_ZN2at6native12_GLOBAL__N_125multi_tensor_apply_kernelINS1_18TensorListMetadataILi2EEENS1_11CopyFunctorIN3c107complexIdEEdLi2ELi1ELi1EEEJNS0_4CopyIS8_dEEEEEvT_T0_DpT1_
                                        ; -- End function
	.section	.AMDGPU.csdata,"",@progbits
; Kernel info:
; codeLenInByte = 1524
; NumSgprs: 26
; NumVgprs: 39
; ScratchSize: 0
; MemoryBound: 0
; FloatMode: 240
; IeeeMode: 1
; LDSByteSize: 0 bytes/workgroup (compile time only)
; SGPRBlocks: 3
; VGPRBlocks: 4
; NumSGPRsForWavesPerEU: 26
; NumVGPRsForWavesPerEU: 39
; Occupancy: 16
; WaveLimiterHint : 0
; COMPUTE_PGM_RSRC2:SCRATCH_EN: 0
; COMPUTE_PGM_RSRC2:USER_SGPR: 15
; COMPUTE_PGM_RSRC2:TRAP_HANDLER: 0
; COMPUTE_PGM_RSRC2:TGID_X_EN: 1
; COMPUTE_PGM_RSRC2:TGID_Y_EN: 0
; COMPUTE_PGM_RSRC2:TGID_Z_EN: 0
; COMPUTE_PGM_RSRC2:TIDIG_COMP_CNT: 0
	.section	.text._ZN2at6native12_GLOBAL__N_125multi_tensor_apply_kernelINS1_18TensorListMetadataILi2EEENS1_11CopyFunctorIN3c107complexIdEEfLi2ELi1ELi1EEEJNS0_4CopyIS8_fEEEEEvT_T0_DpT1_,"axG",@progbits,_ZN2at6native12_GLOBAL__N_125multi_tensor_apply_kernelINS1_18TensorListMetadataILi2EEENS1_11CopyFunctorIN3c107complexIdEEfLi2ELi1ELi1EEEJNS0_4CopyIS8_fEEEEEvT_T0_DpT1_,comdat
	.globl	_ZN2at6native12_GLOBAL__N_125multi_tensor_apply_kernelINS1_18TensorListMetadataILi2EEENS1_11CopyFunctorIN3c107complexIdEEfLi2ELi1ELi1EEEJNS0_4CopyIS8_fEEEEEvT_T0_DpT1_ ; -- Begin function _ZN2at6native12_GLOBAL__N_125multi_tensor_apply_kernelINS1_18TensorListMetadataILi2EEENS1_11CopyFunctorIN3c107complexIdEEfLi2ELi1ELi1EEEJNS0_4CopyIS8_fEEEEEvT_T0_DpT1_
	.p2align	8
	.type	_ZN2at6native12_GLOBAL__N_125multi_tensor_apply_kernelINS1_18TensorListMetadataILi2EEENS1_11CopyFunctorIN3c107complexIdEEfLi2ELi1ELi1EEEJNS0_4CopyIS8_fEEEEEvT_T0_DpT1_,@function
_ZN2at6native12_GLOBAL__N_125multi_tensor_apply_kernelINS1_18TensorListMetadataILi2EEENS1_11CopyFunctorIN3c107complexIdEEfLi2ELi1ELi1EEEJNS0_4CopyIS8_fEEEEEvT_T0_DpT1_: ; @_ZN2at6native12_GLOBAL__N_125multi_tensor_apply_kernelINS1_18TensorListMetadataILi2EEENS1_11CopyFunctorIN3c107complexIdEEfLi2ELi1ELi1EEEJNS0_4CopyIS8_fEEEEEvT_T0_DpT1_
; %bb.0:
	v_mov_b32_e32 v1, s15
	s_add_u32 s2, s0, s15
	s_mul_hi_u32 s3, s15, 3
	s_mul_i32 s15, s15, 3
	s_addc_u32 s4, s1, 0
	global_load_u8 v1, v1, s[0:1] offset:1536
	s_add_u32 s2, s2, s15
	s_addc_u32 s3, s4, s3
	s_mov_b32 s19, 0
	s_load_b32 s4, s[2:3], 0x740
	s_mov_b32 s23, s19
	s_waitcnt vmcnt(0)
	v_readfirstlane_b32 s5, v1
	s_delay_alu instid0(VALU_DEP_1)
	s_lshl_b32 s5, s5, 3
	s_clause 0x2
	s_load_b64 s[2:3], s[0:1], s5 offset:0x0
	s_load_b64 s[6:7], s[0:1], s5 offset:0x200
	;; [unrolled: 1-line block ×3, first 2 shown]
	s_waitcnt lgkmcnt(0)
	s_ashr_i32 s5, s4, 31
	s_delay_alu instid0(SALU_CYCLE_1)
	s_lshl_b64 s[10:11], s[4:5], 18
	s_lshl_b64 s[20:21], s[4:5], 16
	s_add_u32 s12, s2, s10
	s_addc_u32 s13, s3, s11
	s_lshl_b64 s[8:9], s[4:5], 20
	s_mov_b32 s5, s19
	s_add_u32 s14, s6, s8
	s_addc_u32 s15, s7, s9
	s_and_b32 s22, s16, 3
	s_and_b32 s4, s14, 63
	;; [unrolled: 1-line block ×3, first 2 shown]
	s_or_b64 s[4:5], s[4:5], s[22:23]
	s_delay_alu instid0(SALU_CYCLE_1)
	s_or_b64 s[18:19], s[18:19], s[4:5]
	s_sub_u32 s4, s16, s20
	s_subb_u32 s5, s17, s21
	s_cmp_eq_u64 s[18:19], 0
	s_mov_b32 s16, -1
	s_cbranch_scc0 .LBB274_5
; %bb.1:
	v_dual_mov_b32 v3, 0 :: v_dual_lshlrev_b32 v2, 2, v0
	s_mov_b32 s16, exec_lo
	s_delay_alu instid0(VALU_DEP_1)
	v_cmpx_gt_i64_e64 s[4:5], v[2:3]
	s_cbranch_execz .LBB274_4
; %bb.2:
	s_load_b32 s17, s[0:1], 0xc5c
	s_waitcnt lgkmcnt(0)
	s_and_b32 s18, s17, 0xffff
	s_delay_alu instid0(SALU_CYCLE_1) | instskip(SKIP_3) | instid1(VALU_DEP_2)
	v_add_lshl_u32 v2, v0, s18, 2
	v_dual_mov_b32 v10, v3 :: v_dual_lshlrev_b32 v1, 4, v0
	s_lshl_b32 s17, s18, 2
	s_add_u32 s2, s2, s10
	v_dual_mov_b32 v9, v2 :: v_dual_lshlrev_b32 v4, 6, v0
	s_addc_u32 s3, s3, s11
	v_add_co_u32 v1, s2, s2, v1
	s_lshl_b32 s10, s18, 4
	v_add_co_ci_u32_e64 v8, null, s3, 0, s2
	s_add_u32 s6, s6, s8
	s_addc_u32 s2, s7, s9
	v_add_co_u32 v5, s3, s6, v4
	v_add_co_u32 v7, vcc_lo, v1, 8
	v_add_co_ci_u32_e64 v6, null, s2, 0, s3
	v_add_co_ci_u32_e32 v8, vcc_lo, 0, v8, vcc_lo
	s_mov_b32 s6, 0
	s_lshl_b32 s7, s18, 6
	s_set_inst_prefetch_distance 0x1
	.p2align	6
.LBB274_3:                              ; =>This Inner Loop Header: Depth=1
	global_load_b128 v[11:14], v[7:8], off offset:-8
	v_cmp_le_i64_e32 vcc_lo, s[4:5], v[9:10]
	v_cmp_lt_u64_e64 s2, 0xffff, v[9:10]
	v_mov_b32_e32 v4, v3
	v_mov_b32_e32 v17, v3
	;; [unrolled: 1-line block ×3, first 2 shown]
	v_add_co_u32 v9, s3, v9, s17
	v_mov_b32_e32 v21, v3
	v_mov_b32_e32 v22, v3
	v_add_co_ci_u32_e64 v10, s3, 0, v10, s3
	v_add_co_u32 v7, s3, v7, s10
	s_or_b32 s2, vcc_lo, s2
	v_add_co_ci_u32_e64 v8, s3, 0, v8, s3
	s_and_b32 s2, exec_lo, s2
	s_delay_alu instid0(SALU_CYCLE_1)
	s_or_b32 s6, s2, s6
	s_waitcnt vmcnt(0)
	v_cvt_f64_f32_e32 v[1:2], v11
	v_cvt_f64_f32_e32 v[11:12], v12
	;; [unrolled: 1-line block ×4, first 2 shown]
	v_mov_b32_e32 v13, v3
	v_mov_b32_e32 v14, v3
	s_clause 0x3
	global_store_b128 v[5:6], v[1:4], off
	global_store_b128 v[5:6], v[11:14], off offset:16
	global_store_b128 v[5:6], v[15:18], off offset:32
	;; [unrolled: 1-line block ×3, first 2 shown]
	v_add_co_u32 v5, vcc_lo, v5, s7
	v_add_co_ci_u32_e32 v6, vcc_lo, 0, v6, vcc_lo
	s_and_not1_b32 exec_lo, exec_lo, s6
	s_cbranch_execnz .LBB274_3
.LBB274_4:
	s_set_inst_prefetch_distance 0x2
	s_or_b32 exec_lo, exec_lo, s16
	s_mov_b32 s16, 0
.LBB274_5:
	s_delay_alu instid0(SALU_CYCLE_1)
	s_and_not1_b32 vcc_lo, exec_lo, s16
	s_cbranch_vccnz .LBB274_25
; %bb.6:
	v_cmp_lt_i64_e64 s2, s[4:5], 1
	s_delay_alu instid0(VALU_DEP_1)
	s_and_b32 vcc_lo, exec_lo, s2
	s_cbranch_vccnz .LBB274_25
; %bb.7:
	s_load_b32 s0, s[0:1], 0xc5c
	v_cmp_gt_u64_e64 s1, 0x10000, s[4:5]
                                        ; implicit-def: $vgpr29
                                        ; implicit-def: $vgpr30
                                        ; implicit-def: $vgpr31
                                        ; implicit-def: $vgpr32
	s_waitcnt lgkmcnt(0)
	s_and_b32 s0, s0, 0xffff
	s_delay_alu instid0(VALU_DEP_1) | instskip(SKIP_4) | instid1(VALU_DEP_2)
	s_and_b32 s1, s1, exec_lo
	v_add_co_u32 v19, s8, v0, s0
	v_mov_b32_e32 v3, 0
	s_mul_i32 s7, s0, 3
	s_cselect_b32 s3, s5, 0
	v_lshlrev_b32_e32 v24, 2, v19
	s_delay_alu instid0(VALU_DEP_2) | instskip(SKIP_3) | instid1(VALU_DEP_2)
	v_dual_mov_b32 v8, v3 :: v_dual_lshlrev_b32 v7, 4, v0
	v_dual_mov_b32 v6, v3 :: v_dual_lshlrev_b32 v5, 2, v0
	s_cselect_b32 s2, s4, 0x10000
	s_lshl_b32 s9, s0, 5
	v_mad_u64_u32 v[11:12], null, s0, 48, v[7:8]
	s_delay_alu instid0(VALU_DEP_2) | instskip(SKIP_1) | instid1(VALU_DEP_1)
	v_mad_u64_u32 v[9:10], null, s0, 12, v[5:6]
	v_add_co_u32 v6, s7, s7, v0
	v_add_co_ci_u32_e64 v8, null, 0, 0, s7
	v_add_co_u32 v1, s7, s9, v7
	s_lshl_b32 s6, s0, 1
	v_add_co_ci_u32_e64 v20, null, 0, 0, s8
	s_lshl_b32 s8, s0, 3
	v_add_co_u32 v27, s6, s6, v0
	v_add_co_u32 v22, s8, s8, v5
	v_lshlrev_b32_e32 v21, 4, v19
	v_or_b32_e32 v11, 8, v11
	v_add_co_ci_u32_e64 v23, null, 0, 0, s8
	v_add_co_ci_u32_e64 v25, null, 0, 0, s7
	v_or_b32_e32 v26, 8, v1
	v_add_co_ci_u32_e64 v28, null, 0, 0, s6
	s_lshl_b32 s1, s0, 2
	s_lshl_b32 s8, s0, 4
	;; [unrolled: 1-line block ×3, first 2 shown]
	s_mov_b64 s[6:7], 0
	s_branch .LBB274_9
.LBB274_8:                              ;   in Loop: Header=BB274_9 Depth=1
	s_or_b32 exec_lo, exec_lo, s0
	s_add_u32 s6, s6, s1
	s_addc_u32 s7, s7, 0
	s_delay_alu instid0(SALU_CYCLE_1) | instskip(SKIP_1) | instid1(VALU_DEP_1)
	v_cmp_ge_i64_e64 s0, s[6:7], s[4:5]
	v_cmp_lt_u64_e64 s10, 0xffff, s[6:7]
	s_or_b32 s0, s0, s10
	s_add_u32 s12, s12, s8
	s_addc_u32 s13, s13, 0
	s_add_u32 s14, s14, s9
	s_addc_u32 s15, s15, 0
	s_and_b32 vcc_lo, exec_lo, s0
	s_cbranch_vccnz .LBB274_25
.LBB274_9:                              ; =>This Inner Loop Header: Depth=1
	v_add_co_u32 v1, s0, v0, s6
	s_delay_alu instid0(VALU_DEP_1) | instskip(NEXT) | instid1(VALU_DEP_1)
	v_add_co_ci_u32_e64 v2, null, 0, s7, s0
	v_cmp_gt_i64_e32 vcc_lo, s[4:5], v[1:2]
	v_cmp_gt_u64_e64 s0, 0x10000, v[1:2]
	s_delay_alu instid0(VALU_DEP_1) | instskip(NEXT) | instid1(SALU_CYCLE_1)
	s_and_b32 s10, vcc_lo, s0
	s_and_saveexec_b32 s0, s10
	s_cbranch_execz .LBB274_11
; %bb.10:                               ;   in Loop: Header=BB274_9 Depth=1
	v_add_co_u32 v13, s10, s12, v5
	s_delay_alu instid0(VALU_DEP_1)
	v_add_co_ci_u32_e64 v14, null, s13, 0, s10
	global_load_b32 v32, v[13:14], off
.LBB274_11:                             ;   in Loop: Header=BB274_9 Depth=1
	s_or_b32 exec_lo, exec_lo, s0
	v_add_co_u32 v13, vcc_lo, v19, s6
	v_add_co_ci_u32_e32 v14, vcc_lo, s7, v20, vcc_lo
	s_delay_alu instid0(VALU_DEP_1) | instskip(SKIP_1) | instid1(VALU_DEP_1)
	v_cmp_gt_i64_e32 vcc_lo, s[4:5], v[13:14]
	v_cmp_gt_u64_e64 s0, 0x10000, v[13:14]
	s_and_b32 s10, vcc_lo, s0
	s_delay_alu instid0(SALU_CYCLE_1)
	s_and_saveexec_b32 s0, s10
	s_cbranch_execz .LBB274_13
; %bb.12:                               ;   in Loop: Header=BB274_9 Depth=1
	v_add_co_u32 v15, s10, s12, v24
	s_delay_alu instid0(VALU_DEP_1)
	v_add_co_ci_u32_e64 v16, null, s13, 0, s10
	global_load_b32 v31, v[15:16], off
.LBB274_13:                             ;   in Loop: Header=BB274_9 Depth=1
	s_or_b32 exec_lo, exec_lo, s0
	v_add_co_u32 v15, vcc_lo, v27, s6
	v_add_co_ci_u32_e32 v16, vcc_lo, s7, v28, vcc_lo
	s_delay_alu instid0(VALU_DEP_1) | instskip(SKIP_1) | instid1(VALU_DEP_1)
	v_cmp_gt_i64_e32 vcc_lo, s[4:5], v[15:16]
	v_cmp_gt_u64_e64 s0, 0x10000, v[15:16]
	s_and_b32 s10, vcc_lo, s0
	s_delay_alu instid0(SALU_CYCLE_1)
	s_and_saveexec_b32 s0, s10
	s_cbranch_execz .LBB274_15
; %bb.14:                               ;   in Loop: Header=BB274_9 Depth=1
	v_add_co_u32 v17, vcc_lo, s12, v22
	v_add_co_ci_u32_e32 v18, vcc_lo, s13, v23, vcc_lo
	global_load_b32 v30, v[17:18], off
.LBB274_15:                             ;   in Loop: Header=BB274_9 Depth=1
	s_or_b32 exec_lo, exec_lo, s0
	v_add_co_u32 v17, vcc_lo, v6, s6
	v_add_co_ci_u32_e32 v18, vcc_lo, s7, v8, vcc_lo
	s_delay_alu instid0(VALU_DEP_1) | instskip(SKIP_1) | instid1(VALU_DEP_1)
	v_cmp_gt_i64_e32 vcc_lo, s[4:5], v[17:18]
	v_cmp_gt_u64_e64 s0, 0x10000, v[17:18]
	s_and_b32 s10, vcc_lo, s0
	s_delay_alu instid0(SALU_CYCLE_1)
	s_and_saveexec_b32 s0, s10
	s_cbranch_execnz .LBB274_20
; %bb.16:                               ;   in Loop: Header=BB274_9 Depth=1
	s_or_b32 exec_lo, exec_lo, s0
	s_delay_alu instid0(SALU_CYCLE_1)
	s_mov_b32 s0, exec_lo
	v_cmpx_gt_u64_e64 s[2:3], v[1:2]
	s_cbranch_execnz .LBB274_21
.LBB274_17:                             ;   in Loop: Header=BB274_9 Depth=1
	s_or_b32 exec_lo, exec_lo, s0
	s_delay_alu instid0(SALU_CYCLE_1)
	s_mov_b32 s0, exec_lo
	v_cmpx_gt_u64_e64 s[2:3], v[13:14]
	s_cbranch_execnz .LBB274_22
.LBB274_18:                             ;   in Loop: Header=BB274_9 Depth=1
	s_or_b32 exec_lo, exec_lo, s0
	s_delay_alu instid0(SALU_CYCLE_1)
	s_mov_b32 s0, exec_lo
	v_cmpx_gt_u64_e64 s[2:3], v[15:16]
	s_cbranch_execnz .LBB274_23
.LBB274_19:                             ;   in Loop: Header=BB274_9 Depth=1
	s_or_b32 exec_lo, exec_lo, s0
	s_delay_alu instid0(SALU_CYCLE_1)
	s_mov_b32 s0, exec_lo
	v_cmpx_gt_u64_e64 s[2:3], v[17:18]
	s_cbranch_execz .LBB274_8
	s_branch .LBB274_24
.LBB274_20:                             ;   in Loop: Header=BB274_9 Depth=1
	v_add_co_u32 v33, vcc_lo, s12, v9
	v_add_co_ci_u32_e32 v34, vcc_lo, s13, v10, vcc_lo
	global_load_b32 v29, v[33:34], off
	s_or_b32 exec_lo, exec_lo, s0
	s_delay_alu instid0(SALU_CYCLE_1)
	s_mov_b32 s0, exec_lo
	v_cmpx_gt_u64_e64 s[2:3], v[1:2]
	s_cbranch_execz .LBB274_17
.LBB274_21:                             ;   in Loop: Header=BB274_9 Depth=1
	s_waitcnt vmcnt(0)
	v_cvt_f64_f32_e32 v[1:2], v32
	v_add_co_u32 v33, s10, s14, v7
	s_delay_alu instid0(VALU_DEP_1) | instskip(SKIP_3) | instid1(SALU_CYCLE_1)
	v_add_co_ci_u32_e64 v34, null, s15, 0, s10
	v_mov_b32_e32 v4, v3
	global_store_b128 v[33:34], v[1:4], off
	s_or_b32 exec_lo, exec_lo, s0
	s_mov_b32 s0, exec_lo
	v_cmpx_gt_u64_e64 s[2:3], v[13:14]
	s_cbranch_execz .LBB274_18
.LBB274_22:                             ;   in Loop: Header=BB274_9 Depth=1
	s_waitcnt vmcnt(0)
	v_cvt_f64_f32_e32 v[1:2], v31
	v_add_co_u32 v13, s10, s14, v21
	s_delay_alu instid0(VALU_DEP_1) | instskip(SKIP_3) | instid1(SALU_CYCLE_1)
	v_add_co_ci_u32_e64 v14, null, s15, 0, s10
	v_mov_b32_e32 v4, v3
	global_store_b128 v[13:14], v[1:4], off
	s_or_b32 exec_lo, exec_lo, s0
	s_mov_b32 s0, exec_lo
	v_cmpx_gt_u64_e64 s[2:3], v[15:16]
	s_cbranch_execz .LBB274_19
.LBB274_23:                             ;   in Loop: Header=BB274_9 Depth=1
	s_waitcnt vmcnt(0)
	v_cvt_f64_f32_e32 v[1:2], v30
	v_add_co_u32 v13, vcc_lo, s14, v26
	v_add_co_ci_u32_e32 v14, vcc_lo, s15, v25, vcc_lo
	v_mov_b32_e32 v4, v3
	global_store_b128 v[13:14], v[1:4], off offset:-8
	s_or_b32 exec_lo, exec_lo, s0
	s_delay_alu instid0(SALU_CYCLE_1)
	s_mov_b32 s0, exec_lo
	v_cmpx_gt_u64_e64 s[2:3], v[17:18]
	s_cbranch_execz .LBB274_8
.LBB274_24:                             ;   in Loop: Header=BB274_9 Depth=1
	s_waitcnt vmcnt(0)
	v_cvt_f64_f32_e32 v[1:2], v29
	v_add_co_u32 v13, vcc_lo, s14, v11
	v_add_co_ci_u32_e32 v14, vcc_lo, s15, v12, vcc_lo
	v_mov_b32_e32 v4, v3
	global_store_b128 v[13:14], v[1:4], off offset:-8
	s_branch .LBB274_8
.LBB274_25:
	s_nop 0
	s_sendmsg sendmsg(MSG_DEALLOC_VGPRS)
	s_endpgm
	.section	.rodata,"a",@progbits
	.p2align	6, 0x0
	.amdhsa_kernel _ZN2at6native12_GLOBAL__N_125multi_tensor_apply_kernelINS1_18TensorListMetadataILi2EEENS1_11CopyFunctorIN3c107complexIdEEfLi2ELi1ELi1EEEJNS0_4CopyIS8_fEEEEEvT_T0_DpT1_
		.amdhsa_group_segment_fixed_size 0
		.amdhsa_private_segment_fixed_size 0
		.amdhsa_kernarg_size 3408
		.amdhsa_user_sgpr_count 15
		.amdhsa_user_sgpr_dispatch_ptr 0
		.amdhsa_user_sgpr_queue_ptr 0
		.amdhsa_user_sgpr_kernarg_segment_ptr 1
		.amdhsa_user_sgpr_dispatch_id 0
		.amdhsa_user_sgpr_private_segment_size 0
		.amdhsa_wavefront_size32 1
		.amdhsa_uses_dynamic_stack 0
		.amdhsa_enable_private_segment 0
		.amdhsa_system_sgpr_workgroup_id_x 1
		.amdhsa_system_sgpr_workgroup_id_y 0
		.amdhsa_system_sgpr_workgroup_id_z 0
		.amdhsa_system_sgpr_workgroup_info 0
		.amdhsa_system_vgpr_workitem_id 0
		.amdhsa_next_free_vgpr 35
		.amdhsa_next_free_sgpr 24
		.amdhsa_reserve_vcc 1
		.amdhsa_float_round_mode_32 0
		.amdhsa_float_round_mode_16_64 0
		.amdhsa_float_denorm_mode_32 3
		.amdhsa_float_denorm_mode_16_64 3
		.amdhsa_dx10_clamp 1
		.amdhsa_ieee_mode 1
		.amdhsa_fp16_overflow 0
		.amdhsa_workgroup_processor_mode 1
		.amdhsa_memory_ordered 1
		.amdhsa_forward_progress 0
		.amdhsa_shared_vgpr_count 0
		.amdhsa_exception_fp_ieee_invalid_op 0
		.amdhsa_exception_fp_denorm_src 0
		.amdhsa_exception_fp_ieee_div_zero 0
		.amdhsa_exception_fp_ieee_overflow 0
		.amdhsa_exception_fp_ieee_underflow 0
		.amdhsa_exception_fp_ieee_inexact 0
		.amdhsa_exception_int_div_zero 0
	.end_amdhsa_kernel
	.section	.text._ZN2at6native12_GLOBAL__N_125multi_tensor_apply_kernelINS1_18TensorListMetadataILi2EEENS1_11CopyFunctorIN3c107complexIdEEfLi2ELi1ELi1EEEJNS0_4CopyIS8_fEEEEEvT_T0_DpT1_,"axG",@progbits,_ZN2at6native12_GLOBAL__N_125multi_tensor_apply_kernelINS1_18TensorListMetadataILi2EEENS1_11CopyFunctorIN3c107complexIdEEfLi2ELi1ELi1EEEJNS0_4CopyIS8_fEEEEEvT_T0_DpT1_,comdat
.Lfunc_end274:
	.size	_ZN2at6native12_GLOBAL__N_125multi_tensor_apply_kernelINS1_18TensorListMetadataILi2EEENS1_11CopyFunctorIN3c107complexIdEEfLi2ELi1ELi1EEEJNS0_4CopyIS8_fEEEEEvT_T0_DpT1_, .Lfunc_end274-_ZN2at6native12_GLOBAL__N_125multi_tensor_apply_kernelINS1_18TensorListMetadataILi2EEENS1_11CopyFunctorIN3c107complexIdEEfLi2ELi1ELi1EEEJNS0_4CopyIS8_fEEEEEvT_T0_DpT1_
                                        ; -- End function
	.section	.AMDGPU.csdata,"",@progbits
; Kernel info:
; codeLenInByte = 1504
; NumSgprs: 26
; NumVgprs: 35
; ScratchSize: 0
; MemoryBound: 0
; FloatMode: 240
; IeeeMode: 1
; LDSByteSize: 0 bytes/workgroup (compile time only)
; SGPRBlocks: 3
; VGPRBlocks: 4
; NumSGPRsForWavesPerEU: 26
; NumVGPRsForWavesPerEU: 35
; Occupancy: 16
; WaveLimiterHint : 0
; COMPUTE_PGM_RSRC2:SCRATCH_EN: 0
; COMPUTE_PGM_RSRC2:USER_SGPR: 15
; COMPUTE_PGM_RSRC2:TRAP_HANDLER: 0
; COMPUTE_PGM_RSRC2:TGID_X_EN: 1
; COMPUTE_PGM_RSRC2:TGID_Y_EN: 0
; COMPUTE_PGM_RSRC2:TGID_Z_EN: 0
; COMPUTE_PGM_RSRC2:TIDIG_COMP_CNT: 0
	.section	.text._ZN2at6native12_GLOBAL__N_125multi_tensor_apply_kernelINS1_18TensorListMetadataILi2EEENS1_14UnaryOpFunctorIN3c107complexIdEELi2ELi1ELi1EEEJNS0_4CopyIS8_S8_EEEEEvT_T0_DpT1_,"axG",@progbits,_ZN2at6native12_GLOBAL__N_125multi_tensor_apply_kernelINS1_18TensorListMetadataILi2EEENS1_14UnaryOpFunctorIN3c107complexIdEELi2ELi1ELi1EEEJNS0_4CopyIS8_S8_EEEEEvT_T0_DpT1_,comdat
	.globl	_ZN2at6native12_GLOBAL__N_125multi_tensor_apply_kernelINS1_18TensorListMetadataILi2EEENS1_14UnaryOpFunctorIN3c107complexIdEELi2ELi1ELi1EEEJNS0_4CopyIS8_S8_EEEEEvT_T0_DpT1_ ; -- Begin function _ZN2at6native12_GLOBAL__N_125multi_tensor_apply_kernelINS1_18TensorListMetadataILi2EEENS1_14UnaryOpFunctorIN3c107complexIdEELi2ELi1ELi1EEEJNS0_4CopyIS8_S8_EEEEEvT_T0_DpT1_
	.p2align	8
	.type	_ZN2at6native12_GLOBAL__N_125multi_tensor_apply_kernelINS1_18TensorListMetadataILi2EEENS1_14UnaryOpFunctorIN3c107complexIdEELi2ELi1ELi1EEEJNS0_4CopyIS8_S8_EEEEEvT_T0_DpT1_,@function
_ZN2at6native12_GLOBAL__N_125multi_tensor_apply_kernelINS1_18TensorListMetadataILi2EEENS1_14UnaryOpFunctorIN3c107complexIdEELi2ELi1ELi1EEEJNS0_4CopyIS8_S8_EEEEEvT_T0_DpT1_: ; @_ZN2at6native12_GLOBAL__N_125multi_tensor_apply_kernelINS1_18TensorListMetadataILi2EEENS1_14UnaryOpFunctorIN3c107complexIdEELi2ELi1ELi1EEEJNS0_4CopyIS8_S8_EEEEEvT_T0_DpT1_
; %bb.0:
	v_mov_b32_e32 v1, s15
	s_add_u32 s2, s0, s15
	s_mul_hi_u32 s3, s15, 3
	s_mul_i32 s15, s15, 3
	s_addc_u32 s4, s1, 0
	global_load_u8 v1, v1, s[0:1] offset:1536
	s_add_u32 s2, s2, s15
	s_addc_u32 s3, s4, s3
	s_mov_b32 s17, 0
	s_load_b32 s2, s[2:3], 0x740
	s_mov_b32 s19, s17
	s_mov_b32 s21, s17
	s_waitcnt vmcnt(0)
	v_readfirstlane_b32 s5, v1
	s_delay_alu instid0(VALU_DEP_1)
	s_lshl_b32 s3, s5, 3
	s_clause 0x2
	s_load_b64 s[12:13], s[0:1], s3 offset:0x0
	s_load_b64 s[14:15], s[0:1], s3 offset:0x200
	;; [unrolled: 1-line block ×3, first 2 shown]
	s_waitcnt lgkmcnt(0)
	s_ashr_i32 s3, s2, 31
	s_delay_alu instid0(SALU_CYCLE_1) | instskip(NEXT) | instid1(SALU_CYCLE_1)
	s_lshl_b64 s[4:5], s[2:3], 20
	s_add_u32 s8, s12, s4
	s_addc_u32 s9, s13, s5
	s_add_u32 s10, s14, s4
	s_addc_u32 s11, s15, s5
	s_and_b32 s18, s8, 63
	s_and_b32 s20, s6, 3
	;; [unrolled: 1-line block ×3, first 2 shown]
	s_or_b64 s[18:19], s[18:19], s[20:21]
	s_lshl_b64 s[2:3], s[2:3], 16
	s_or_b64 s[16:17], s[16:17], s[18:19]
	s_sub_u32 s6, s6, s2
	s_subb_u32 s7, s7, s3
	s_cmp_eq_u64 s[16:17], 0
	s_mov_b32 s2, -1
	s_cbranch_scc0 .LBB275_5
; %bb.1:
	v_dual_mov_b32 v2, 0 :: v_dual_lshlrev_b32 v1, 2, v0
	s_mov_b32 s16, exec_lo
	s_delay_alu instid0(VALU_DEP_1)
	v_cmpx_gt_i64_e64 s[6:7], v[1:2]
	s_cbranch_execz .LBB275_4
; %bb.2:
	s_load_b32 s2, s[0:1], 0xc5c
	v_lshlrev_b32_e32 v3, 6, v0
	s_mov_b32 s17, 0
	s_waitcnt lgkmcnt(0)
	s_and_b32 s2, s2, 0xffff
	s_delay_alu instid0(SALU_CYCLE_1)
	v_add_lshl_u32 v1, v0, s2, 2
	s_lshl_b32 s18, s2, 2
	s_lshl_b32 s19, s2, 6
	s_set_inst_prefetch_distance 0x1
	.p2align	6
.LBB275_3:                              ; =>This Inner Loop Header: Depth=1
	v_add_co_u32 v16, s2, s8, v3
	s_delay_alu instid0(VALU_DEP_1)
	v_add_co_ci_u32_e64 v17, null, s9, 0, s2
	v_cmp_le_i64_e32 vcc_lo, s[6:7], v[1:2]
	v_cmp_lt_u64_e64 s2, 0xffff, v[1:2]
	v_add_co_u32 v20, s3, s10, v3
	s_clause 0x3
	global_load_b128 v[4:7], v[16:17], off
	global_load_b128 v[8:11], v[16:17], off offset:16
	global_load_b128 v[12:15], v[16:17], off offset:32
	;; [unrolled: 1-line block ×3, first 2 shown]
	v_add_co_ci_u32_e64 v21, null, s11, 0, s3
	s_or_b32 s2, vcc_lo, s2
	s_add_u32 s8, s8, s19
	v_add_co_u32 v1, s3, v1, s18
	s_addc_u32 s9, s9, 0
	s_add_u32 s10, s10, s19
	v_add_co_ci_u32_e64 v2, s3, 0, v2, s3
	s_addc_u32 s11, s11, 0
	s_and_b32 s2, exec_lo, s2
	s_waitcnt vmcnt(3)
	global_store_b128 v[20:21], v[4:7], off
	s_waitcnt vmcnt(2)
	global_store_b128 v[20:21], v[8:11], off offset:16
	s_waitcnt vmcnt(1)
	global_store_b128 v[20:21], v[12:15], off offset:32
	;; [unrolled: 2-line block ×3, first 2 shown]
	s_or_b32 s17, s2, s17
	s_delay_alu instid0(SALU_CYCLE_1)
	s_and_not1_b32 exec_lo, exec_lo, s17
	s_cbranch_execnz .LBB275_3
.LBB275_4:
	s_set_inst_prefetch_distance 0x2
	s_or_b32 exec_lo, exec_lo, s16
	s_mov_b32 s2, 0
.LBB275_5:
	s_delay_alu instid0(SALU_CYCLE_1)
	s_and_not1_b32 vcc_lo, exec_lo, s2
	s_cbranch_vccnz .LBB275_25
; %bb.6:
	v_cmp_lt_i64_e64 s2, s[6:7], 1
	s_delay_alu instid0(VALU_DEP_1)
	s_and_b32 vcc_lo, exec_lo, s2
	s_cbranch_vccnz .LBB275_25
; %bb.7:
	s_load_b32 s0, s[0:1], 0xc5c
	v_mov_b32_e32 v1, 0
	v_lshl_or_b32 v2, v0, 4, 8
	v_cmp_gt_u64_e64 s1, 0x10000, s[6:7]
	s_mov_b32 s9, 0
	s_delay_alu instid0(VALU_DEP_3) | instskip(NEXT) | instid1(VALU_DEP_3)
	v_mov_b32_e32 v3, v1
	v_add_co_u32 v18, s2, s12, v2
	s_delay_alu instid0(VALU_DEP_1) | instskip(SKIP_1) | instid1(VALU_DEP_1)
	v_add_co_ci_u32_e64 v19, null, s13, 0, s2
	v_add_co_u32 v20, s2, s14, v2
	v_add_co_ci_u32_e64 v21, null, s15, 0, s2
	s_waitcnt lgkmcnt(0)
	s_and_b32 s16, s0, 0xffff
	s_and_b32 s0, s1, exec_lo
	v_add_lshl_u32 v6, v0, s16, 4
	v_mad_u64_u32 v[4:5], null, s16, 48, v[2:3]
	s_cselect_b32 s11, s7, 0
	s_cselect_b32 s10, s6, 0x10000
	s_delay_alu instid0(VALU_DEP_2) | instskip(NEXT) | instid1(VALU_DEP_1)
	v_add_co_u32 v22, s0, s14, v6
	v_add_co_ci_u32_e64 v23, null, s15, 0, s0
	v_add_co_u32 v26, s0, s12, v6
	s_delay_alu instid0(VALU_DEP_1)
	v_add_co_ci_u32_e64 v27, null, s13, 0, s0
	s_lshl_b32 s0, s16, 5
	v_add_co_u32 v24, vcc_lo, s12, v4
	v_add_co_u32 v2, s0, v2, s0
	v_add_co_ci_u32_e32 v25, vcc_lo, s13, v5, vcc_lo
	v_add_co_ci_u32_e64 v3, null, 0, 0, s0
	v_add_co_u32 v28, vcc_lo, s14, v4
	v_add_co_ci_u32_e32 v29, vcc_lo, s15, v5, vcc_lo
	v_add_co_u32 v30, vcc_lo, s12, v2
	s_delay_alu instid0(VALU_DEP_4)
	v_add_co_ci_u32_e32 v31, vcc_lo, s13, v3, vcc_lo
	v_add_co_u32 v32, vcc_lo, s14, v2
	v_add_co_ci_u32_e32 v33, vcc_lo, s15, v3, vcc_lo
	s_lshl_b32 s8, s16, 2
	s_lshl_b32 s17, s16, 1
	s_mul_i32 s18, s16, 3
	s_lshl_b32 s14, s16, 6
	s_mov_b64 s[12:13], s[8:9]
	s_branch .LBB275_9
.LBB275_8:                              ;   in Loop: Header=BB275_9 Depth=1
	s_or_b32 exec_lo, exec_lo, s0
	v_add_co_u32 v0, vcc_lo, v0, s8
	v_add_co_ci_u32_e32 v1, vcc_lo, 0, v1, vcc_lo
	v_add_co_u32 v18, vcc_lo, v18, s14
	v_add_co_ci_u32_e32 v19, vcc_lo, 0, v19, vcc_lo
	;; [unrolled: 2-line block ×7, first 2 shown]
	v_cmp_ge_i64_e64 s0, s[12:13], s[6:7]
	v_cmp_lt_u64_e64 s1, 0xffff, s[12:13]
	v_add_co_u32 v30, vcc_lo, v30, s14
	v_add_co_ci_u32_e32 v31, vcc_lo, 0, v31, vcc_lo
	v_add_co_u32 v32, vcc_lo, v32, s14
	v_add_co_ci_u32_e32 v33, vcc_lo, 0, v33, vcc_lo
	s_or_b32 s0, s0, s1
	s_add_u32 s12, s12, s8
	s_addc_u32 s13, s13, 0
	s_and_b32 vcc_lo, exec_lo, s0
	s_cbranch_vccnz .LBB275_25
.LBB275_9:                              ; =>This Inner Loop Header: Depth=1
	s_waitcnt vmcnt(0)
	v_mov_b32_e32 v4, 0
	v_mov_b32_e32 v5, 0
	v_cmp_gt_u64_e32 vcc_lo, s[10:11], v[0:1]
	s_delay_alu instid0(VALU_DEP_2)
	v_dual_mov_b32 v9, v5 :: v_dual_mov_b32 v8, v4
	v_dual_mov_b32 v7, v5 :: v_dual_mov_b32 v6, v4
	s_and_saveexec_b32 s1, vcc_lo
	s_cbranch_execz .LBB275_11
; %bb.10:                               ;   in Loop: Header=BB275_9 Depth=1
	v_add_co_u32 v2, s0, v18, s4
	s_delay_alu instid0(VALU_DEP_1)
	v_add_co_ci_u32_e64 v3, s0, s5, v19, s0
	global_load_b128 v[6:9], v[2:3], off offset:-8
.LBB275_11:                             ;   in Loop: Header=BB275_9 Depth=1
	s_or_b32 exec_lo, exec_lo, s1
	v_add_co_u32 v2, s0, s16, v0
	s_delay_alu instid0(VALU_DEP_1) | instskip(NEXT) | instid1(VALU_DEP_1)
	v_add_co_ci_u32_e64 v3, s0, 0, v1, s0
	v_cmp_gt_u64_e64 s0, s[10:11], v[2:3]
	v_dual_mov_b32 v2, v4 :: v_dual_mov_b32 v3, v5
	s_delay_alu instid0(VALU_DEP_2)
	s_and_saveexec_b32 s2, s0
	s_cbranch_execz .LBB275_13
; %bb.12:                               ;   in Loop: Header=BB275_9 Depth=1
	v_add_co_u32 v2, s1, v26, s4
	s_delay_alu instid0(VALU_DEP_1)
	v_add_co_ci_u32_e64 v3, s1, s5, v27, s1
	global_load_b128 v[2:5], v[2:3], off
.LBB275_13:                             ;   in Loop: Header=BB275_9 Depth=1
	s_or_b32 exec_lo, exec_lo, s2
	v_add_co_u32 v10, s1, s17, v0
	s_delay_alu instid0(VALU_DEP_1) | instskip(SKIP_2) | instid1(VALU_DEP_3)
	v_add_co_ci_u32_e64 v11, s1, 0, v1, s1
	v_mov_b32_e32 v12, 0
	v_mov_b32_e32 v13, 0
	v_cmp_gt_u64_e64 s1, s[10:11], v[10:11]
	s_delay_alu instid0(VALU_DEP_2) | instskip(SKIP_1) | instid1(VALU_DEP_3)
	v_dual_mov_b32 v17, v13 :: v_dual_mov_b32 v16, v12
	v_dual_mov_b32 v15, v13 :: v_dual_mov_b32 v14, v12
	s_and_saveexec_b32 s3, s1
	s_cbranch_execz .LBB275_15
; %bb.14:                               ;   in Loop: Header=BB275_9 Depth=1
	v_add_co_u32 v10, s2, v30, s4
	s_delay_alu instid0(VALU_DEP_1)
	v_add_co_ci_u32_e64 v11, s2, s5, v31, s2
	global_load_b128 v[14:17], v[10:11], off offset:-8
.LBB275_15:                             ;   in Loop: Header=BB275_9 Depth=1
	s_or_b32 exec_lo, exec_lo, s3
	v_add_co_u32 v10, s2, s18, v0
	s_delay_alu instid0(VALU_DEP_1) | instskip(NEXT) | instid1(VALU_DEP_1)
	v_add_co_ci_u32_e64 v11, s2, 0, v1, s2
	v_cmp_gt_u64_e64 s2, s[10:11], v[10:11]
	v_dual_mov_b32 v10, v12 :: v_dual_mov_b32 v11, v13
	s_delay_alu instid0(VALU_DEP_2)
	s_and_saveexec_b32 s9, s2
	s_cbranch_execnz .LBB275_20
; %bb.16:                               ;   in Loop: Header=BB275_9 Depth=1
	s_or_b32 exec_lo, exec_lo, s9
	s_and_saveexec_b32 s3, vcc_lo
	s_cbranch_execnz .LBB275_21
.LBB275_17:                             ;   in Loop: Header=BB275_9 Depth=1
	s_or_b32 exec_lo, exec_lo, s3
	s_and_saveexec_b32 s3, s0
	s_cbranch_execnz .LBB275_22
.LBB275_18:                             ;   in Loop: Header=BB275_9 Depth=1
	s_or_b32 exec_lo, exec_lo, s3
	s_and_saveexec_b32 s0, s1
	s_cbranch_execnz .LBB275_23
.LBB275_19:                             ;   in Loop: Header=BB275_9 Depth=1
	s_or_b32 exec_lo, exec_lo, s0
	s_and_saveexec_b32 s0, s2
	s_cbranch_execz .LBB275_8
	s_branch .LBB275_24
.LBB275_20:                             ;   in Loop: Header=BB275_9 Depth=1
	v_add_co_u32 v10, s3, v24, s4
	s_delay_alu instid0(VALU_DEP_1)
	v_add_co_ci_u32_e64 v11, s3, s5, v25, s3
	global_load_b128 v[10:13], v[10:11], off offset:-8
	s_or_b32 exec_lo, exec_lo, s9
	s_and_saveexec_b32 s3, vcc_lo
	s_cbranch_execz .LBB275_17
.LBB275_21:                             ;   in Loop: Header=BB275_9 Depth=1
	v_add_co_u32 v34, vcc_lo, v20, s4
	v_add_co_ci_u32_e32 v35, vcc_lo, s5, v21, vcc_lo
	s_waitcnt vmcnt(0)
	global_store_b128 v[34:35], v[6:9], off offset:-8
	s_or_b32 exec_lo, exec_lo, s3
	s_and_saveexec_b32 s3, s0
	s_cbranch_execz .LBB275_18
.LBB275_22:                             ;   in Loop: Header=BB275_9 Depth=1
	s_waitcnt vmcnt(0)
	v_add_co_u32 v6, vcc_lo, v22, s4
	v_add_co_ci_u32_e32 v7, vcc_lo, s5, v23, vcc_lo
	global_store_b128 v[6:7], v[2:5], off
	s_or_b32 exec_lo, exec_lo, s3
	s_and_saveexec_b32 s0, s1
	s_cbranch_execz .LBB275_19
.LBB275_23:                             ;   in Loop: Header=BB275_9 Depth=1
	s_waitcnt vmcnt(0)
	v_add_co_u32 v2, vcc_lo, v32, s4
	v_add_co_ci_u32_e32 v3, vcc_lo, s5, v33, vcc_lo
	global_store_b128 v[2:3], v[14:17], off offset:-8
	s_or_b32 exec_lo, exec_lo, s0
	s_and_saveexec_b32 s0, s2
	s_cbranch_execz .LBB275_8
.LBB275_24:                             ;   in Loop: Header=BB275_9 Depth=1
	s_waitcnt vmcnt(0)
	v_add_co_u32 v2, vcc_lo, v28, s4
	v_add_co_ci_u32_e32 v3, vcc_lo, s5, v29, vcc_lo
	global_store_b128 v[2:3], v[10:13], off offset:-8
	s_branch .LBB275_8
.LBB275_25:
	s_nop 0
	s_sendmsg sendmsg(MSG_DEALLOC_VGPRS)
	s_endpgm
	.section	.rodata,"a",@progbits
	.p2align	6, 0x0
	.amdhsa_kernel _ZN2at6native12_GLOBAL__N_125multi_tensor_apply_kernelINS1_18TensorListMetadataILi2EEENS1_14UnaryOpFunctorIN3c107complexIdEELi2ELi1ELi1EEEJNS0_4CopyIS8_S8_EEEEEvT_T0_DpT1_
		.amdhsa_group_segment_fixed_size 0
		.amdhsa_private_segment_fixed_size 0
		.amdhsa_kernarg_size 3408
		.amdhsa_user_sgpr_count 15
		.amdhsa_user_sgpr_dispatch_ptr 0
		.amdhsa_user_sgpr_queue_ptr 0
		.amdhsa_user_sgpr_kernarg_segment_ptr 1
		.amdhsa_user_sgpr_dispatch_id 0
		.amdhsa_user_sgpr_private_segment_size 0
		.amdhsa_wavefront_size32 1
		.amdhsa_uses_dynamic_stack 0
		.amdhsa_enable_private_segment 0
		.amdhsa_system_sgpr_workgroup_id_x 1
		.amdhsa_system_sgpr_workgroup_id_y 0
		.amdhsa_system_sgpr_workgroup_id_z 0
		.amdhsa_system_sgpr_workgroup_info 0
		.amdhsa_system_vgpr_workitem_id 0
		.amdhsa_next_free_vgpr 36
		.amdhsa_next_free_sgpr 22
		.amdhsa_reserve_vcc 1
		.amdhsa_float_round_mode_32 0
		.amdhsa_float_round_mode_16_64 0
		.amdhsa_float_denorm_mode_32 3
		.amdhsa_float_denorm_mode_16_64 3
		.amdhsa_dx10_clamp 1
		.amdhsa_ieee_mode 1
		.amdhsa_fp16_overflow 0
		.amdhsa_workgroup_processor_mode 1
		.amdhsa_memory_ordered 1
		.amdhsa_forward_progress 0
		.amdhsa_shared_vgpr_count 0
		.amdhsa_exception_fp_ieee_invalid_op 0
		.amdhsa_exception_fp_denorm_src 0
		.amdhsa_exception_fp_ieee_div_zero 0
		.amdhsa_exception_fp_ieee_overflow 0
		.amdhsa_exception_fp_ieee_underflow 0
		.amdhsa_exception_fp_ieee_inexact 0
		.amdhsa_exception_int_div_zero 0
	.end_amdhsa_kernel
	.section	.text._ZN2at6native12_GLOBAL__N_125multi_tensor_apply_kernelINS1_18TensorListMetadataILi2EEENS1_14UnaryOpFunctorIN3c107complexIdEELi2ELi1ELi1EEEJNS0_4CopyIS8_S8_EEEEEvT_T0_DpT1_,"axG",@progbits,_ZN2at6native12_GLOBAL__N_125multi_tensor_apply_kernelINS1_18TensorListMetadataILi2EEENS1_14UnaryOpFunctorIN3c107complexIdEELi2ELi1ELi1EEEJNS0_4CopyIS8_S8_EEEEEvT_T0_DpT1_,comdat
.Lfunc_end275:
	.size	_ZN2at6native12_GLOBAL__N_125multi_tensor_apply_kernelINS1_18TensorListMetadataILi2EEENS1_14UnaryOpFunctorIN3c107complexIdEELi2ELi1ELi1EEEJNS0_4CopyIS8_S8_EEEEEvT_T0_DpT1_, .Lfunc_end275-_ZN2at6native12_GLOBAL__N_125multi_tensor_apply_kernelINS1_18TensorListMetadataILi2EEENS1_14UnaryOpFunctorIN3c107complexIdEELi2ELi1ELi1EEEJNS0_4CopyIS8_S8_EEEEEvT_T0_DpT1_
                                        ; -- End function
	.section	.AMDGPU.csdata,"",@progbits
; Kernel info:
; codeLenInByte = 1444
; NumSgprs: 24
; NumVgprs: 36
; ScratchSize: 0
; MemoryBound: 1
; FloatMode: 240
; IeeeMode: 1
; LDSByteSize: 0 bytes/workgroup (compile time only)
; SGPRBlocks: 2
; VGPRBlocks: 4
; NumSGPRsForWavesPerEU: 24
; NumVGPRsForWavesPerEU: 36
; Occupancy: 16
; WaveLimiterHint : 0
; COMPUTE_PGM_RSRC2:SCRATCH_EN: 0
; COMPUTE_PGM_RSRC2:USER_SGPR: 15
; COMPUTE_PGM_RSRC2:TRAP_HANDLER: 0
; COMPUTE_PGM_RSRC2:TGID_X_EN: 1
; COMPUTE_PGM_RSRC2:TGID_Y_EN: 0
; COMPUTE_PGM_RSRC2:TGID_Z_EN: 0
; COMPUTE_PGM_RSRC2:TIDIG_COMP_CNT: 0
	.section	.text._ZN2at6native12_GLOBAL__N_125multi_tensor_apply_kernelINS1_18TensorListMetadataILi2EEENS1_11CopyFunctorIN3c107complexIdEENS7_IfEELi2ELi1ELi1EEEJNS0_4CopyIS8_S9_EEEEEvT_T0_DpT1_,"axG",@progbits,_ZN2at6native12_GLOBAL__N_125multi_tensor_apply_kernelINS1_18TensorListMetadataILi2EEENS1_11CopyFunctorIN3c107complexIdEENS7_IfEELi2ELi1ELi1EEEJNS0_4CopyIS8_S9_EEEEEvT_T0_DpT1_,comdat
	.globl	_ZN2at6native12_GLOBAL__N_125multi_tensor_apply_kernelINS1_18TensorListMetadataILi2EEENS1_11CopyFunctorIN3c107complexIdEENS7_IfEELi2ELi1ELi1EEEJNS0_4CopyIS8_S9_EEEEEvT_T0_DpT1_ ; -- Begin function _ZN2at6native12_GLOBAL__N_125multi_tensor_apply_kernelINS1_18TensorListMetadataILi2EEENS1_11CopyFunctorIN3c107complexIdEENS7_IfEELi2ELi1ELi1EEEJNS0_4CopyIS8_S9_EEEEEvT_T0_DpT1_
	.p2align	8
	.type	_ZN2at6native12_GLOBAL__N_125multi_tensor_apply_kernelINS1_18TensorListMetadataILi2EEENS1_11CopyFunctorIN3c107complexIdEENS7_IfEELi2ELi1ELi1EEEJNS0_4CopyIS8_S9_EEEEEvT_T0_DpT1_,@function
_ZN2at6native12_GLOBAL__N_125multi_tensor_apply_kernelINS1_18TensorListMetadataILi2EEENS1_11CopyFunctorIN3c107complexIdEENS7_IfEELi2ELi1ELi1EEEJNS0_4CopyIS8_S9_EEEEEvT_T0_DpT1_: ; @_ZN2at6native12_GLOBAL__N_125multi_tensor_apply_kernelINS1_18TensorListMetadataILi2EEENS1_11CopyFunctorIN3c107complexIdEENS7_IfEELi2ELi1ELi1EEEJNS0_4CopyIS8_S9_EEEEEvT_T0_DpT1_
; %bb.0:
	v_mov_b32_e32 v1, s15
	s_add_u32 s2, s0, s15
	s_mul_hi_u32 s3, s15, 3
	s_mul_i32 s15, s15, 3
	s_addc_u32 s4, s1, 0
	global_load_u8 v1, v1, s[0:1] offset:1536
	s_add_u32 s2, s2, s15
	s_addc_u32 s3, s4, s3
	s_mov_b32 s19, 0
	s_load_b32 s4, s[2:3], 0x740
	s_mov_b32 s23, s19
	s_waitcnt vmcnt(0)
	v_readfirstlane_b32 s5, v1
	s_delay_alu instid0(VALU_DEP_1)
	s_lshl_b32 s5, s5, 3
	s_clause 0x2
	s_load_b64 s[2:3], s[0:1], s5 offset:0x0
	s_load_b64 s[6:7], s[0:1], s5 offset:0x200
	;; [unrolled: 1-line block ×3, first 2 shown]
	s_waitcnt lgkmcnt(0)
	s_ashr_i32 s5, s4, 31
	s_delay_alu instid0(SALU_CYCLE_1)
	s_lshl_b64 s[10:11], s[4:5], 19
	s_lshl_b64 s[20:21], s[4:5], 16
	s_add_u32 s12, s2, s10
	s_addc_u32 s13, s3, s11
	s_lshl_b64 s[8:9], s[4:5], 20
	s_mov_b32 s5, s19
	s_add_u32 s14, s6, s8
	s_addc_u32 s15, s7, s9
	s_and_b32 s22, s16, 3
	s_and_b32 s4, s14, 63
	;; [unrolled: 1-line block ×3, first 2 shown]
	s_or_b64 s[4:5], s[4:5], s[22:23]
	s_delay_alu instid0(SALU_CYCLE_1)
	s_or_b64 s[18:19], s[18:19], s[4:5]
	s_sub_u32 s4, s16, s20
	s_subb_u32 s5, s17, s21
	s_cmp_eq_u64 s[18:19], 0
	s_mov_b32 s16, -1
	s_cbranch_scc0 .LBB276_5
; %bb.1:
	v_dual_mov_b32 v2, 0 :: v_dual_lshlrev_b32 v1, 2, v0
	s_mov_b32 s16, exec_lo
	s_delay_alu instid0(VALU_DEP_1)
	v_cmpx_gt_i64_e64 s[4:5], v[1:2]
	s_cbranch_execz .LBB276_4
; %bb.2:
	s_load_b32 s17, s[0:1], 0xc5c
	v_lshlrev_b32_e32 v3, 5, v0
	v_lshlrev_b32_e32 v5, 6, v0
	s_waitcnt lgkmcnt(0)
	s_and_b32 s18, s17, 0xffff
	s_delay_alu instid0(SALU_CYCLE_1)
	s_lshl_b32 s17, s18, 2
	s_add_u32 s2, s2, s10
	s_addc_u32 s3, s3, s11
	s_lshl_b32 s10, s18, 5
	s_add_u32 s6, s6, s8
	v_add_co_u32 v3, s2, s2, v3
	s_delay_alu instid0(VALU_DEP_1)
	v_add_co_ci_u32_e64 v4, null, s3, 0, s2
	s_addc_u32 s2, s7, s9
	v_add_co_u32 v5, s3, s6, v5
	v_add_lshl_u32 v1, v0, s18, 2
	v_add_co_ci_u32_e64 v6, null, s2, 0, s3
	s_mov_b32 s6, 0
	s_lshl_b32 s7, s18, 6
	s_set_inst_prefetch_distance 0x1
	.p2align	6
.LBB276_3:                              ; =>This Inner Loop Header: Depth=1
	s_clause 0x1
	global_load_b128 v[7:10], v[3:4], off
	global_load_b128 v[11:14], v[3:4], off offset:16
	v_cmp_le_i64_e32 vcc_lo, s[4:5], v[1:2]
	v_cmp_lt_u64_e64 s2, 0xffff, v[1:2]
	v_add_co_u32 v1, s3, v1, s17
	s_delay_alu instid0(VALU_DEP_1) | instskip(SKIP_1) | instid1(VALU_DEP_4)
	v_add_co_ci_u32_e64 v2, s3, 0, v2, s3
	v_add_co_u32 v3, s3, v3, s10
	s_or_b32 s2, vcc_lo, s2
	v_add_co_ci_u32_e64 v4, s3, 0, v4, s3
	s_and_b32 s2, exec_lo, s2
	s_delay_alu instid0(SALU_CYCLE_1)
	s_or_b32 s6, s2, s6
	s_waitcnt vmcnt(1)
	v_cvt_f64_f32_e32 v[15:16], v7
	v_cvt_f64_f32_e32 v[17:18], v8
	;; [unrolled: 1-line block ×4, first 2 shown]
	s_waitcnt vmcnt(0)
	v_cvt_f64_f32_e32 v[19:20], v11
	v_cvt_f64_f32_e32 v[21:22], v12
	v_cvt_f64_f32_e32 v[11:12], v13
	v_cvt_f64_f32_e32 v[13:14], v14
	s_clause 0x3
	global_store_b128 v[5:6], v[15:18], off
	global_store_b128 v[5:6], v[7:10], off offset:16
	global_store_b128 v[5:6], v[19:22], off offset:32
	;; [unrolled: 1-line block ×3, first 2 shown]
	v_add_co_u32 v5, vcc_lo, v5, s7
	v_add_co_ci_u32_e32 v6, vcc_lo, 0, v6, vcc_lo
	s_and_not1_b32 exec_lo, exec_lo, s6
	s_cbranch_execnz .LBB276_3
.LBB276_4:
	s_set_inst_prefetch_distance 0x2
	s_or_b32 exec_lo, exec_lo, s16
	s_mov_b32 s16, 0
.LBB276_5:
	s_delay_alu instid0(SALU_CYCLE_1)
	s_and_not1_b32 vcc_lo, exec_lo, s16
	s_cbranch_vccnz .LBB276_25
; %bb.6:
	v_cmp_lt_i64_e64 s2, s[4:5], 1
	s_delay_alu instid0(VALU_DEP_1)
	s_and_b32 vcc_lo, exec_lo, s2
	s_cbranch_vccnz .LBB276_25
; %bb.7:
	s_load_b32 s0, s[0:1], 0xc5c
	v_dual_mov_b32 v2, 0 :: v_dual_lshlrev_b32 v1, 3, v0
	v_cmp_gt_u64_e64 s1, 0x10000, s[4:5]
	s_delay_alu instid0(VALU_DEP_2)
	v_dual_mov_b32 v4, v2 :: v_dual_lshlrev_b32 v3, 4, v0
	v_mov_b32_e32 v12, v2
	v_mov_b32_e32 v11, v2
	;; [unrolled: 1-line block ×7, first 2 shown]
	s_waitcnt lgkmcnt(0)
	s_and_b32 s0, s0, 0xffff
	s_and_b32 s1, s1, exec_lo
	s_cselect_b32 s3, s5, 0
	s_cselect_b32 s2, s4, 0x10000
	s_lshl_b32 s6, s0, 1
	s_mul_i32 s7, s0, 3
	v_mad_u64_u32 v[7:8], null, s0, 48, v[3:4]
	v_add_co_u32 v4, s6, s6, v0
	s_delay_alu instid0(VALU_DEP_1)
	v_add_co_ci_u32_e64 v27, null, 0, 0, s6
	v_add_co_u32 v30, s6, s7, v0
	v_mad_u64_u32 v[5:6], null, s0, 24, v[1:2]
	v_add_co_ci_u32_e64 v31, null, 0, 0, s6
	s_lshl_b32 s6, s0, 4
	v_add_co_u32 v25, s1, v0, s0
	v_add_co_u32 v9, s6, s6, v1
	v_add_co_ci_u32_e64 v26, null, 0, 0, s1
	s_lshl_b32 s1, s0, 5
	s_delay_alu instid0(VALU_DEP_3)
	v_lshlrev_b32_e32 v28, 4, v25
	v_add_co_u32 v32, s7, s1, v3
	v_lshlrev_b32_e32 v29, 3, v25
	v_or_b32_e32 v5, 4, v5
	v_or_b32_e32 v7, 8, v7
	v_add_co_ci_u32_e64 v33, null, 0, 0, s7
	v_add_co_ci_u32_e64 v34, null, 0, 0, s6
	v_or_b32_e32 v35, 4, v9
	v_mov_b32_e32 v9, v2
	s_lshl_b32 s8, s0, 2
	s_lshl_b32 s9, s0, 6
	s_mov_b64 s[6:7], 0
	s_branch .LBB276_9
.LBB276_8:                              ;   in Loop: Header=BB276_9 Depth=1
	s_or_b32 exec_lo, exec_lo, s0
	s_add_u32 s6, s6, s8
	s_addc_u32 s7, s7, 0
	s_delay_alu instid0(SALU_CYCLE_1) | instskip(SKIP_1) | instid1(VALU_DEP_1)
	v_cmp_ge_i64_e64 s0, s[6:7], s[4:5]
	v_cmp_lt_u64_e64 s10, 0xffff, s[6:7]
	s_or_b32 s0, s0, s10
	s_add_u32 s12, s12, s1
	s_addc_u32 s13, s13, 0
	s_add_u32 s14, s14, s9
	s_addc_u32 s15, s15, 0
	s_and_b32 vcc_lo, exec_lo, s0
	s_cbranch_vccnz .LBB276_25
.LBB276_9:                              ; =>This Inner Loop Header: Depth=1
	v_add_co_u32 v17, s0, v0, s6
	s_delay_alu instid0(VALU_DEP_1) | instskip(NEXT) | instid1(VALU_DEP_1)
	v_add_co_ci_u32_e64 v18, null, 0, s7, s0
	v_cmp_gt_i64_e32 vcc_lo, s[4:5], v[17:18]
	v_cmp_gt_u64_e64 s0, 0x10000, v[17:18]
	s_delay_alu instid0(VALU_DEP_1) | instskip(NEXT) | instid1(SALU_CYCLE_1)
	s_and_b32 s10, vcc_lo, s0
	s_and_saveexec_b32 s0, s10
	s_cbranch_execz .LBB276_11
; %bb.10:                               ;   in Loop: Header=BB276_9 Depth=1
	s_waitcnt vmcnt(0)
	v_add_co_u32 v15, s10, s12, v1
	s_delay_alu instid0(VALU_DEP_1)
	v_add_co_ci_u32_e64 v16, null, s13, 0, s10
	global_load_b64 v[15:16], v[15:16], off
.LBB276_11:                             ;   in Loop: Header=BB276_9 Depth=1
	s_or_b32 exec_lo, exec_lo, s0
	v_add_co_u32 v19, vcc_lo, v25, s6
	v_add_co_ci_u32_e32 v20, vcc_lo, s7, v26, vcc_lo
	s_delay_alu instid0(VALU_DEP_1) | instskip(SKIP_1) | instid1(VALU_DEP_1)
	v_cmp_gt_i64_e32 vcc_lo, s[4:5], v[19:20]
	v_cmp_gt_u64_e64 s0, 0x10000, v[19:20]
	s_and_b32 s10, vcc_lo, s0
	s_delay_alu instid0(SALU_CYCLE_1)
	s_and_saveexec_b32 s0, s10
	s_cbranch_execz .LBB276_13
; %bb.12:                               ;   in Loop: Header=BB276_9 Depth=1
	s_waitcnt vmcnt(0)
	v_add_co_u32 v13, s10, s12, v29
	s_delay_alu instid0(VALU_DEP_1)
	v_add_co_ci_u32_e64 v14, null, s13, 0, s10
	global_load_b64 v[13:14], v[13:14], off
.LBB276_13:                             ;   in Loop: Header=BB276_9 Depth=1
	s_or_b32 exec_lo, exec_lo, s0
	v_add_co_u32 v21, vcc_lo, v4, s6
	v_add_co_ci_u32_e32 v22, vcc_lo, s7, v27, vcc_lo
	s_delay_alu instid0(VALU_DEP_1) | instskip(SKIP_1) | instid1(VALU_DEP_1)
	v_cmp_gt_i64_e32 vcc_lo, s[4:5], v[21:22]
	v_cmp_gt_u64_e64 s0, 0x10000, v[21:22]
	s_and_b32 s10, vcc_lo, s0
	s_delay_alu instid0(SALU_CYCLE_1)
	s_and_saveexec_b32 s0, s10
	s_cbranch_execz .LBB276_15
; %bb.14:                               ;   in Loop: Header=BB276_9 Depth=1
	s_waitcnt vmcnt(0)
	v_add_co_u32 v11, vcc_lo, s12, v35
	v_add_co_ci_u32_e32 v12, vcc_lo, s13, v34, vcc_lo
	global_load_b64 v[11:12], v[11:12], off offset:-4
.LBB276_15:                             ;   in Loop: Header=BB276_9 Depth=1
	s_or_b32 exec_lo, exec_lo, s0
	v_add_co_u32 v23, vcc_lo, v30, s6
	v_add_co_ci_u32_e32 v24, vcc_lo, s7, v31, vcc_lo
	s_delay_alu instid0(VALU_DEP_1) | instskip(SKIP_1) | instid1(VALU_DEP_1)
	v_cmp_gt_i64_e32 vcc_lo, s[4:5], v[23:24]
	v_cmp_gt_u64_e64 s0, 0x10000, v[23:24]
	s_and_b32 s10, vcc_lo, s0
	s_delay_alu instid0(SALU_CYCLE_1)
	s_and_saveexec_b32 s0, s10
	s_cbranch_execnz .LBB276_20
; %bb.16:                               ;   in Loop: Header=BB276_9 Depth=1
	s_or_b32 exec_lo, exec_lo, s0
	s_delay_alu instid0(SALU_CYCLE_1)
	s_mov_b32 s0, exec_lo
	v_cmpx_gt_u64_e64 s[2:3], v[17:18]
	s_cbranch_execnz .LBB276_21
.LBB276_17:                             ;   in Loop: Header=BB276_9 Depth=1
	s_or_b32 exec_lo, exec_lo, s0
	s_delay_alu instid0(SALU_CYCLE_1)
	s_mov_b32 s0, exec_lo
	v_cmpx_gt_u64_e64 s[2:3], v[19:20]
	s_cbranch_execnz .LBB276_22
.LBB276_18:                             ;   in Loop: Header=BB276_9 Depth=1
	s_or_b32 exec_lo, exec_lo, s0
	s_delay_alu instid0(SALU_CYCLE_1)
	s_mov_b32 s0, exec_lo
	v_cmpx_gt_u64_e64 s[2:3], v[21:22]
	s_cbranch_execnz .LBB276_23
.LBB276_19:                             ;   in Loop: Header=BB276_9 Depth=1
	s_or_b32 exec_lo, exec_lo, s0
	s_delay_alu instid0(SALU_CYCLE_1)
	s_mov_b32 s0, exec_lo
	v_cmpx_gt_u64_e64 s[2:3], v[23:24]
	s_cbranch_execz .LBB276_8
	s_branch .LBB276_24
.LBB276_20:                             ;   in Loop: Header=BB276_9 Depth=1
	s_waitcnt vmcnt(0)
	v_add_co_u32 v9, vcc_lo, s12, v5
	v_add_co_ci_u32_e32 v10, vcc_lo, s13, v6, vcc_lo
	global_load_b64 v[9:10], v[9:10], off offset:-4
	s_or_b32 exec_lo, exec_lo, s0
	s_delay_alu instid0(SALU_CYCLE_1)
	s_mov_b32 s0, exec_lo
	v_cmpx_gt_u64_e64 s[2:3], v[17:18]
	s_cbranch_execz .LBB276_17
.LBB276_21:                             ;   in Loop: Header=BB276_9 Depth=1
	s_waitcnt vmcnt(0)
	v_cvt_f64_f32_e32 v[36:37], v15
	v_cvt_f64_f32_e32 v[38:39], v16
	v_add_co_u32 v17, s10, s14, v3
	s_delay_alu instid0(VALU_DEP_1) | instskip(SKIP_2) | instid1(SALU_CYCLE_1)
	v_add_co_ci_u32_e64 v18, null, s15, 0, s10
	global_store_b128 v[17:18], v[36:39], off
	s_or_b32 exec_lo, exec_lo, s0
	s_mov_b32 s0, exec_lo
	v_cmpx_gt_u64_e64 s[2:3], v[19:20]
	s_cbranch_execz .LBB276_18
.LBB276_22:                             ;   in Loop: Header=BB276_9 Depth=1
	s_waitcnt vmcnt(0)
	v_cvt_f64_f32_e32 v[17:18], v13
	v_cvt_f64_f32_e32 v[19:20], v14
	v_add_co_u32 v36, s10, s14, v28
	s_delay_alu instid0(VALU_DEP_1) | instskip(SKIP_2) | instid1(SALU_CYCLE_1)
	v_add_co_ci_u32_e64 v37, null, s15, 0, s10
	global_store_b128 v[36:37], v[17:20], off
	s_or_b32 exec_lo, exec_lo, s0
	s_mov_b32 s0, exec_lo
	v_cmpx_gt_u64_e64 s[2:3], v[21:22]
	s_cbranch_execz .LBB276_19
.LBB276_23:                             ;   in Loop: Header=BB276_9 Depth=1
	s_waitcnt vmcnt(0)
	v_cvt_f64_f32_e32 v[17:18], v11
	v_cvt_f64_f32_e32 v[19:20], v12
	v_add_co_u32 v21, vcc_lo, s14, v32
	v_add_co_ci_u32_e32 v22, vcc_lo, s15, v33, vcc_lo
	global_store_b128 v[21:22], v[17:20], off
	s_or_b32 exec_lo, exec_lo, s0
	s_delay_alu instid0(SALU_CYCLE_1)
	s_mov_b32 s0, exec_lo
	v_cmpx_gt_u64_e64 s[2:3], v[23:24]
	s_cbranch_execz .LBB276_8
.LBB276_24:                             ;   in Loop: Header=BB276_9 Depth=1
	s_waitcnt vmcnt(0)
	v_cvt_f64_f32_e32 v[17:18], v9
	v_cvt_f64_f32_e32 v[19:20], v10
	v_add_co_u32 v21, vcc_lo, s14, v7
	v_add_co_ci_u32_e32 v22, vcc_lo, s15, v8, vcc_lo
	global_store_b128 v[21:22], v[17:20], off offset:-8
	s_branch .LBB276_8
.LBB276_25:
	s_nop 0
	s_sendmsg sendmsg(MSG_DEALLOC_VGPRS)
	s_endpgm
	.section	.rodata,"a",@progbits
	.p2align	6, 0x0
	.amdhsa_kernel _ZN2at6native12_GLOBAL__N_125multi_tensor_apply_kernelINS1_18TensorListMetadataILi2EEENS1_11CopyFunctorIN3c107complexIdEENS7_IfEELi2ELi1ELi1EEEJNS0_4CopyIS8_S9_EEEEEvT_T0_DpT1_
		.amdhsa_group_segment_fixed_size 0
		.amdhsa_private_segment_fixed_size 0
		.amdhsa_kernarg_size 3408
		.amdhsa_user_sgpr_count 15
		.amdhsa_user_sgpr_dispatch_ptr 0
		.amdhsa_user_sgpr_queue_ptr 0
		.amdhsa_user_sgpr_kernarg_segment_ptr 1
		.amdhsa_user_sgpr_dispatch_id 0
		.amdhsa_user_sgpr_private_segment_size 0
		.amdhsa_wavefront_size32 1
		.amdhsa_uses_dynamic_stack 0
		.amdhsa_enable_private_segment 0
		.amdhsa_system_sgpr_workgroup_id_x 1
		.amdhsa_system_sgpr_workgroup_id_y 0
		.amdhsa_system_sgpr_workgroup_id_z 0
		.amdhsa_system_sgpr_workgroup_info 0
		.amdhsa_system_vgpr_workitem_id 0
		.amdhsa_next_free_vgpr 40
		.amdhsa_next_free_sgpr 24
		.amdhsa_reserve_vcc 1
		.amdhsa_float_round_mode_32 0
		.amdhsa_float_round_mode_16_64 0
		.amdhsa_float_denorm_mode_32 3
		.amdhsa_float_denorm_mode_16_64 3
		.amdhsa_dx10_clamp 1
		.amdhsa_ieee_mode 1
		.amdhsa_fp16_overflow 0
		.amdhsa_workgroup_processor_mode 1
		.amdhsa_memory_ordered 1
		.amdhsa_forward_progress 0
		.amdhsa_shared_vgpr_count 0
		.amdhsa_exception_fp_ieee_invalid_op 0
		.amdhsa_exception_fp_denorm_src 0
		.amdhsa_exception_fp_ieee_div_zero 0
		.amdhsa_exception_fp_ieee_overflow 0
		.amdhsa_exception_fp_ieee_underflow 0
		.amdhsa_exception_fp_ieee_inexact 0
		.amdhsa_exception_int_div_zero 0
	.end_amdhsa_kernel
	.section	.text._ZN2at6native12_GLOBAL__N_125multi_tensor_apply_kernelINS1_18TensorListMetadataILi2EEENS1_11CopyFunctorIN3c107complexIdEENS7_IfEELi2ELi1ELi1EEEJNS0_4CopyIS8_S9_EEEEEvT_T0_DpT1_,"axG",@progbits,_ZN2at6native12_GLOBAL__N_125multi_tensor_apply_kernelINS1_18TensorListMetadataILi2EEENS1_11CopyFunctorIN3c107complexIdEENS7_IfEELi2ELi1ELi1EEEJNS0_4CopyIS8_S9_EEEEEvT_T0_DpT1_,comdat
.Lfunc_end276:
	.size	_ZN2at6native12_GLOBAL__N_125multi_tensor_apply_kernelINS1_18TensorListMetadataILi2EEENS1_11CopyFunctorIN3c107complexIdEENS7_IfEELi2ELi1ELi1EEEJNS0_4CopyIS8_S9_EEEEEvT_T0_DpT1_, .Lfunc_end276-_ZN2at6native12_GLOBAL__N_125multi_tensor_apply_kernelINS1_18TensorListMetadataILi2EEENS1_11CopyFunctorIN3c107complexIdEENS7_IfEELi2ELi1ELi1EEEJNS0_4CopyIS8_S9_EEEEEvT_T0_DpT1_
                                        ; -- End function
	.section	.AMDGPU.csdata,"",@progbits
; Kernel info:
; codeLenInByte = 1540
; NumSgprs: 26
; NumVgprs: 40
; ScratchSize: 0
; MemoryBound: 0
; FloatMode: 240
; IeeeMode: 1
; LDSByteSize: 0 bytes/workgroup (compile time only)
; SGPRBlocks: 3
; VGPRBlocks: 4
; NumSGPRsForWavesPerEU: 26
; NumVGPRsForWavesPerEU: 40
; Occupancy: 16
; WaveLimiterHint : 0
; COMPUTE_PGM_RSRC2:SCRATCH_EN: 0
; COMPUTE_PGM_RSRC2:USER_SGPR: 15
; COMPUTE_PGM_RSRC2:TRAP_HANDLER: 0
; COMPUTE_PGM_RSRC2:TGID_X_EN: 1
; COMPUTE_PGM_RSRC2:TGID_Y_EN: 0
; COMPUTE_PGM_RSRC2:TGID_Z_EN: 0
; COMPUTE_PGM_RSRC2:TIDIG_COMP_CNT: 0
	.section	.text._ZN2at6native12_GLOBAL__N_125multi_tensor_apply_kernelINS1_18TensorListMetadataILi2EEENS1_11CopyFunctorIN3c107complexIdEENS6_4HalfELi2ELi1ELi1EEEJNS0_4CopyIS8_S9_EEEEEvT_T0_DpT1_,"axG",@progbits,_ZN2at6native12_GLOBAL__N_125multi_tensor_apply_kernelINS1_18TensorListMetadataILi2EEENS1_11CopyFunctorIN3c107complexIdEENS6_4HalfELi2ELi1ELi1EEEJNS0_4CopyIS8_S9_EEEEEvT_T0_DpT1_,comdat
	.globl	_ZN2at6native12_GLOBAL__N_125multi_tensor_apply_kernelINS1_18TensorListMetadataILi2EEENS1_11CopyFunctorIN3c107complexIdEENS6_4HalfELi2ELi1ELi1EEEJNS0_4CopyIS8_S9_EEEEEvT_T0_DpT1_ ; -- Begin function _ZN2at6native12_GLOBAL__N_125multi_tensor_apply_kernelINS1_18TensorListMetadataILi2EEENS1_11CopyFunctorIN3c107complexIdEENS6_4HalfELi2ELi1ELi1EEEJNS0_4CopyIS8_S9_EEEEEvT_T0_DpT1_
	.p2align	8
	.type	_ZN2at6native12_GLOBAL__N_125multi_tensor_apply_kernelINS1_18TensorListMetadataILi2EEENS1_11CopyFunctorIN3c107complexIdEENS6_4HalfELi2ELi1ELi1EEEJNS0_4CopyIS8_S9_EEEEEvT_T0_DpT1_,@function
_ZN2at6native12_GLOBAL__N_125multi_tensor_apply_kernelINS1_18TensorListMetadataILi2EEENS1_11CopyFunctorIN3c107complexIdEENS6_4HalfELi2ELi1ELi1EEEJNS0_4CopyIS8_S9_EEEEEvT_T0_DpT1_: ; @_ZN2at6native12_GLOBAL__N_125multi_tensor_apply_kernelINS1_18TensorListMetadataILi2EEENS1_11CopyFunctorIN3c107complexIdEENS6_4HalfELi2ELi1ELi1EEEJNS0_4CopyIS8_S9_EEEEEvT_T0_DpT1_
; %bb.0:
	v_mov_b32_e32 v1, s15
	s_add_u32 s2, s0, s15
	s_mul_hi_u32 s3, s15, 3
	s_mul_i32 s15, s15, 3
	s_addc_u32 s4, s1, 0
	global_load_u8 v1, v1, s[0:1] offset:1536
	s_add_u32 s2, s2, s15
	s_addc_u32 s3, s4, s3
	s_mov_b32 s19, 0
	s_load_b32 s4, s[2:3], 0x740
	s_mov_b32 s23, s19
	s_waitcnt vmcnt(0)
	v_readfirstlane_b32 s5, v1
	s_delay_alu instid0(VALU_DEP_1)
	s_lshl_b32 s5, s5, 3
	s_clause 0x2
	s_load_b64 s[2:3], s[0:1], s5 offset:0x0
	s_load_b64 s[6:7], s[0:1], s5 offset:0x200
	;; [unrolled: 1-line block ×3, first 2 shown]
	s_waitcnt lgkmcnt(0)
	s_ashr_i32 s5, s4, 31
	s_delay_alu instid0(SALU_CYCLE_1)
	s_lshl_b64 s[10:11], s[4:5], 17
	s_lshl_b64 s[20:21], s[4:5], 16
	s_add_u32 s12, s2, s10
	s_addc_u32 s13, s3, s11
	s_lshl_b64 s[8:9], s[4:5], 20
	s_mov_b32 s5, s19
	s_add_u32 s14, s6, s8
	s_addc_u32 s15, s7, s9
	s_and_b32 s22, s16, 3
	s_and_b32 s4, s14, 63
	;; [unrolled: 1-line block ×3, first 2 shown]
	s_or_b64 s[4:5], s[4:5], s[22:23]
	s_delay_alu instid0(SALU_CYCLE_1)
	s_or_b64 s[18:19], s[18:19], s[4:5]
	s_sub_u32 s4, s16, s20
	s_subb_u32 s5, s17, s21
	s_cmp_eq_u64 s[18:19], 0
	s_mov_b32 s16, -1
	s_cbranch_scc0 .LBB277_5
; %bb.1:
	v_dual_mov_b32 v3, 0 :: v_dual_lshlrev_b32 v2, 2, v0
	s_mov_b32 s16, exec_lo
	s_delay_alu instid0(VALU_DEP_1)
	v_cmpx_gt_i64_e64 s[4:5], v[2:3]
	s_cbranch_execz .LBB277_4
; %bb.2:
	s_load_b32 s17, s[0:1], 0xc5c
	s_waitcnt lgkmcnt(0)
	s_and_b32 s18, s17, 0xffff
	s_delay_alu instid0(SALU_CYCLE_1) | instskip(SKIP_3) | instid1(VALU_DEP_2)
	v_add_lshl_u32 v2, v0, s18, 2
	v_dual_mov_b32 v10, v3 :: v_dual_lshlrev_b32 v1, 3, v0
	s_lshl_b32 s17, s18, 2
	s_add_u32 s2, s2, s10
	v_dual_mov_b32 v9, v2 :: v_dual_lshlrev_b32 v4, 6, v0
	s_addc_u32 s3, s3, s11
	v_add_co_u32 v1, s2, s2, v1
	s_lshl_b32 s10, s18, 3
	v_add_co_ci_u32_e64 v8, null, s3, 0, s2
	s_add_u32 s6, s6, s8
	s_addc_u32 s2, s7, s9
	v_add_co_u32 v5, s3, s6, v4
	v_add_co_u32 v7, vcc_lo, v1, 4
	v_add_co_ci_u32_e64 v6, null, s2, 0, s3
	v_add_co_ci_u32_e32 v8, vcc_lo, 0, v8, vcc_lo
	s_mov_b32 s6, 0
	s_lshl_b32 s7, s18, 6
	s_set_inst_prefetch_distance 0x1
	.p2align	6
.LBB277_3:                              ; =>This Inner Loop Header: Depth=1
	global_load_b64 v[1:2], v[7:8], off offset:-4
	v_cmp_le_i64_e32 vcc_lo, s[4:5], v[9:10]
	v_cmp_lt_u64_e64 s2, 0xffff, v[9:10]
	v_mov_b32_e32 v14, v3
	v_mov_b32_e32 v17, v3
	;; [unrolled: 1-line block ×3, first 2 shown]
	v_add_co_u32 v9, s3, v9, s17
	v_mov_b32_e32 v21, v3
	v_mov_b32_e32 v22, v3
	v_add_co_ci_u32_e64 v10, s3, 0, v10, s3
	v_add_co_u32 v7, s3, v7, s10
	s_or_b32 s2, vcc_lo, s2
	v_add_co_ci_u32_e64 v8, s3, 0, v8, s3
	s_and_b32 s2, exec_lo, s2
	s_delay_alu instid0(SALU_CYCLE_1)
	s_or_b32 s6, s2, s6
	s_waitcnt vmcnt(0)
	v_lshrrev_b32_e32 v4, 16, v1
	v_lshrrev_b32_e32 v11, 16, v2
	v_cvt_f32_f16_e32 v2, v2
	v_cvt_f32_f16_e32 v1, v1
	s_delay_alu instid0(VALU_DEP_4) | instskip(NEXT) | instid1(VALU_DEP_4)
	v_cvt_f32_f16_e32 v4, v4
	v_cvt_f32_f16_e32 v13, v11
	s_delay_alu instid0(VALU_DEP_4) | instskip(NEXT) | instid1(VALU_DEP_4)
	v_cvt_f64_f32_e32 v[11:12], v2
	v_cvt_f64_f32_e32 v[1:2], v1
	s_delay_alu instid0(VALU_DEP_4) | instskip(NEXT) | instid1(VALU_DEP_4)
	v_cvt_f64_f32_e32 v[15:16], v4
	v_cvt_f64_f32_e32 v[19:20], v13
	v_mov_b32_e32 v13, v3
	v_mov_b32_e32 v4, v3
	s_clause 0x3
	global_store_b128 v[5:6], v[11:14], off offset:32
	global_store_b128 v[5:6], v[1:4], off
	global_store_b128 v[5:6], v[15:18], off offset:16
	global_store_b128 v[5:6], v[19:22], off offset:48
	v_add_co_u32 v5, vcc_lo, v5, s7
	v_add_co_ci_u32_e32 v6, vcc_lo, 0, v6, vcc_lo
	s_and_not1_b32 exec_lo, exec_lo, s6
	s_cbranch_execnz .LBB277_3
.LBB277_4:
	s_set_inst_prefetch_distance 0x2
	s_or_b32 exec_lo, exec_lo, s16
	s_mov_b32 s16, 0
.LBB277_5:
	s_delay_alu instid0(SALU_CYCLE_1)
	s_and_not1_b32 vcc_lo, exec_lo, s16
	s_cbranch_vccnz .LBB277_25
; %bb.6:
	v_cmp_lt_i64_e64 s2, s[4:5], 1
	s_delay_alu instid0(VALU_DEP_1)
	s_and_b32 vcc_lo, exec_lo, s2
	s_cbranch_vccnz .LBB277_25
; %bb.7:
	s_load_b32 s0, s[0:1], 0xc5c
	v_cmp_gt_u64_e64 s1, 0x10000, s[4:5]
                                        ; implicit-def: $vgpr29
                                        ; implicit-def: $vgpr30
                                        ; implicit-def: $vgpr31
                                        ; implicit-def: $vgpr32
	s_waitcnt lgkmcnt(0)
	s_and_b32 s0, s0, 0xffff
	s_delay_alu instid0(VALU_DEP_1) | instskip(SKIP_4) | instid1(VALU_DEP_2)
	s_and_b32 s1, s1, exec_lo
	v_add_co_u32 v19, s8, v0, s0
	v_mov_b32_e32 v3, 0
	s_mul_i32 s7, s0, 3
	s_cselect_b32 s3, s5, 0
	v_lshlrev_b32_e32 v24, 1, v19
	s_delay_alu instid0(VALU_DEP_2) | instskip(SKIP_3) | instid1(VALU_DEP_3)
	v_dual_mov_b32 v8, v3 :: v_dual_lshlrev_b32 v7, 4, v0
	v_dual_mov_b32 v6, v3 :: v_dual_lshlrev_b32 v5, 1, v0
	s_cselect_b32 s2, s4, 0x10000
	v_add_co_ci_u32_e64 v20, null, 0, 0, s8
	v_mad_u64_u32 v[11:12], null, s0, 48, v[7:8]
	s_delay_alu instid0(VALU_DEP_3) | instskip(SKIP_2) | instid1(VALU_DEP_1)
	v_mad_u64_u32 v[9:10], null, s0, 6, v[5:6]
	s_lshl_b32 s8, s0, 5
	v_add_co_u32 v6, s7, s7, v0
	v_add_co_ci_u32_e64 v8, null, 0, 0, s7
	v_add_co_u32 v1, s7, s8, v7
	s_lshl_b32 s6, s0, 1
	s_lshl_b32 s1, s0, 2
	v_add_co_u32 v27, s6, s6, v0
	v_add_co_u32 v22, s8, s1, v5
	v_lshlrev_b32_e32 v21, 4, v19
	v_or_b32_e32 v11, 8, v11
	v_add_co_ci_u32_e64 v23, null, 0, 0, s8
	v_add_co_ci_u32_e64 v25, null, 0, 0, s7
	v_or_b32_e32 v26, 8, v1
	v_add_co_ci_u32_e64 v28, null, 0, 0, s6
	s_lshl_b32 s8, s0, 3
	s_lshl_b32 s9, s0, 6
	s_mov_b64 s[6:7], 0
	s_branch .LBB277_9
.LBB277_8:                              ;   in Loop: Header=BB277_9 Depth=1
	s_or_b32 exec_lo, exec_lo, s0
	s_add_u32 s6, s6, s1
	s_addc_u32 s7, s7, 0
	s_delay_alu instid0(SALU_CYCLE_1) | instskip(SKIP_1) | instid1(VALU_DEP_1)
	v_cmp_ge_i64_e64 s0, s[6:7], s[4:5]
	v_cmp_lt_u64_e64 s10, 0xffff, s[6:7]
	s_or_b32 s0, s0, s10
	s_add_u32 s12, s12, s8
	s_addc_u32 s13, s13, 0
	s_add_u32 s14, s14, s9
	s_addc_u32 s15, s15, 0
	s_and_b32 vcc_lo, exec_lo, s0
	s_cbranch_vccnz .LBB277_25
.LBB277_9:                              ; =>This Inner Loop Header: Depth=1
	v_add_co_u32 v1, s0, v0, s6
	s_delay_alu instid0(VALU_DEP_1) | instskip(NEXT) | instid1(VALU_DEP_1)
	v_add_co_ci_u32_e64 v2, null, 0, s7, s0
	v_cmp_gt_i64_e32 vcc_lo, s[4:5], v[1:2]
	v_cmp_gt_u64_e64 s0, 0x10000, v[1:2]
	s_delay_alu instid0(VALU_DEP_1) | instskip(NEXT) | instid1(SALU_CYCLE_1)
	s_and_b32 s10, vcc_lo, s0
	s_and_saveexec_b32 s0, s10
	s_cbranch_execz .LBB277_11
; %bb.10:                               ;   in Loop: Header=BB277_9 Depth=1
	v_add_co_u32 v13, s10, s12, v5
	s_delay_alu instid0(VALU_DEP_1)
	v_add_co_ci_u32_e64 v14, null, s13, 0, s10
	global_load_u16 v32, v[13:14], off
.LBB277_11:                             ;   in Loop: Header=BB277_9 Depth=1
	s_or_b32 exec_lo, exec_lo, s0
	v_add_co_u32 v13, vcc_lo, v19, s6
	v_add_co_ci_u32_e32 v14, vcc_lo, s7, v20, vcc_lo
	s_delay_alu instid0(VALU_DEP_1) | instskip(SKIP_1) | instid1(VALU_DEP_1)
	v_cmp_gt_i64_e32 vcc_lo, s[4:5], v[13:14]
	v_cmp_gt_u64_e64 s0, 0x10000, v[13:14]
	s_and_b32 s10, vcc_lo, s0
	s_delay_alu instid0(SALU_CYCLE_1)
	s_and_saveexec_b32 s0, s10
	s_cbranch_execz .LBB277_13
; %bb.12:                               ;   in Loop: Header=BB277_9 Depth=1
	v_add_co_u32 v15, s10, s12, v24
	s_delay_alu instid0(VALU_DEP_1)
	v_add_co_ci_u32_e64 v16, null, s13, 0, s10
	global_load_u16 v31, v[15:16], off
.LBB277_13:                             ;   in Loop: Header=BB277_9 Depth=1
	s_or_b32 exec_lo, exec_lo, s0
	v_add_co_u32 v15, vcc_lo, v27, s6
	v_add_co_ci_u32_e32 v16, vcc_lo, s7, v28, vcc_lo
	s_delay_alu instid0(VALU_DEP_1) | instskip(SKIP_1) | instid1(VALU_DEP_1)
	v_cmp_gt_i64_e32 vcc_lo, s[4:5], v[15:16]
	v_cmp_gt_u64_e64 s0, 0x10000, v[15:16]
	s_and_b32 s10, vcc_lo, s0
	s_delay_alu instid0(SALU_CYCLE_1)
	s_and_saveexec_b32 s0, s10
	s_cbranch_execz .LBB277_15
; %bb.14:                               ;   in Loop: Header=BB277_9 Depth=1
	v_add_co_u32 v17, vcc_lo, s12, v22
	v_add_co_ci_u32_e32 v18, vcc_lo, s13, v23, vcc_lo
	global_load_u16 v30, v[17:18], off
.LBB277_15:                             ;   in Loop: Header=BB277_9 Depth=1
	s_or_b32 exec_lo, exec_lo, s0
	v_add_co_u32 v17, vcc_lo, v6, s6
	v_add_co_ci_u32_e32 v18, vcc_lo, s7, v8, vcc_lo
	s_delay_alu instid0(VALU_DEP_1) | instskip(SKIP_1) | instid1(VALU_DEP_1)
	v_cmp_gt_i64_e32 vcc_lo, s[4:5], v[17:18]
	v_cmp_gt_u64_e64 s0, 0x10000, v[17:18]
	s_and_b32 s10, vcc_lo, s0
	s_delay_alu instid0(SALU_CYCLE_1)
	s_and_saveexec_b32 s0, s10
	s_cbranch_execnz .LBB277_20
; %bb.16:                               ;   in Loop: Header=BB277_9 Depth=1
	s_or_b32 exec_lo, exec_lo, s0
	s_delay_alu instid0(SALU_CYCLE_1)
	s_mov_b32 s0, exec_lo
	v_cmpx_gt_u64_e64 s[2:3], v[1:2]
	s_cbranch_execnz .LBB277_21
.LBB277_17:                             ;   in Loop: Header=BB277_9 Depth=1
	s_or_b32 exec_lo, exec_lo, s0
	s_delay_alu instid0(SALU_CYCLE_1)
	s_mov_b32 s0, exec_lo
	v_cmpx_gt_u64_e64 s[2:3], v[13:14]
	s_cbranch_execnz .LBB277_22
.LBB277_18:                             ;   in Loop: Header=BB277_9 Depth=1
	s_or_b32 exec_lo, exec_lo, s0
	s_delay_alu instid0(SALU_CYCLE_1)
	s_mov_b32 s0, exec_lo
	v_cmpx_gt_u64_e64 s[2:3], v[15:16]
	s_cbranch_execnz .LBB277_23
.LBB277_19:                             ;   in Loop: Header=BB277_9 Depth=1
	s_or_b32 exec_lo, exec_lo, s0
	s_delay_alu instid0(SALU_CYCLE_1)
	s_mov_b32 s0, exec_lo
	v_cmpx_gt_u64_e64 s[2:3], v[17:18]
	s_cbranch_execz .LBB277_8
	s_branch .LBB277_24
.LBB277_20:                             ;   in Loop: Header=BB277_9 Depth=1
	v_add_co_u32 v33, vcc_lo, s12, v9
	v_add_co_ci_u32_e32 v34, vcc_lo, s13, v10, vcc_lo
	global_load_u16 v29, v[33:34], off
	s_or_b32 exec_lo, exec_lo, s0
	s_delay_alu instid0(SALU_CYCLE_1)
	s_mov_b32 s0, exec_lo
	v_cmpx_gt_u64_e64 s[2:3], v[1:2]
	s_cbranch_execz .LBB277_17
.LBB277_21:                             ;   in Loop: Header=BB277_9 Depth=1
	s_waitcnt vmcnt(0)
	v_cvt_f32_f16_e32 v1, v32
	v_add_co_u32 v33, s10, s14, v7
	s_delay_alu instid0(VALU_DEP_1) | instskip(NEXT) | instid1(VALU_DEP_3)
	v_add_co_ci_u32_e64 v34, null, s15, 0, s10
	v_cvt_f64_f32_e32 v[1:2], v1
	v_mov_b32_e32 v4, v3
	global_store_b128 v[33:34], v[1:4], off
	s_or_b32 exec_lo, exec_lo, s0
	s_delay_alu instid0(SALU_CYCLE_1)
	s_mov_b32 s0, exec_lo
	v_cmpx_gt_u64_e64 s[2:3], v[13:14]
	s_cbranch_execz .LBB277_18
.LBB277_22:                             ;   in Loop: Header=BB277_9 Depth=1
	s_waitcnt vmcnt(0)
	v_cvt_f32_f16_e32 v1, v31
	v_add_co_u32 v13, s10, s14, v21
	s_delay_alu instid0(VALU_DEP_1) | instskip(NEXT) | instid1(VALU_DEP_3)
	v_add_co_ci_u32_e64 v14, null, s15, 0, s10
	v_cvt_f64_f32_e32 v[1:2], v1
	v_mov_b32_e32 v4, v3
	global_store_b128 v[13:14], v[1:4], off
	s_or_b32 exec_lo, exec_lo, s0
	s_delay_alu instid0(SALU_CYCLE_1)
	s_mov_b32 s0, exec_lo
	v_cmpx_gt_u64_e64 s[2:3], v[15:16]
	s_cbranch_execz .LBB277_19
.LBB277_23:                             ;   in Loop: Header=BB277_9 Depth=1
	s_waitcnt vmcnt(0)
	v_cvt_f32_f16_e32 v1, v30
	v_add_co_u32 v13, vcc_lo, s14, v26
	v_add_co_ci_u32_e32 v14, vcc_lo, s15, v25, vcc_lo
	s_delay_alu instid0(VALU_DEP_3) | instskip(SKIP_3) | instid1(SALU_CYCLE_1)
	v_cvt_f64_f32_e32 v[1:2], v1
	v_mov_b32_e32 v4, v3
	global_store_b128 v[13:14], v[1:4], off offset:-8
	s_or_b32 exec_lo, exec_lo, s0
	s_mov_b32 s0, exec_lo
	v_cmpx_gt_u64_e64 s[2:3], v[17:18]
	s_cbranch_execz .LBB277_8
.LBB277_24:                             ;   in Loop: Header=BB277_9 Depth=1
	s_waitcnt vmcnt(0)
	v_cvt_f32_f16_e32 v1, v29
	v_add_co_u32 v13, vcc_lo, s14, v11
	v_add_co_ci_u32_e32 v14, vcc_lo, s15, v12, vcc_lo
	s_delay_alu instid0(VALU_DEP_3)
	v_cvt_f64_f32_e32 v[1:2], v1
	v_mov_b32_e32 v4, v3
	global_store_b128 v[13:14], v[1:4], off offset:-8
	s_branch .LBB277_8
.LBB277_25:
	s_nop 0
	s_sendmsg sendmsg(MSG_DEALLOC_VGPRS)
	s_endpgm
	.section	.rodata,"a",@progbits
	.p2align	6, 0x0
	.amdhsa_kernel _ZN2at6native12_GLOBAL__N_125multi_tensor_apply_kernelINS1_18TensorListMetadataILi2EEENS1_11CopyFunctorIN3c107complexIdEENS6_4HalfELi2ELi1ELi1EEEJNS0_4CopyIS8_S9_EEEEEvT_T0_DpT1_
		.amdhsa_group_segment_fixed_size 0
		.amdhsa_private_segment_fixed_size 0
		.amdhsa_kernarg_size 3408
		.amdhsa_user_sgpr_count 15
		.amdhsa_user_sgpr_dispatch_ptr 0
		.amdhsa_user_sgpr_queue_ptr 0
		.amdhsa_user_sgpr_kernarg_segment_ptr 1
		.amdhsa_user_sgpr_dispatch_id 0
		.amdhsa_user_sgpr_private_segment_size 0
		.amdhsa_wavefront_size32 1
		.amdhsa_uses_dynamic_stack 0
		.amdhsa_enable_private_segment 0
		.amdhsa_system_sgpr_workgroup_id_x 1
		.amdhsa_system_sgpr_workgroup_id_y 0
		.amdhsa_system_sgpr_workgroup_id_z 0
		.amdhsa_system_sgpr_workgroup_info 0
		.amdhsa_system_vgpr_workitem_id 0
		.amdhsa_next_free_vgpr 35
		.amdhsa_next_free_sgpr 24
		.amdhsa_reserve_vcc 1
		.amdhsa_float_round_mode_32 0
		.amdhsa_float_round_mode_16_64 0
		.amdhsa_float_denorm_mode_32 3
		.amdhsa_float_denorm_mode_16_64 3
		.amdhsa_dx10_clamp 1
		.amdhsa_ieee_mode 1
		.amdhsa_fp16_overflow 0
		.amdhsa_workgroup_processor_mode 1
		.amdhsa_memory_ordered 1
		.amdhsa_forward_progress 0
		.amdhsa_shared_vgpr_count 0
		.amdhsa_exception_fp_ieee_invalid_op 0
		.amdhsa_exception_fp_denorm_src 0
		.amdhsa_exception_fp_ieee_div_zero 0
		.amdhsa_exception_fp_ieee_overflow 0
		.amdhsa_exception_fp_ieee_underflow 0
		.amdhsa_exception_fp_ieee_inexact 0
		.amdhsa_exception_int_div_zero 0
	.end_amdhsa_kernel
	.section	.text._ZN2at6native12_GLOBAL__N_125multi_tensor_apply_kernelINS1_18TensorListMetadataILi2EEENS1_11CopyFunctorIN3c107complexIdEENS6_4HalfELi2ELi1ELi1EEEJNS0_4CopyIS8_S9_EEEEEvT_T0_DpT1_,"axG",@progbits,_ZN2at6native12_GLOBAL__N_125multi_tensor_apply_kernelINS1_18TensorListMetadataILi2EEENS1_11CopyFunctorIN3c107complexIdEENS6_4HalfELi2ELi1ELi1EEEJNS0_4CopyIS8_S9_EEEEEvT_T0_DpT1_,comdat
.Lfunc_end277:
	.size	_ZN2at6native12_GLOBAL__N_125multi_tensor_apply_kernelINS1_18TensorListMetadataILi2EEENS1_11CopyFunctorIN3c107complexIdEENS6_4HalfELi2ELi1ELi1EEEJNS0_4CopyIS8_S9_EEEEEvT_T0_DpT1_, .Lfunc_end277-_ZN2at6native12_GLOBAL__N_125multi_tensor_apply_kernelINS1_18TensorListMetadataILi2EEENS1_11CopyFunctorIN3c107complexIdEENS6_4HalfELi2ELi1ELi1EEEJNS0_4CopyIS8_S9_EEEEEvT_T0_DpT1_
                                        ; -- End function
	.section	.AMDGPU.csdata,"",@progbits
; Kernel info:
; codeLenInByte = 1564
; NumSgprs: 26
; NumVgprs: 35
; ScratchSize: 0
; MemoryBound: 0
; FloatMode: 240
; IeeeMode: 1
; LDSByteSize: 0 bytes/workgroup (compile time only)
; SGPRBlocks: 3
; VGPRBlocks: 4
; NumSGPRsForWavesPerEU: 26
; NumVGPRsForWavesPerEU: 35
; Occupancy: 16
; WaveLimiterHint : 0
; COMPUTE_PGM_RSRC2:SCRATCH_EN: 0
; COMPUTE_PGM_RSRC2:USER_SGPR: 15
; COMPUTE_PGM_RSRC2:TRAP_HANDLER: 0
; COMPUTE_PGM_RSRC2:TGID_X_EN: 1
; COMPUTE_PGM_RSRC2:TGID_Y_EN: 0
; COMPUTE_PGM_RSRC2:TGID_Z_EN: 0
; COMPUTE_PGM_RSRC2:TIDIG_COMP_CNT: 0
	.section	.text._ZN2at6native12_GLOBAL__N_125multi_tensor_apply_kernelINS1_18TensorListMetadataILi2EEENS1_11CopyFunctorIN3c107complexIdEENS6_8BFloat16ELi2ELi1ELi1EEEJNS0_4CopyIS8_S9_EEEEEvT_T0_DpT1_,"axG",@progbits,_ZN2at6native12_GLOBAL__N_125multi_tensor_apply_kernelINS1_18TensorListMetadataILi2EEENS1_11CopyFunctorIN3c107complexIdEENS6_8BFloat16ELi2ELi1ELi1EEEJNS0_4CopyIS8_S9_EEEEEvT_T0_DpT1_,comdat
	.globl	_ZN2at6native12_GLOBAL__N_125multi_tensor_apply_kernelINS1_18TensorListMetadataILi2EEENS1_11CopyFunctorIN3c107complexIdEENS6_8BFloat16ELi2ELi1ELi1EEEJNS0_4CopyIS8_S9_EEEEEvT_T0_DpT1_ ; -- Begin function _ZN2at6native12_GLOBAL__N_125multi_tensor_apply_kernelINS1_18TensorListMetadataILi2EEENS1_11CopyFunctorIN3c107complexIdEENS6_8BFloat16ELi2ELi1ELi1EEEJNS0_4CopyIS8_S9_EEEEEvT_T0_DpT1_
	.p2align	8
	.type	_ZN2at6native12_GLOBAL__N_125multi_tensor_apply_kernelINS1_18TensorListMetadataILi2EEENS1_11CopyFunctorIN3c107complexIdEENS6_8BFloat16ELi2ELi1ELi1EEEJNS0_4CopyIS8_S9_EEEEEvT_T0_DpT1_,@function
_ZN2at6native12_GLOBAL__N_125multi_tensor_apply_kernelINS1_18TensorListMetadataILi2EEENS1_11CopyFunctorIN3c107complexIdEENS6_8BFloat16ELi2ELi1ELi1EEEJNS0_4CopyIS8_S9_EEEEEvT_T0_DpT1_: ; @_ZN2at6native12_GLOBAL__N_125multi_tensor_apply_kernelINS1_18TensorListMetadataILi2EEENS1_11CopyFunctorIN3c107complexIdEENS6_8BFloat16ELi2ELi1ELi1EEEJNS0_4CopyIS8_S9_EEEEEvT_T0_DpT1_
; %bb.0:
	v_mov_b32_e32 v1, s15
	s_add_u32 s2, s0, s15
	s_mul_hi_u32 s3, s15, 3
	s_mul_i32 s15, s15, 3
	s_addc_u32 s4, s1, 0
	global_load_u8 v1, v1, s[0:1] offset:1536
	s_add_u32 s2, s2, s15
	s_addc_u32 s3, s4, s3
	s_mov_b32 s19, 0
	s_load_b32 s4, s[2:3], 0x740
	s_mov_b32 s23, s19
	s_waitcnt vmcnt(0)
	v_readfirstlane_b32 s5, v1
	s_delay_alu instid0(VALU_DEP_1)
	s_lshl_b32 s5, s5, 3
	s_clause 0x2
	s_load_b64 s[2:3], s[0:1], s5 offset:0x0
	s_load_b64 s[6:7], s[0:1], s5 offset:0x200
	;; [unrolled: 1-line block ×3, first 2 shown]
	s_waitcnt lgkmcnt(0)
	s_ashr_i32 s5, s4, 31
	s_delay_alu instid0(SALU_CYCLE_1)
	s_lshl_b64 s[10:11], s[4:5], 17
	s_lshl_b64 s[20:21], s[4:5], 16
	s_add_u32 s12, s2, s10
	s_addc_u32 s13, s3, s11
	s_lshl_b64 s[8:9], s[4:5], 20
	s_mov_b32 s5, s19
	s_add_u32 s14, s6, s8
	s_addc_u32 s15, s7, s9
	s_and_b32 s22, s16, 3
	s_and_b32 s4, s14, 63
	;; [unrolled: 1-line block ×3, first 2 shown]
	s_or_b64 s[4:5], s[4:5], s[22:23]
	s_delay_alu instid0(SALU_CYCLE_1)
	s_or_b64 s[18:19], s[18:19], s[4:5]
	s_sub_u32 s4, s16, s20
	s_subb_u32 s5, s17, s21
	s_cmp_eq_u64 s[18:19], 0
	s_mov_b32 s16, -1
	s_cbranch_scc0 .LBB278_5
; %bb.1:
	v_dual_mov_b32 v3, 0 :: v_dual_lshlrev_b32 v2, 2, v0
	s_mov_b32 s16, exec_lo
	s_delay_alu instid0(VALU_DEP_1)
	v_cmpx_gt_i64_e64 s[4:5], v[2:3]
	s_cbranch_execz .LBB278_4
; %bb.2:
	s_load_b32 s17, s[0:1], 0xc5c
	s_waitcnt lgkmcnt(0)
	s_and_b32 s17, s17, 0xffff
	s_add_u32 s2, s2, s10
	v_add_lshl_u32 v2, v0, s17, 2
	v_dual_mov_b32 v10, v3 :: v_dual_lshlrev_b32 v1, 3, v0
	v_lshlrev_b32_e32 v4, 6, v0
	s_addc_u32 s3, s3, s11
	s_delay_alu instid0(VALU_DEP_3) | instskip(SKIP_4) | instid1(VALU_DEP_1)
	v_mov_b32_e32 v9, v2
	s_lshl_b32 s10, s17, 3
	s_lshl_b32 s11, s17, 2
	s_add_u32 s6, s6, s8
	v_add_co_u32 v5, s2, s2, v1
	v_add_co_ci_u32_e64 v6, null, s3, 0, s2
	s_addc_u32 s2, s7, s9
	v_add_co_u32 v7, s3, s6, v4
	s_delay_alu instid0(VALU_DEP_1)
	v_add_co_ci_u32_e64 v8, null, s2, 0, s3
	s_mov_b32 s6, 0
	s_lshl_b32 s7, s17, 6
.LBB278_3:                              ; =>This Inner Loop Header: Depth=1
	global_load_b64 v[1:2], v[5:6], off
	v_cmp_le_i64_e32 vcc_lo, s[4:5], v[9:10]
	v_cmp_lt_u64_e64 s2, 0xffff, v[9:10]
	v_mov_b32_e32 v22, v3
	v_add_co_u32 v5, s3, v5, s10
	v_mov_b32_e32 v17, v3
	v_mov_b32_e32 v18, v3
	v_add_co_ci_u32_e64 v6, s3, 0, v6, s3
	v_add_co_u32 v9, s3, v9, s11
	s_or_b32 s2, vcc_lo, s2
	v_add_co_ci_u32_e64 v10, s3, 0, v10, s3
	s_and_b32 s2, exec_lo, s2
	v_mov_b32_e32 v14, v3
	s_or_b32 s6, s2, s6
	v_mov_b32_e32 v21, v3
	s_waitcnt vmcnt(0)
	v_alignbit_b32 v4, v2, v1, 16
	v_lshlrev_b32_e32 v11, 16, v1
	v_and_b32_e32 v12, 0xffff0000, v1
	v_and_b32_e32 v13, 0xffff0000, v2
	s_delay_alu instid0(VALU_DEP_4) | instskip(NEXT) | instid1(VALU_DEP_2)
	v_and_b32_e32 v4, 0xffff0000, v4
	v_cvt_f64_f32_e32 v[15:16], v13
	v_mov_b32_e32 v13, v3
	s_delay_alu instid0(VALU_DEP_3)
	v_cvt_f64_f32_e32 v[19:20], v4
	v_mov_b32_e32 v4, v3
	v_cvt_f64_f32_e32 v[1:2], v11
	v_cvt_f64_f32_e32 v[11:12], v12
	s_clause 0x3
	global_store_b128 v[7:8], v[1:4], off
	global_store_b128 v[7:8], v[11:14], off offset:16
	global_store_b128 v[7:8], v[19:22], off offset:32
	;; [unrolled: 1-line block ×3, first 2 shown]
	v_add_co_u32 v7, vcc_lo, v7, s7
	v_add_co_ci_u32_e32 v8, vcc_lo, 0, v8, vcc_lo
	s_and_not1_b32 exec_lo, exec_lo, s6
	s_cbranch_execnz .LBB278_3
.LBB278_4:
	s_or_b32 exec_lo, exec_lo, s16
	s_mov_b32 s16, 0
.LBB278_5:
	s_delay_alu instid0(SALU_CYCLE_1)
	s_and_not1_b32 vcc_lo, exec_lo, s16
	s_cbranch_vccnz .LBB278_25
; %bb.6:
	v_cmp_lt_i64_e64 s2, s[4:5], 1
	s_delay_alu instid0(VALU_DEP_1)
	s_and_b32 vcc_lo, exec_lo, s2
	s_cbranch_vccnz .LBB278_25
; %bb.7:
	s_load_b32 s0, s[0:1], 0xc5c
	v_cmp_gt_u64_e64 s1, 0x10000, s[4:5]
                                        ; implicit-def: $vgpr29
                                        ; implicit-def: $vgpr30
                                        ; implicit-def: $vgpr31
                                        ; implicit-def: $vgpr32
	s_waitcnt lgkmcnt(0)
	s_and_b32 s0, s0, 0xffff
	s_delay_alu instid0(VALU_DEP_1) | instskip(SKIP_4) | instid1(VALU_DEP_2)
	s_and_b32 s1, s1, exec_lo
	v_add_co_u32 v19, s8, v0, s0
	v_mov_b32_e32 v3, 0
	s_mul_i32 s7, s0, 3
	s_cselect_b32 s3, s5, 0
	v_lshlrev_b32_e32 v24, 1, v19
	s_delay_alu instid0(VALU_DEP_2) | instskip(SKIP_3) | instid1(VALU_DEP_3)
	v_dual_mov_b32 v8, v3 :: v_dual_lshlrev_b32 v7, 4, v0
	v_dual_mov_b32 v6, v3 :: v_dual_lshlrev_b32 v5, 1, v0
	s_cselect_b32 s2, s4, 0x10000
	v_add_co_ci_u32_e64 v20, null, 0, 0, s8
	v_mad_u64_u32 v[11:12], null, s0, 48, v[7:8]
	s_delay_alu instid0(VALU_DEP_3) | instskip(SKIP_2) | instid1(VALU_DEP_1)
	v_mad_u64_u32 v[9:10], null, s0, 6, v[5:6]
	s_lshl_b32 s8, s0, 5
	v_add_co_u32 v6, s7, s7, v0
	v_add_co_ci_u32_e64 v8, null, 0, 0, s7
	v_add_co_u32 v1, s7, s8, v7
	s_lshl_b32 s6, s0, 1
	s_lshl_b32 s1, s0, 2
	v_add_co_u32 v27, s6, s6, v0
	v_add_co_u32 v22, s8, s1, v5
	v_lshlrev_b32_e32 v21, 4, v19
	v_or_b32_e32 v11, 8, v11
	v_add_co_ci_u32_e64 v23, null, 0, 0, s8
	v_add_co_ci_u32_e64 v25, null, 0, 0, s7
	v_or_b32_e32 v26, 8, v1
	v_add_co_ci_u32_e64 v28, null, 0, 0, s6
	s_lshl_b32 s8, s0, 3
	s_lshl_b32 s9, s0, 6
	s_mov_b64 s[6:7], 0
	s_branch .LBB278_9
.LBB278_8:                              ;   in Loop: Header=BB278_9 Depth=1
	s_or_b32 exec_lo, exec_lo, s0
	s_add_u32 s6, s6, s1
	s_addc_u32 s7, s7, 0
	s_delay_alu instid0(SALU_CYCLE_1) | instskip(SKIP_1) | instid1(VALU_DEP_1)
	v_cmp_ge_i64_e64 s0, s[6:7], s[4:5]
	v_cmp_lt_u64_e64 s10, 0xffff, s[6:7]
	s_or_b32 s0, s0, s10
	s_add_u32 s12, s12, s8
	s_addc_u32 s13, s13, 0
	s_add_u32 s14, s14, s9
	s_addc_u32 s15, s15, 0
	s_and_b32 vcc_lo, exec_lo, s0
	s_cbranch_vccnz .LBB278_25
.LBB278_9:                              ; =>This Inner Loop Header: Depth=1
	v_add_co_u32 v1, s0, v0, s6
	s_delay_alu instid0(VALU_DEP_1) | instskip(NEXT) | instid1(VALU_DEP_1)
	v_add_co_ci_u32_e64 v2, null, 0, s7, s0
	v_cmp_gt_i64_e32 vcc_lo, s[4:5], v[1:2]
	v_cmp_gt_u64_e64 s0, 0x10000, v[1:2]
	s_delay_alu instid0(VALU_DEP_1) | instskip(NEXT) | instid1(SALU_CYCLE_1)
	s_and_b32 s10, vcc_lo, s0
	s_and_saveexec_b32 s0, s10
	s_cbranch_execz .LBB278_11
; %bb.10:                               ;   in Loop: Header=BB278_9 Depth=1
	v_add_co_u32 v13, s10, s12, v5
	s_delay_alu instid0(VALU_DEP_1)
	v_add_co_ci_u32_e64 v14, null, s13, 0, s10
	global_load_u16 v32, v[13:14], off
.LBB278_11:                             ;   in Loop: Header=BB278_9 Depth=1
	s_or_b32 exec_lo, exec_lo, s0
	v_add_co_u32 v13, vcc_lo, v19, s6
	v_add_co_ci_u32_e32 v14, vcc_lo, s7, v20, vcc_lo
	s_delay_alu instid0(VALU_DEP_1) | instskip(SKIP_1) | instid1(VALU_DEP_1)
	v_cmp_gt_i64_e32 vcc_lo, s[4:5], v[13:14]
	v_cmp_gt_u64_e64 s0, 0x10000, v[13:14]
	s_and_b32 s10, vcc_lo, s0
	s_delay_alu instid0(SALU_CYCLE_1)
	s_and_saveexec_b32 s0, s10
	s_cbranch_execz .LBB278_13
; %bb.12:                               ;   in Loop: Header=BB278_9 Depth=1
	v_add_co_u32 v15, s10, s12, v24
	s_delay_alu instid0(VALU_DEP_1)
	v_add_co_ci_u32_e64 v16, null, s13, 0, s10
	global_load_u16 v31, v[15:16], off
.LBB278_13:                             ;   in Loop: Header=BB278_9 Depth=1
	s_or_b32 exec_lo, exec_lo, s0
	v_add_co_u32 v15, vcc_lo, v27, s6
	v_add_co_ci_u32_e32 v16, vcc_lo, s7, v28, vcc_lo
	s_delay_alu instid0(VALU_DEP_1) | instskip(SKIP_1) | instid1(VALU_DEP_1)
	v_cmp_gt_i64_e32 vcc_lo, s[4:5], v[15:16]
	v_cmp_gt_u64_e64 s0, 0x10000, v[15:16]
	s_and_b32 s10, vcc_lo, s0
	s_delay_alu instid0(SALU_CYCLE_1)
	s_and_saveexec_b32 s0, s10
	s_cbranch_execz .LBB278_15
; %bb.14:                               ;   in Loop: Header=BB278_9 Depth=1
	v_add_co_u32 v17, vcc_lo, s12, v22
	v_add_co_ci_u32_e32 v18, vcc_lo, s13, v23, vcc_lo
	global_load_u16 v30, v[17:18], off
.LBB278_15:                             ;   in Loop: Header=BB278_9 Depth=1
	s_or_b32 exec_lo, exec_lo, s0
	v_add_co_u32 v17, vcc_lo, v6, s6
	v_add_co_ci_u32_e32 v18, vcc_lo, s7, v8, vcc_lo
	s_delay_alu instid0(VALU_DEP_1) | instskip(SKIP_1) | instid1(VALU_DEP_1)
	v_cmp_gt_i64_e32 vcc_lo, s[4:5], v[17:18]
	v_cmp_gt_u64_e64 s0, 0x10000, v[17:18]
	s_and_b32 s10, vcc_lo, s0
	s_delay_alu instid0(SALU_CYCLE_1)
	s_and_saveexec_b32 s0, s10
	s_cbranch_execnz .LBB278_20
; %bb.16:                               ;   in Loop: Header=BB278_9 Depth=1
	s_or_b32 exec_lo, exec_lo, s0
	s_delay_alu instid0(SALU_CYCLE_1)
	s_mov_b32 s0, exec_lo
	v_cmpx_gt_u64_e64 s[2:3], v[1:2]
	s_cbranch_execnz .LBB278_21
.LBB278_17:                             ;   in Loop: Header=BB278_9 Depth=1
	s_or_b32 exec_lo, exec_lo, s0
	s_delay_alu instid0(SALU_CYCLE_1)
	s_mov_b32 s0, exec_lo
	v_cmpx_gt_u64_e64 s[2:3], v[13:14]
	s_cbranch_execnz .LBB278_22
.LBB278_18:                             ;   in Loop: Header=BB278_9 Depth=1
	s_or_b32 exec_lo, exec_lo, s0
	s_delay_alu instid0(SALU_CYCLE_1)
	s_mov_b32 s0, exec_lo
	v_cmpx_gt_u64_e64 s[2:3], v[15:16]
	s_cbranch_execnz .LBB278_23
.LBB278_19:                             ;   in Loop: Header=BB278_9 Depth=1
	s_or_b32 exec_lo, exec_lo, s0
	s_delay_alu instid0(SALU_CYCLE_1)
	s_mov_b32 s0, exec_lo
	v_cmpx_gt_u64_e64 s[2:3], v[17:18]
	s_cbranch_execz .LBB278_8
	s_branch .LBB278_24
.LBB278_20:                             ;   in Loop: Header=BB278_9 Depth=1
	v_add_co_u32 v33, vcc_lo, s12, v9
	v_add_co_ci_u32_e32 v34, vcc_lo, s13, v10, vcc_lo
	global_load_u16 v29, v[33:34], off
	s_or_b32 exec_lo, exec_lo, s0
	s_delay_alu instid0(SALU_CYCLE_1)
	s_mov_b32 s0, exec_lo
	v_cmpx_gt_u64_e64 s[2:3], v[1:2]
	s_cbranch_execz .LBB278_17
.LBB278_21:                             ;   in Loop: Header=BB278_9 Depth=1
	s_waitcnt vmcnt(0)
	v_dual_mov_b32 v4, v3 :: v_dual_lshlrev_b32 v1, 16, v32
	v_add_co_u32 v33, s10, s14, v7
	s_delay_alu instid0(VALU_DEP_1) | instskip(NEXT) | instid1(VALU_DEP_3)
	v_add_co_ci_u32_e64 v34, null, s15, 0, s10
	v_cvt_f64_f32_e32 v[1:2], v1
	global_store_b128 v[33:34], v[1:4], off
	s_or_b32 exec_lo, exec_lo, s0
	s_delay_alu instid0(SALU_CYCLE_1)
	s_mov_b32 s0, exec_lo
	v_cmpx_gt_u64_e64 s[2:3], v[13:14]
	s_cbranch_execz .LBB278_18
.LBB278_22:                             ;   in Loop: Header=BB278_9 Depth=1
	s_waitcnt vmcnt(0)
	v_dual_mov_b32 v4, v3 :: v_dual_lshlrev_b32 v1, 16, v31
	v_add_co_u32 v13, s10, s14, v21
	s_delay_alu instid0(VALU_DEP_1) | instskip(NEXT) | instid1(VALU_DEP_3)
	v_add_co_ci_u32_e64 v14, null, s15, 0, s10
	v_cvt_f64_f32_e32 v[1:2], v1
	global_store_b128 v[13:14], v[1:4], off
	s_or_b32 exec_lo, exec_lo, s0
	s_delay_alu instid0(SALU_CYCLE_1)
	s_mov_b32 s0, exec_lo
	v_cmpx_gt_u64_e64 s[2:3], v[15:16]
	s_cbranch_execz .LBB278_19
.LBB278_23:                             ;   in Loop: Header=BB278_9 Depth=1
	s_waitcnt vmcnt(0)
	v_dual_mov_b32 v4, v3 :: v_dual_lshlrev_b32 v1, 16, v30
	v_add_co_u32 v13, vcc_lo, s14, v26
	v_add_co_ci_u32_e32 v14, vcc_lo, s15, v25, vcc_lo
	s_delay_alu instid0(VALU_DEP_3) | instskip(SKIP_2) | instid1(SALU_CYCLE_1)
	v_cvt_f64_f32_e32 v[1:2], v1
	global_store_b128 v[13:14], v[1:4], off offset:-8
	s_or_b32 exec_lo, exec_lo, s0
	s_mov_b32 s0, exec_lo
	v_cmpx_gt_u64_e64 s[2:3], v[17:18]
	s_cbranch_execz .LBB278_8
.LBB278_24:                             ;   in Loop: Header=BB278_9 Depth=1
	s_waitcnt vmcnt(0)
	v_dual_mov_b32 v4, v3 :: v_dual_lshlrev_b32 v1, 16, v29
	v_add_co_u32 v13, vcc_lo, s14, v11
	v_add_co_ci_u32_e32 v14, vcc_lo, s15, v12, vcc_lo
	s_delay_alu instid0(VALU_DEP_3)
	v_cvt_f64_f32_e32 v[1:2], v1
	global_store_b128 v[13:14], v[1:4], off offset:-8
	s_branch .LBB278_8
.LBB278_25:
	s_nop 0
	s_sendmsg sendmsg(MSG_DEALLOC_VGPRS)
	s_endpgm
	.section	.rodata,"a",@progbits
	.p2align	6, 0x0
	.amdhsa_kernel _ZN2at6native12_GLOBAL__N_125multi_tensor_apply_kernelINS1_18TensorListMetadataILi2EEENS1_11CopyFunctorIN3c107complexIdEENS6_8BFloat16ELi2ELi1ELi1EEEJNS0_4CopyIS8_S9_EEEEEvT_T0_DpT1_
		.amdhsa_group_segment_fixed_size 0
		.amdhsa_private_segment_fixed_size 0
		.amdhsa_kernarg_size 3408
		.amdhsa_user_sgpr_count 15
		.amdhsa_user_sgpr_dispatch_ptr 0
		.amdhsa_user_sgpr_queue_ptr 0
		.amdhsa_user_sgpr_kernarg_segment_ptr 1
		.amdhsa_user_sgpr_dispatch_id 0
		.amdhsa_user_sgpr_private_segment_size 0
		.amdhsa_wavefront_size32 1
		.amdhsa_uses_dynamic_stack 0
		.amdhsa_enable_private_segment 0
		.amdhsa_system_sgpr_workgroup_id_x 1
		.amdhsa_system_sgpr_workgroup_id_y 0
		.amdhsa_system_sgpr_workgroup_id_z 0
		.amdhsa_system_sgpr_workgroup_info 0
		.amdhsa_system_vgpr_workitem_id 0
		.amdhsa_next_free_vgpr 35
		.amdhsa_next_free_sgpr 24
		.amdhsa_reserve_vcc 1
		.amdhsa_float_round_mode_32 0
		.amdhsa_float_round_mode_16_64 0
		.amdhsa_float_denorm_mode_32 3
		.amdhsa_float_denorm_mode_16_64 3
		.amdhsa_dx10_clamp 1
		.amdhsa_ieee_mode 1
		.amdhsa_fp16_overflow 0
		.amdhsa_workgroup_processor_mode 1
		.amdhsa_memory_ordered 1
		.amdhsa_forward_progress 0
		.amdhsa_shared_vgpr_count 0
		.amdhsa_exception_fp_ieee_invalid_op 0
		.amdhsa_exception_fp_denorm_src 0
		.amdhsa_exception_fp_ieee_div_zero 0
		.amdhsa_exception_fp_ieee_overflow 0
		.amdhsa_exception_fp_ieee_underflow 0
		.amdhsa_exception_fp_ieee_inexact 0
		.amdhsa_exception_int_div_zero 0
	.end_amdhsa_kernel
	.section	.text._ZN2at6native12_GLOBAL__N_125multi_tensor_apply_kernelINS1_18TensorListMetadataILi2EEENS1_11CopyFunctorIN3c107complexIdEENS6_8BFloat16ELi2ELi1ELi1EEEJNS0_4CopyIS8_S9_EEEEEvT_T0_DpT1_,"axG",@progbits,_ZN2at6native12_GLOBAL__N_125multi_tensor_apply_kernelINS1_18TensorListMetadataILi2EEENS1_11CopyFunctorIN3c107complexIdEENS6_8BFloat16ELi2ELi1ELi1EEEJNS0_4CopyIS8_S9_EEEEEvT_T0_DpT1_,comdat
.Lfunc_end278:
	.size	_ZN2at6native12_GLOBAL__N_125multi_tensor_apply_kernelINS1_18TensorListMetadataILi2EEENS1_11CopyFunctorIN3c107complexIdEENS6_8BFloat16ELi2ELi1ELi1EEEJNS0_4CopyIS8_S9_EEEEEvT_T0_DpT1_, .Lfunc_end278-_ZN2at6native12_GLOBAL__N_125multi_tensor_apply_kernelINS1_18TensorListMetadataILi2EEENS1_11CopyFunctorIN3c107complexIdEENS6_8BFloat16ELi2ELi1ELi1EEEJNS0_4CopyIS8_S9_EEEEEvT_T0_DpT1_
                                        ; -- End function
	.section	.AMDGPU.csdata,"",@progbits
; Kernel info:
; codeLenInByte = 1552
; NumSgprs: 26
; NumVgprs: 35
; ScratchSize: 0
; MemoryBound: 0
; FloatMode: 240
; IeeeMode: 1
; LDSByteSize: 0 bytes/workgroup (compile time only)
; SGPRBlocks: 3
; VGPRBlocks: 4
; NumSGPRsForWavesPerEU: 26
; NumVGPRsForWavesPerEU: 35
; Occupancy: 16
; WaveLimiterHint : 0
; COMPUTE_PGM_RSRC2:SCRATCH_EN: 0
; COMPUTE_PGM_RSRC2:USER_SGPR: 15
; COMPUTE_PGM_RSRC2:TRAP_HANDLER: 0
; COMPUTE_PGM_RSRC2:TGID_X_EN: 1
; COMPUTE_PGM_RSRC2:TGID_Y_EN: 0
; COMPUTE_PGM_RSRC2:TGID_Z_EN: 0
; COMPUTE_PGM_RSRC2:TIDIG_COMP_CNT: 0
	.section	.text._ZN2at6native12_GLOBAL__N_125multi_tensor_apply_kernelINS1_18TensorListMetadataILi2EEENS1_11CopyFunctorIN3c107complexIdEEbLi2ELi1ELi1EEEJNS0_4CopyIS8_bEEEEEvT_T0_DpT1_,"axG",@progbits,_ZN2at6native12_GLOBAL__N_125multi_tensor_apply_kernelINS1_18TensorListMetadataILi2EEENS1_11CopyFunctorIN3c107complexIdEEbLi2ELi1ELi1EEEJNS0_4CopyIS8_bEEEEEvT_T0_DpT1_,comdat
	.globl	_ZN2at6native12_GLOBAL__N_125multi_tensor_apply_kernelINS1_18TensorListMetadataILi2EEENS1_11CopyFunctorIN3c107complexIdEEbLi2ELi1ELi1EEEJNS0_4CopyIS8_bEEEEEvT_T0_DpT1_ ; -- Begin function _ZN2at6native12_GLOBAL__N_125multi_tensor_apply_kernelINS1_18TensorListMetadataILi2EEENS1_11CopyFunctorIN3c107complexIdEEbLi2ELi1ELi1EEEJNS0_4CopyIS8_bEEEEEvT_T0_DpT1_
	.p2align	8
	.type	_ZN2at6native12_GLOBAL__N_125multi_tensor_apply_kernelINS1_18TensorListMetadataILi2EEENS1_11CopyFunctorIN3c107complexIdEEbLi2ELi1ELi1EEEJNS0_4CopyIS8_bEEEEEvT_T0_DpT1_,@function
_ZN2at6native12_GLOBAL__N_125multi_tensor_apply_kernelINS1_18TensorListMetadataILi2EEENS1_11CopyFunctorIN3c107complexIdEEbLi2ELi1ELi1EEEJNS0_4CopyIS8_bEEEEEvT_T0_DpT1_: ; @_ZN2at6native12_GLOBAL__N_125multi_tensor_apply_kernelINS1_18TensorListMetadataILi2EEENS1_11CopyFunctorIN3c107complexIdEEbLi2ELi1ELi1EEEJNS0_4CopyIS8_bEEEEEvT_T0_DpT1_
; %bb.0:
	v_mov_b32_e32 v1, s15
	s_add_u32 s2, s0, s15
	s_mul_hi_u32 s3, s15, 3
	s_mul_i32 s15, s15, 3
	s_addc_u32 s4, s1, 0
	global_load_u8 v1, v1, s[0:1] offset:1536
	s_add_u32 s2, s2, s15
	s_addc_u32 s3, s4, s3
	s_mov_b32 s19, 0
	s_load_b32 s4, s[2:3], 0x740
	s_mov_b32 s21, s19
	s_waitcnt vmcnt(0)
	v_readfirstlane_b32 s5, v1
	s_delay_alu instid0(VALU_DEP_1)
	s_lshl_b32 s5, s5, 3
	s_clause 0x2
	s_load_b64 s[8:9], s[0:1], s5 offset:0x0
	s_load_b64 s[2:3], s[0:1], s5 offset:0x200
	;; [unrolled: 1-line block ×3, first 2 shown]
	s_waitcnt lgkmcnt(0)
	s_ashr_i32 s5, s4, 31
	s_delay_alu instid0(SALU_CYCLE_1) | instskip(NEXT) | instid1(SALU_CYCLE_1)
	s_lshl_b64 s[10:11], s[4:5], 16
	s_add_u32 s14, s8, s10
	s_addc_u32 s15, s9, s11
	s_lshl_b64 s[6:7], s[4:5], 20
	s_mov_b32 s5, s19
	s_add_u32 s12, s2, s6
	s_addc_u32 s13, s3, s7
	s_and_b32 s20, s16, 3
	s_and_b32 s4, s12, 63
	;; [unrolled: 1-line block ×3, first 2 shown]
	s_or_b64 s[4:5], s[4:5], s[20:21]
	s_delay_alu instid0(SALU_CYCLE_1)
	s_or_b64 s[18:19], s[18:19], s[4:5]
	s_sub_u32 s4, s16, s10
	s_subb_u32 s5, s17, s11
	s_cmp_eq_u64 s[18:19], 0
	s_mov_b32 s16, -1
	s_cbranch_scc0 .LBB279_5
; %bb.1:
	v_dual_mov_b32 v3, 0 :: v_dual_lshlrev_b32 v2, 2, v0
	s_mov_b32 s16, exec_lo
	s_delay_alu instid0(VALU_DEP_1)
	v_cmpx_gt_i64_e64 s[4:5], v[2:3]
	s_cbranch_execz .LBB279_4
; %bb.2:
	s_load_b32 s17, s[0:1], 0xc5c
	v_dual_mov_b32 v8, v3 :: v_dual_lshlrev_b32 v1, 6, v0
	v_mov_b32_e32 v7, v2
	s_waitcnt lgkmcnt(0)
	s_and_b32 s18, s17, 0xffff
	s_delay_alu instid0(SALU_CYCLE_1) | instskip(SKIP_3) | instid1(VALU_DEP_1)
	s_lshl_b32 s17, s18, 2
	s_add_u32 s2, s2, s6
	s_addc_u32 s3, s3, s7
	v_add_co_u32 v5, s2, s2, v1
	v_add_co_ci_u32_e64 v6, null, s3, 0, s2
	s_mov_b32 s3, 0
	s_lshl_b32 s6, s18, 6
.LBB279_3:                              ; =>This Inner Loop Header: Depth=1
	v_add_co_u32 v1, vcc_lo, s14, v7
	v_add_co_ci_u32_e32 v2, vcc_lo, s15, v8, vcc_lo
	v_mov_b32_e32 v12, v3
	v_mov_b32_e32 v15, v3
	;; [unrolled: 1-line block ×3, first 2 shown]
	global_load_b32 v1, v[1:2], off
	v_mov_b32_e32 v19, v3
	v_mov_b32_e32 v20, v3
	s_waitcnt vmcnt(0)
	v_and_b32_e32 v4, 1, v1
	v_and_b32_e32 v9, 0x10000, v1
	v_lshrrev_b16 v2, 8, v1
	v_and_b32_e32 v1, 0x1000000, v1
	s_delay_alu instid0(VALU_DEP_4) | instskip(NEXT) | instid1(VALU_DEP_3)
	v_cmp_eq_u32_e32 vcc_lo, 1, v4
	v_and_b32_e32 v2, 1, v2
	v_cndmask_b32_e64 v4, 0, 1, vcc_lo
	v_cmp_ne_u32_e32 vcc_lo, 0, v9
	v_cndmask_b32_e64 v9, 0, 1, vcc_lo
	v_cmp_ne_u32_e32 vcc_lo, 0, v1
	s_delay_alu instid0(VALU_DEP_2) | instskip(SKIP_2) | instid1(VALU_DEP_2)
	v_cvt_f64_u32_e32 v[9:10], v9
	v_cndmask_b32_e64 v1, 0, 1, vcc_lo
	v_cmp_eq_u32_e32 vcc_lo, 1, v2
	v_cvt_f64_u32_e32 v[13:14], v1
	v_cndmask_b32_e64 v11, 0, 1, vcc_lo
	v_cvt_f64_u32_e32 v[1:2], v4
	v_add_co_u32 v7, vcc_lo, s17, v7
	v_add_co_ci_u32_e32 v8, vcc_lo, 0, v8, vcc_lo
	s_delay_alu instid0(VALU_DEP_4) | instskip(SKIP_2) | instid1(VALU_DEP_4)
	v_cvt_f64_u32_e32 v[17:18], v11
	v_mov_b32_e32 v11, v3
	v_mov_b32_e32 v4, v3
	v_cmp_le_i64_e32 vcc_lo, s[4:5], v[7:8]
	v_cmp_lt_u64_e64 s2, 0xffff, v[7:8]
	s_clause 0x3
	global_store_b128 v[5:6], v[9:12], off offset:32
	global_store_b128 v[5:6], v[13:16], off offset:48
	global_store_b128 v[5:6], v[1:4], off
	global_store_b128 v[5:6], v[17:20], off offset:16
	s_or_b32 s2, vcc_lo, s2
	v_add_co_u32 v5, vcc_lo, v5, s6
	v_add_co_ci_u32_e32 v6, vcc_lo, 0, v6, vcc_lo
	s_and_b32 s2, exec_lo, s2
	s_delay_alu instid0(SALU_CYCLE_1) | instskip(NEXT) | instid1(SALU_CYCLE_1)
	s_or_b32 s3, s2, s3
	s_and_not1_b32 exec_lo, exec_lo, s3
	s_cbranch_execnz .LBB279_3
.LBB279_4:
	s_or_b32 exec_lo, exec_lo, s16
	s_mov_b32 s16, 0
.LBB279_5:
	s_delay_alu instid0(SALU_CYCLE_1)
	s_and_not1_b32 vcc_lo, exec_lo, s16
	s_cbranch_vccnz .LBB279_25
; %bb.6:
	v_cmp_lt_i64_e64 s2, s[4:5], 1
	s_delay_alu instid0(VALU_DEP_1)
	s_and_b32 vcc_lo, exec_lo, s2
	s_cbranch_vccnz .LBB279_25
; %bb.7:
	s_load_b32 s0, s[0:1], 0xc5c
	v_cmp_gt_u64_e64 s1, 0x10000, s[4:5]
	v_add_co_u32 v1, s2, s10, v0
	s_delay_alu instid0(VALU_DEP_1) | instskip(NEXT) | instid1(VALU_DEP_2)
	v_add_co_ci_u32_e64 v2, null, s11, 0, s2
                                        ; implicit-def: $vgpr31
                                        ; implicit-def: $vgpr32
                                        ; implicit-def: $vgpr33
                                        ; implicit-def: $vgpr34
	v_add_co_u32 v15, vcc_lo, s8, v1
	s_delay_alu instid0(VALU_DEP_2)
	v_add_co_ci_u32_e32 v16, vcc_lo, s9, v2, vcc_lo
	s_waitcnt lgkmcnt(0)
	s_and_b32 s0, s0, 0xffff
	s_and_b32 s1, s1, exec_lo
	v_add_co_u32 v17, s3, v0, s0
	v_mov_b32_e32 v3, 0
	s_mul_i32 s2, s0, 3
	s_cselect_b32 s7, s5, 0
	s_delay_alu instid0(VALU_DEP_2) | instskip(NEXT) | instid1(VALU_DEP_2)
	v_lshlrev_b32_e32 v20, 4, v17
	v_dual_mov_b32 v6, v3 :: v_dual_lshlrev_b32 v5, 4, v0
	s_cselect_b32 s6, s4, 0x10000
	s_lshl_b32 s1, s0, 1
	s_lshl_b32 s14, s0, 2
	;; [unrolled: 1-line block ×3, first 2 shown]
	v_add_co_ci_u32_e64 v18, null, 0, 0, s3
	s_add_u32 s3, s10, s2
	s_addc_u32 s16, s11, 0
	s_add_u32 s3, s8, s3
	v_add_co_u32 v21, s2, s2, v0
	v_mad_u64_u32 v[7:8], null, s0, 48, v[5:6]
	s_addc_u32 s16, s9, s16
	v_add_co_u32 v6, s3, s3, v0
	v_add_co_ci_u32_e64 v22, null, 0, 0, s2
	s_add_u32 s2, s10, s1
	v_add_co_ci_u32_e64 v19, null, s16, 0, s3
	s_addc_u32 s3, s11, 0
	s_add_u32 s2, s8, s2
	s_addc_u32 s3, s9, s3
	v_add_co_u32 v23, s2, s2, v0
	s_delay_alu instid0(VALU_DEP_1)
	v_add_co_ci_u32_e64 v24, null, s3, 0, s2
	s_add_u32 s2, s8, s0
	s_addc_u32 s3, s9, 0
	s_lshl_b32 s0, s0, 5
	v_add_co_u32 v25, vcc_lo, s2, v1
	v_add_co_u32 v4, s0, s0, v5
	s_delay_alu instid0(VALU_DEP_1)
	v_add_co_ci_u32_e64 v27, null, 0, 0, s0
	v_add_co_u32 v29, s0, s1, v0
	v_or_b32_e32 v7, 8, v7
	v_add_co_ci_u32_e32 v26, vcc_lo, s3, v2, vcc_lo
	v_or_b32_e32 v28, 8, v4
	v_add_co_ci_u32_e64 v30, null, 0, 0, s0
	s_mov_b64 s[8:9], 0
	s_branch .LBB279_9
.LBB279_8:                              ;   in Loop: Header=BB279_9 Depth=1
	s_or_b32 exec_lo, exec_lo, s1
	s_add_u32 s8, s8, s14
	s_addc_u32 s9, s9, 0
	s_delay_alu instid0(SALU_CYCLE_1) | instskip(SKIP_1) | instid1(VALU_DEP_1)
	v_cmp_ge_i64_e64 s0, s[8:9], s[4:5]
	v_cmp_lt_u64_e64 s1, 0xffff, s[8:9]
	s_or_b32 s0, s0, s1
	s_add_u32 s12, s12, s15
	s_addc_u32 s13, s13, 0
	s_and_b32 vcc_lo, exec_lo, s0
	s_cbranch_vccnz .LBB279_25
.LBB279_9:                              ; =>This Inner Loop Header: Depth=1
	v_add_co_u32 v1, s0, v0, s8
	s_delay_alu instid0(VALU_DEP_1) | instskip(NEXT) | instid1(VALU_DEP_1)
	v_add_co_ci_u32_e64 v2, null, 0, s9, s0
	v_cmp_gt_i64_e32 vcc_lo, s[4:5], v[1:2]
	v_cmp_gt_u64_e64 s0, 0x10000, v[1:2]
	s_delay_alu instid0(VALU_DEP_1) | instskip(NEXT) | instid1(SALU_CYCLE_1)
	s_and_b32 s1, vcc_lo, s0
	s_and_saveexec_b32 s0, s1
	s_cbranch_execz .LBB279_11
; %bb.10:                               ;   in Loop: Header=BB279_9 Depth=1
	v_add_co_u32 v9, vcc_lo, v15, s8
	v_add_co_ci_u32_e32 v10, vcc_lo, s9, v16, vcc_lo
	global_load_u8 v31, v[9:10], off
.LBB279_11:                             ;   in Loop: Header=BB279_9 Depth=1
	s_or_b32 exec_lo, exec_lo, s0
	v_add_co_u32 v9, vcc_lo, v17, s8
	v_add_co_ci_u32_e32 v10, vcc_lo, s9, v18, vcc_lo
	s_delay_alu instid0(VALU_DEP_1) | instskip(SKIP_1) | instid1(VALU_DEP_1)
	v_cmp_gt_i64_e32 vcc_lo, s[4:5], v[9:10]
	v_cmp_gt_u64_e64 s0, 0x10000, v[9:10]
	s_and_b32 s1, vcc_lo, s0
	s_delay_alu instid0(SALU_CYCLE_1)
	s_and_saveexec_b32 s0, s1
	s_cbranch_execz .LBB279_13
; %bb.12:                               ;   in Loop: Header=BB279_9 Depth=1
	v_add_co_u32 v11, vcc_lo, v25, s8
	v_add_co_ci_u32_e32 v12, vcc_lo, s9, v26, vcc_lo
	global_load_u8 v32, v[11:12], off
.LBB279_13:                             ;   in Loop: Header=BB279_9 Depth=1
	s_or_b32 exec_lo, exec_lo, s0
	v_add_co_u32 v11, vcc_lo, v29, s8
	v_add_co_ci_u32_e32 v12, vcc_lo, s9, v30, vcc_lo
	s_delay_alu instid0(VALU_DEP_1) | instskip(SKIP_1) | instid1(VALU_DEP_1)
	v_cmp_gt_i64_e32 vcc_lo, s[4:5], v[11:12]
	v_cmp_gt_u64_e64 s0, 0x10000, v[11:12]
	s_and_b32 s1, vcc_lo, s0
	s_delay_alu instid0(SALU_CYCLE_1)
	;; [unrolled: 15-line block ×3, first 2 shown]
	s_and_saveexec_b32 s0, s1
	s_cbranch_execz .LBB279_17
; %bb.16:                               ;   in Loop: Header=BB279_9 Depth=1
	v_add_co_u32 v34, vcc_lo, v6, s8
	v_add_co_ci_u32_e32 v35, vcc_lo, s9, v19, vcc_lo
	global_load_u8 v34, v[34:35], off
.LBB279_17:                             ;   in Loop: Header=BB279_9 Depth=1
	s_or_b32 exec_lo, exec_lo, s0
	s_waitcnt vmcnt(0)
	v_and_b32_e32 v4, 1, v31
	v_and_b32_e32 v35, 1, v32
	v_and_b32_e32 v36, 1, v33
	v_and_b32_e32 v37, 1, v34
	s_mov_b32 s10, exec_lo
	v_cmp_eq_u32_e64 s2, 1, v4
	v_cmp_eq_u32_e64 s1, 1, v35
	;; [unrolled: 1-line block ×3, first 2 shown]
	v_cmp_eq_u32_e32 vcc_lo, 1, v37
	v_cmpx_gt_u64_e64 s[6:7], v[1:2]
	s_cbranch_execnz .LBB279_21
; %bb.18:                               ;   in Loop: Header=BB279_9 Depth=1
	s_or_b32 exec_lo, exec_lo, s10
	s_delay_alu instid0(SALU_CYCLE_1)
	s_mov_b32 s3, exec_lo
	v_cmpx_gt_u64_e64 s[6:7], v[9:10]
	s_cbranch_execnz .LBB279_22
.LBB279_19:                             ;   in Loop: Header=BB279_9 Depth=1
	s_or_b32 exec_lo, exec_lo, s3
	s_delay_alu instid0(SALU_CYCLE_1)
	s_mov_b32 s2, exec_lo
	v_cmpx_gt_u64_e64 s[6:7], v[11:12]
	s_cbranch_execnz .LBB279_23
.LBB279_20:                             ;   in Loop: Header=BB279_9 Depth=1
	s_or_b32 exec_lo, exec_lo, s2
	s_delay_alu instid0(SALU_CYCLE_1)
	s_mov_b32 s1, exec_lo
	v_cmpx_gt_u64_e64 s[6:7], v[13:14]
	s_cbranch_execz .LBB279_8
	s_branch .LBB279_24
.LBB279_21:                             ;   in Loop: Header=BB279_9 Depth=1
	v_cndmask_b32_e64 v1, 0, 1, s2
	v_add_co_u32 v35, s2, s12, v5
	s_delay_alu instid0(VALU_DEP_1) | instskip(NEXT) | instid1(VALU_DEP_3)
	v_add_co_ci_u32_e64 v36, null, s13, 0, s2
	v_cvt_f64_u32_e32 v[1:2], v1
	v_mov_b32_e32 v4, v3
	global_store_b128 v[35:36], v[1:4], off
	s_or_b32 exec_lo, exec_lo, s10
	s_delay_alu instid0(SALU_CYCLE_1)
	s_mov_b32 s3, exec_lo
	v_cmpx_gt_u64_e64 s[6:7], v[9:10]
	s_cbranch_execz .LBB279_19
.LBB279_22:                             ;   in Loop: Header=BB279_9 Depth=1
	v_cndmask_b32_e64 v1, 0, 1, s1
	v_add_co_u32 v9, s1, s12, v20
	s_delay_alu instid0(VALU_DEP_1) | instskip(NEXT) | instid1(VALU_DEP_3)
	v_add_co_ci_u32_e64 v10, null, s13, 0, s1
	v_cvt_f64_u32_e32 v[1:2], v1
	v_mov_b32_e32 v4, v3
	global_store_b128 v[9:10], v[1:4], off
	s_or_b32 exec_lo, exec_lo, s3
	s_delay_alu instid0(SALU_CYCLE_1)
	s_mov_b32 s2, exec_lo
	v_cmpx_gt_u64_e64 s[6:7], v[11:12]
	s_cbranch_execz .LBB279_20
.LBB279_23:                             ;   in Loop: Header=BB279_9 Depth=1
	v_cndmask_b32_e64 v1, 0, 1, s0
	v_add_co_u32 v9, s0, s12, v28
	s_delay_alu instid0(VALU_DEP_1) | instskip(NEXT) | instid1(VALU_DEP_3)
	v_add_co_ci_u32_e64 v10, s0, s13, v27, s0
	v_cvt_f64_u32_e32 v[1:2], v1
	v_mov_b32_e32 v4, v3
	global_store_b128 v[9:10], v[1:4], off offset:-8
	s_or_b32 exec_lo, exec_lo, s2
	s_delay_alu instid0(SALU_CYCLE_1)
	s_mov_b32 s1, exec_lo
	v_cmpx_gt_u64_e64 s[6:7], v[13:14]
	s_cbranch_execz .LBB279_8
.LBB279_24:                             ;   in Loop: Header=BB279_9 Depth=1
	v_cndmask_b32_e64 v1, 0, 1, vcc_lo
	v_add_co_u32 v9, vcc_lo, s12, v7
	v_add_co_ci_u32_e32 v10, vcc_lo, s13, v8, vcc_lo
	s_delay_alu instid0(VALU_DEP_3)
	v_cvt_f64_u32_e32 v[1:2], v1
	v_mov_b32_e32 v4, v3
	global_store_b128 v[9:10], v[1:4], off offset:-8
	s_branch .LBB279_8
.LBB279_25:
	s_nop 0
	s_sendmsg sendmsg(MSG_DEALLOC_VGPRS)
	s_endpgm
	.section	.rodata,"a",@progbits
	.p2align	6, 0x0
	.amdhsa_kernel _ZN2at6native12_GLOBAL__N_125multi_tensor_apply_kernelINS1_18TensorListMetadataILi2EEENS1_11CopyFunctorIN3c107complexIdEEbLi2ELi1ELi1EEEJNS0_4CopyIS8_bEEEEEvT_T0_DpT1_
		.amdhsa_group_segment_fixed_size 0
		.amdhsa_private_segment_fixed_size 0
		.amdhsa_kernarg_size 3408
		.amdhsa_user_sgpr_count 15
		.amdhsa_user_sgpr_dispatch_ptr 0
		.amdhsa_user_sgpr_queue_ptr 0
		.amdhsa_user_sgpr_kernarg_segment_ptr 1
		.amdhsa_user_sgpr_dispatch_id 0
		.amdhsa_user_sgpr_private_segment_size 0
		.amdhsa_wavefront_size32 1
		.amdhsa_uses_dynamic_stack 0
		.amdhsa_enable_private_segment 0
		.amdhsa_system_sgpr_workgroup_id_x 1
		.amdhsa_system_sgpr_workgroup_id_y 0
		.amdhsa_system_sgpr_workgroup_id_z 0
		.amdhsa_system_sgpr_workgroup_info 0
		.amdhsa_system_vgpr_workitem_id 0
		.amdhsa_next_free_vgpr 38
		.amdhsa_next_free_sgpr 22
		.amdhsa_reserve_vcc 1
		.amdhsa_float_round_mode_32 0
		.amdhsa_float_round_mode_16_64 0
		.amdhsa_float_denorm_mode_32 3
		.amdhsa_float_denorm_mode_16_64 3
		.amdhsa_dx10_clamp 1
		.amdhsa_ieee_mode 1
		.amdhsa_fp16_overflow 0
		.amdhsa_workgroup_processor_mode 1
		.amdhsa_memory_ordered 1
		.amdhsa_forward_progress 0
		.amdhsa_shared_vgpr_count 0
		.amdhsa_exception_fp_ieee_invalid_op 0
		.amdhsa_exception_fp_denorm_src 0
		.amdhsa_exception_fp_ieee_div_zero 0
		.amdhsa_exception_fp_ieee_overflow 0
		.amdhsa_exception_fp_ieee_underflow 0
		.amdhsa_exception_fp_ieee_inexact 0
		.amdhsa_exception_int_div_zero 0
	.end_amdhsa_kernel
	.section	.text._ZN2at6native12_GLOBAL__N_125multi_tensor_apply_kernelINS1_18TensorListMetadataILi2EEENS1_11CopyFunctorIN3c107complexIdEEbLi2ELi1ELi1EEEJNS0_4CopyIS8_bEEEEEvT_T0_DpT1_,"axG",@progbits,_ZN2at6native12_GLOBAL__N_125multi_tensor_apply_kernelINS1_18TensorListMetadataILi2EEENS1_11CopyFunctorIN3c107complexIdEEbLi2ELi1ELi1EEEJNS0_4CopyIS8_bEEEEEvT_T0_DpT1_,comdat
.Lfunc_end279:
	.size	_ZN2at6native12_GLOBAL__N_125multi_tensor_apply_kernelINS1_18TensorListMetadataILi2EEENS1_11CopyFunctorIN3c107complexIdEEbLi2ELi1ELi1EEEJNS0_4CopyIS8_bEEEEEvT_T0_DpT1_, .Lfunc_end279-_ZN2at6native12_GLOBAL__N_125multi_tensor_apply_kernelINS1_18TensorListMetadataILi2EEENS1_11CopyFunctorIN3c107complexIdEEbLi2ELi1ELi1EEEJNS0_4CopyIS8_bEEEEEvT_T0_DpT1_
                                        ; -- End function
	.section	.AMDGPU.csdata,"",@progbits
; Kernel info:
; codeLenInByte = 1632
; NumSgprs: 24
; NumVgprs: 38
; ScratchSize: 0
; MemoryBound: 0
; FloatMode: 240
; IeeeMode: 1
; LDSByteSize: 0 bytes/workgroup (compile time only)
; SGPRBlocks: 2
; VGPRBlocks: 4
; NumSGPRsForWavesPerEU: 24
; NumVGPRsForWavesPerEU: 38
; Occupancy: 16
; WaveLimiterHint : 0
; COMPUTE_PGM_RSRC2:SCRATCH_EN: 0
; COMPUTE_PGM_RSRC2:USER_SGPR: 15
; COMPUTE_PGM_RSRC2:TRAP_HANDLER: 0
; COMPUTE_PGM_RSRC2:TGID_X_EN: 1
; COMPUTE_PGM_RSRC2:TGID_Y_EN: 0
; COMPUTE_PGM_RSRC2:TGID_Z_EN: 0
; COMPUTE_PGM_RSRC2:TIDIG_COMP_CNT: 0
	.section	.text._ZN2at6native12_GLOBAL__N_125multi_tensor_apply_kernelINS1_18TensorListMetadataILi2EEENS1_11CopyFunctorIN3c107complexIdEENS6_13Float8_e4m3fnELi2ELi1ELi1EEEJNS0_4CopyIS8_S9_EEEEEvT_T0_DpT1_,"axG",@progbits,_ZN2at6native12_GLOBAL__N_125multi_tensor_apply_kernelINS1_18TensorListMetadataILi2EEENS1_11CopyFunctorIN3c107complexIdEENS6_13Float8_e4m3fnELi2ELi1ELi1EEEJNS0_4CopyIS8_S9_EEEEEvT_T0_DpT1_,comdat
	.globl	_ZN2at6native12_GLOBAL__N_125multi_tensor_apply_kernelINS1_18TensorListMetadataILi2EEENS1_11CopyFunctorIN3c107complexIdEENS6_13Float8_e4m3fnELi2ELi1ELi1EEEJNS0_4CopyIS8_S9_EEEEEvT_T0_DpT1_ ; -- Begin function _ZN2at6native12_GLOBAL__N_125multi_tensor_apply_kernelINS1_18TensorListMetadataILi2EEENS1_11CopyFunctorIN3c107complexIdEENS6_13Float8_e4m3fnELi2ELi1ELi1EEEJNS0_4CopyIS8_S9_EEEEEvT_T0_DpT1_
	.p2align	8
	.type	_ZN2at6native12_GLOBAL__N_125multi_tensor_apply_kernelINS1_18TensorListMetadataILi2EEENS1_11CopyFunctorIN3c107complexIdEENS6_13Float8_e4m3fnELi2ELi1ELi1EEEJNS0_4CopyIS8_S9_EEEEEvT_T0_DpT1_,@function
_ZN2at6native12_GLOBAL__N_125multi_tensor_apply_kernelINS1_18TensorListMetadataILi2EEENS1_11CopyFunctorIN3c107complexIdEENS6_13Float8_e4m3fnELi2ELi1ELi1EEEJNS0_4CopyIS8_S9_EEEEEvT_T0_DpT1_: ; @_ZN2at6native12_GLOBAL__N_125multi_tensor_apply_kernelINS1_18TensorListMetadataILi2EEENS1_11CopyFunctorIN3c107complexIdEENS6_13Float8_e4m3fnELi2ELi1ELi1EEEJNS0_4CopyIS8_S9_EEEEEvT_T0_DpT1_
; %bb.0:
	v_mov_b32_e32 v1, s15
	s_add_u32 s2, s0, s15
	s_mul_hi_u32 s3, s15, 3
	s_mul_i32 s15, s15, 3
	s_addc_u32 s4, s1, 0
	global_load_u8 v1, v1, s[0:1] offset:1536
	s_add_u32 s2, s2, s15
	s_addc_u32 s3, s4, s3
	s_mov_b32 s19, 0
	s_load_b32 s4, s[2:3], 0x740
	s_mov_b32 s21, s19
	s_waitcnt vmcnt(0)
	v_readfirstlane_b32 s5, v1
	s_delay_alu instid0(VALU_DEP_1)
	s_lshl_b32 s5, s5, 3
	s_clause 0x2
	s_load_b64 s[6:7], s[0:1], s5 offset:0x0
	s_load_b64 s[2:3], s[0:1], s5 offset:0x200
	;; [unrolled: 1-line block ×3, first 2 shown]
	s_waitcnt lgkmcnt(0)
	s_ashr_i32 s5, s4, 31
	s_delay_alu instid0(SALU_CYCLE_1) | instskip(NEXT) | instid1(SALU_CYCLE_1)
	s_lshl_b64 s[8:9], s[4:5], 16
	s_add_u32 s14, s6, s8
	s_addc_u32 s15, s7, s9
	s_lshl_b64 s[10:11], s[4:5], 20
	s_mov_b32 s5, s19
	s_add_u32 s12, s2, s10
	s_addc_u32 s13, s3, s11
	s_and_b32 s20, s16, 3
	s_and_b32 s4, s12, 63
	;; [unrolled: 1-line block ×3, first 2 shown]
	s_or_b64 s[4:5], s[4:5], s[20:21]
	s_delay_alu instid0(SALU_CYCLE_1)
	s_or_b64 s[18:19], s[18:19], s[4:5]
	s_sub_u32 s4, s16, s8
	s_subb_u32 s5, s17, s9
	s_cmp_eq_u64 s[18:19], 0
	s_mov_b32 s16, -1
	s_cbranch_scc0 .LBB280_5
; %bb.1:
	v_dual_mov_b32 v3, 0 :: v_dual_lshlrev_b32 v2, 2, v0
	s_mov_b32 s16, exec_lo
	s_delay_alu instid0(VALU_DEP_1)
	v_cmpx_gt_i64_e64 s[4:5], v[2:3]
	s_cbranch_execz .LBB280_4
; %bb.2:
	s_load_b32 s17, s[0:1], 0xc5c
	v_dual_mov_b32 v8, v3 :: v_dual_lshlrev_b32 v1, 6, v0
	v_mov_b32_e32 v7, v2
	s_waitcnt lgkmcnt(0)
	s_and_b32 s18, s17, 0xffff
	s_delay_alu instid0(SALU_CYCLE_1) | instskip(SKIP_3) | instid1(VALU_DEP_1)
	s_lshl_b32 s17, s18, 2
	s_add_u32 s2, s2, s10
	s_addc_u32 s3, s3, s11
	v_add_co_u32 v5, s2, s2, v1
	v_add_co_ci_u32_e64 v6, null, s3, 0, s2
	s_mov_b32 s10, 0
	s_lshl_b32 s11, s18, 6
.LBB280_3:                              ; =>This Inner Loop Header: Depth=1
	v_add_co_u32 v1, vcc_lo, s14, v7
	v_add_co_ci_u32_e32 v2, vcc_lo, s15, v8, vcc_lo
	global_load_b32 v1, v[1:2], off
	s_waitcnt vmcnt(0)
	v_lshlrev_b32_e32 v9, 8, v1
	v_lshlrev_b32_e32 v4, 16, v1
	v_and_b32_e32 v10, 0x7f000000, v1
	s_delay_alu instid0(VALU_DEP_3) | instskip(NEXT) | instid1(VALU_DEP_3)
	v_and_b32_e32 v13, 0x7f000000, v9
	v_and_b32_e32 v12, 0x7f000000, v4
	s_delay_alu instid0(VALU_DEP_3) | instskip(SKIP_1) | instid1(VALU_DEP_4)
	v_clz_i32_u32_e32 v14, v10
	v_add_nc_u32_e32 v15, 0x1000000, v10
	v_clz_i32_u32_e32 v20, v13
	s_delay_alu instid0(VALU_DEP_4) | instskip(NEXT) | instid1(VALU_DEP_4)
	v_clz_i32_u32_e32 v18, v12
	v_min_u32_e32 v14, 32, v14
	v_add_nc_u32_e32 v21, 0x1000000, v13
	v_add_nc_u32_e32 v19, 0x1000000, v12
	v_min_u32_e32 v20, 32, v20
	v_min_u32_e32 v18, 32, v18
	v_sub_nc_u32_e64 v14, v14, 4 clamp
	v_ashrrev_i32_e32 v21, 8, v21
	v_ashrrev_i32_e32 v19, 8, v19
	v_sub_nc_u32_e64 v20, v20, 4 clamp
	v_sub_nc_u32_e64 v18, v18, 4 clamp
	v_lshlrev_b32_e32 v22, v14, v10
	v_lshlrev_b32_e32 v14, 23, v14
	v_cmp_ne_u32_e64 s2, 0, v12
	v_lshlrev_b32_e32 v25, v20, v13
	v_lshlrev_b32_e32 v24, v18, v12
	;; [unrolled: 1-line block ×4, first 2 shown]
	v_lshrrev_b32_e32 v22, 4, v22
	v_lshrrev_b32_e32 v25, 4, v25
	;; [unrolled: 1-line block ×3, first 2 shown]
	v_cmp_ne_u32_e64 s3, 0, v13
	s_delay_alu instid0(VALU_DEP_4) | instskip(NEXT) | instid1(VALU_DEP_4)
	v_sub_nc_u32_e32 v14, v22, v14
	v_sub_nc_u32_e32 v20, v25, v20
	s_delay_alu instid0(VALU_DEP_4) | instskip(NEXT) | instid1(VALU_DEP_3)
	v_sub_nc_u32_e32 v18, v24, v18
	v_add_nc_u32_e32 v14, 0x3c000000, v14
	s_delay_alu instid0(VALU_DEP_3) | instskip(NEXT) | instid1(VALU_DEP_3)
	v_add_nc_u32_e32 v20, 0x3c000000, v20
	v_add_nc_u32_e32 v18, 0x3c000000, v18
	s_delay_alu instid0(VALU_DEP_2) | instskip(SKIP_2) | instid1(VALU_DEP_3)
	v_and_or_b32 v12, 0x7f800000, v21, v20
	v_mov_b32_e32 v20, v3
	v_ashrrev_i32_e32 v15, 8, v15
	v_cndmask_b32_e64 v12, 0, v12, s3
	s_delay_alu instid0(VALU_DEP_2) | instskip(SKIP_3) | instid1(VALU_DEP_4)
	v_and_or_b32 v14, 0x7f800000, v15, v14
	v_and_or_b32 v15, 0x7f800000, v19, v18
	v_mov_b32_e32 v19, v3
	v_cmp_ne_u32_e32 vcc_lo, 0, v10
	v_dual_cndmask_b32 v13, 0, v14 :: v_dual_lshlrev_b32 v2, 24, v1
	s_delay_alu instid0(VALU_DEP_1) | instskip(NEXT) | instid1(VALU_DEP_2)
	v_and_b32_e32 v11, 0x7f000000, v2
	v_and_or_b32 v1, 0x80000000, v1, v13
	s_delay_alu instid0(VALU_DEP_2) | instskip(SKIP_2) | instid1(VALU_DEP_3)
	v_clz_i32_u32_e32 v16, v11
	v_add_nc_u32_e32 v17, 0x1000000, v11
	v_cmp_ne_u32_e32 vcc_lo, 0, v11
	v_min_u32_e32 v16, 32, v16
	s_delay_alu instid0(VALU_DEP_3) | instskip(NEXT) | instid1(VALU_DEP_2)
	v_ashrrev_i32_e32 v17, 8, v17
	v_sub_nc_u32_e64 v16, v16, 4 clamp
	s_delay_alu instid0(VALU_DEP_1) | instskip(SKIP_3) | instid1(VALU_DEP_4)
	v_lshlrev_b32_e32 v23, v16, v11
	v_lshlrev_b32_e32 v16, 23, v16
	v_cndmask_b32_e64 v11, 0, v15, s2
	v_mov_b32_e32 v15, v3
	v_lshrrev_b32_e32 v23, 4, v23
	s_delay_alu instid0(VALU_DEP_3) | instskip(NEXT) | instid1(VALU_DEP_2)
	v_and_or_b32 v4, 0x80000000, v4, v11
	v_sub_nc_u32_e32 v16, v23, v16
	s_delay_alu instid0(VALU_DEP_2) | instskip(SKIP_1) | instid1(VALU_DEP_3)
	v_cvt_f64_f32_e32 v[13:14], v4
	v_mov_b32_e32 v4, v3
	v_add_nc_u32_e32 v16, 0x3c000000, v16
	s_delay_alu instid0(VALU_DEP_1) | instskip(SKIP_1) | instid1(VALU_DEP_2)
	v_and_or_b32 v10, 0x7f800000, v17, v16
	v_mov_b32_e32 v16, v3
	v_cndmask_b32_e32 v10, 0, v10, vcc_lo
	v_and_or_b32 v11, 0x80000000, v9, v12
	v_mov_b32_e32 v12, v3
	v_add_co_u32 v7, vcc_lo, s17, v7
	s_delay_alu instid0(VALU_DEP_4) | instskip(SKIP_3) | instid1(VALU_DEP_4)
	v_and_or_b32 v2, 0x80000000, v2, v10
	v_cvt_f64_f32_e32 v[9:10], v1
	v_cvt_f64_f32_e32 v[17:18], v11
	v_add_co_ci_u32_e32 v8, vcc_lo, 0, v8, vcc_lo
	v_cvt_f64_f32_e32 v[1:2], v2
	v_mov_b32_e32 v11, v3
	s_clause 0x3
	global_store_b128 v[5:6], v[1:4], off
	global_store_b128 v[5:6], v[13:16], off offset:16
	global_store_b128 v[5:6], v[17:20], off offset:32
	;; [unrolled: 1-line block ×3, first 2 shown]
	v_cmp_le_i64_e32 vcc_lo, s[4:5], v[7:8]
	v_cmp_lt_u64_e64 s2, 0xffff, v[7:8]
	s_delay_alu instid0(VALU_DEP_1) | instskip(SKIP_3) | instid1(SALU_CYCLE_1)
	s_or_b32 s2, vcc_lo, s2
	v_add_co_u32 v5, vcc_lo, v5, s11
	v_add_co_ci_u32_e32 v6, vcc_lo, 0, v6, vcc_lo
	s_and_b32 s2, exec_lo, s2
	s_or_b32 s10, s2, s10
	s_delay_alu instid0(SALU_CYCLE_1)
	s_and_not1_b32 exec_lo, exec_lo, s10
	s_cbranch_execnz .LBB280_3
.LBB280_4:
	s_or_b32 exec_lo, exec_lo, s16
	s_mov_b32 s16, 0
.LBB280_5:
	s_delay_alu instid0(SALU_CYCLE_1)
	s_and_not1_b32 vcc_lo, exec_lo, s16
	s_cbranch_vccnz .LBB280_25
; %bb.6:
	v_cmp_lt_i64_e64 s2, s[4:5], 1
	s_delay_alu instid0(VALU_DEP_1)
	s_and_b32 vcc_lo, exec_lo, s2
	s_cbranch_vccnz .LBB280_25
; %bb.7:
	s_load_b32 s0, s[0:1], 0xc5c
	v_cmp_gt_u64_e64 s1, 0x10000, s[4:5]
	v_add_co_u32 v1, s2, s8, v0
	s_delay_alu instid0(VALU_DEP_1) | instskip(NEXT) | instid1(VALU_DEP_2)
	v_add_co_ci_u32_e64 v2, null, s9, 0, s2
                                        ; implicit-def: $vgpr31
                                        ; implicit-def: $vgpr32
                                        ; implicit-def: $vgpr33
                                        ; implicit-def: $vgpr34
	v_add_co_u32 v15, vcc_lo, s6, v1
	s_delay_alu instid0(VALU_DEP_2)
	v_add_co_ci_u32_e32 v16, vcc_lo, s7, v2, vcc_lo
	s_waitcnt lgkmcnt(0)
	s_and_b32 s0, s0, 0xffff
	s_and_b32 s1, s1, exec_lo
	v_add_co_u32 v17, s10, v0, s0
	v_mov_b32_e32 v3, 0
	s_mul_i32 s14, s0, 3
	s_cselect_b32 s3, s5, 0
	s_delay_alu instid0(VALU_DEP_2)
	v_lshlrev_b32_e32 v20, 4, v17
	s_cselect_b32 s2, s4, 0x10000
	s_lshl_b32 s11, s0, 1
	s_lshl_b32 s1, s0, 2
	v_add_co_ci_u32_e64 v18, null, 0, 0, s10
	s_lshl_b32 s10, s0, 6
	s_add_u32 s15, s8, s14
	s_addc_u32 s16, s9, 0
	s_add_u32 s15, s6, s15
	v_dual_mov_b32 v6, v3 :: v_dual_lshlrev_b32 v5, 4, v0
	s_addc_u32 s16, s7, s16
	s_add_u32 s8, s8, s11
	s_addc_u32 s9, s9, 0
	s_add_u32 s8, s6, s8
	s_addc_u32 s9, s7, s9
	v_mad_u64_u32 v[7:8], null, s0, 48, v[5:6]
	s_add_u32 s6, s6, s0
	s_addc_u32 s7, s7, 0
	s_lshl_b32 s0, s0, 5
	v_add_co_u32 v6, s15, s15, v0
	v_add_co_u32 v4, s0, s0, v5
	;; [unrolled: 1-line block ×4, first 2 shown]
	v_add_co_u32 v25, vcc_lo, s6, v1
	v_add_co_ci_u32_e64 v27, null, 0, 0, s0
	v_add_co_u32 v29, s0, s11, v0
	v_add_co_ci_u32_e64 v19, null, s16, 0, s15
	v_or_b32_e32 v7, 8, v7
	v_add_co_ci_u32_e64 v22, null, 0, 0, s14
	v_add_co_ci_u32_e64 v24, null, s9, 0, s8
	v_add_co_ci_u32_e32 v26, vcc_lo, s7, v2, vcc_lo
	v_or_b32_e32 v28, 8, v4
	v_add_co_ci_u32_e64 v30, null, 0, 0, s0
	s_mov_b64 s[6:7], 0
	s_branch .LBB280_9
.LBB280_8:                              ;   in Loop: Header=BB280_9 Depth=1
	s_or_b32 exec_lo, exec_lo, s0
	s_add_u32 s6, s6, s1
	s_addc_u32 s7, s7, 0
	s_delay_alu instid0(SALU_CYCLE_1) | instskip(SKIP_1) | instid1(VALU_DEP_1)
	v_cmp_ge_i64_e64 s0, s[6:7], s[4:5]
	v_cmp_lt_u64_e64 s8, 0xffff, s[6:7]
	s_or_b32 s0, s0, s8
	s_add_u32 s12, s12, s10
	s_addc_u32 s13, s13, 0
	s_and_b32 vcc_lo, exec_lo, s0
	s_cbranch_vccnz .LBB280_25
.LBB280_9:                              ; =>This Inner Loop Header: Depth=1
	v_add_co_u32 v1, s0, v0, s6
	s_delay_alu instid0(VALU_DEP_1) | instskip(NEXT) | instid1(VALU_DEP_1)
	v_add_co_ci_u32_e64 v2, null, 0, s7, s0
	v_cmp_gt_i64_e32 vcc_lo, s[4:5], v[1:2]
	v_cmp_gt_u64_e64 s0, 0x10000, v[1:2]
	s_delay_alu instid0(VALU_DEP_1) | instskip(NEXT) | instid1(SALU_CYCLE_1)
	s_and_b32 s8, vcc_lo, s0
	s_and_saveexec_b32 s0, s8
	s_cbranch_execz .LBB280_11
; %bb.10:                               ;   in Loop: Header=BB280_9 Depth=1
	v_add_co_u32 v9, vcc_lo, v15, s6
	v_add_co_ci_u32_e32 v10, vcc_lo, s7, v16, vcc_lo
	global_load_u8 v34, v[9:10], off
.LBB280_11:                             ;   in Loop: Header=BB280_9 Depth=1
	s_or_b32 exec_lo, exec_lo, s0
	v_add_co_u32 v13, vcc_lo, v17, s6
	v_add_co_ci_u32_e32 v14, vcc_lo, s7, v18, vcc_lo
	s_delay_alu instid0(VALU_DEP_1) | instskip(SKIP_1) | instid1(VALU_DEP_1)
	v_cmp_gt_i64_e32 vcc_lo, s[4:5], v[13:14]
	v_cmp_gt_u64_e64 s0, 0x10000, v[13:14]
	s_and_b32 s8, vcc_lo, s0
	s_delay_alu instid0(SALU_CYCLE_1)
	s_and_saveexec_b32 s0, s8
	s_cbranch_execz .LBB280_13
; %bb.12:                               ;   in Loop: Header=BB280_9 Depth=1
	v_add_co_u32 v9, vcc_lo, v25, s6
	v_add_co_ci_u32_e32 v10, vcc_lo, s7, v26, vcc_lo
	global_load_u8 v33, v[9:10], off
.LBB280_13:                             ;   in Loop: Header=BB280_9 Depth=1
	s_or_b32 exec_lo, exec_lo, s0
	v_add_co_u32 v11, vcc_lo, v29, s6
	v_add_co_ci_u32_e32 v12, vcc_lo, s7, v30, vcc_lo
	s_delay_alu instid0(VALU_DEP_1) | instskip(SKIP_1) | instid1(VALU_DEP_1)
	v_cmp_gt_i64_e32 vcc_lo, s[4:5], v[11:12]
	v_cmp_gt_u64_e64 s0, 0x10000, v[11:12]
	s_and_b32 s8, vcc_lo, s0
	s_delay_alu instid0(SALU_CYCLE_1)
	;; [unrolled: 15-line block ×3, first 2 shown]
	s_and_saveexec_b32 s0, s8
	s_cbranch_execnz .LBB280_20
; %bb.16:                               ;   in Loop: Header=BB280_9 Depth=1
	s_or_b32 exec_lo, exec_lo, s0
	s_delay_alu instid0(SALU_CYCLE_1)
	s_mov_b32 s0, exec_lo
	v_cmpx_gt_u64_e64 s[2:3], v[1:2]
	s_cbranch_execnz .LBB280_21
.LBB280_17:                             ;   in Loop: Header=BB280_9 Depth=1
	s_or_b32 exec_lo, exec_lo, s0
	s_delay_alu instid0(SALU_CYCLE_1)
	s_mov_b32 s0, exec_lo
	v_cmpx_gt_u64_e64 s[2:3], v[13:14]
	s_cbranch_execnz .LBB280_22
.LBB280_18:                             ;   in Loop: Header=BB280_9 Depth=1
	s_or_b32 exec_lo, exec_lo, s0
	s_delay_alu instid0(SALU_CYCLE_1)
	s_mov_b32 s0, exec_lo
	v_cmpx_gt_u64_e64 s[2:3], v[11:12]
	s_cbranch_execnz .LBB280_23
.LBB280_19:                             ;   in Loop: Header=BB280_9 Depth=1
	s_or_b32 exec_lo, exec_lo, s0
	s_delay_alu instid0(SALU_CYCLE_1)
	s_mov_b32 s0, exec_lo
	v_cmpx_gt_u64_e64 s[2:3], v[9:10]
	s_cbranch_execz .LBB280_8
	s_branch .LBB280_24
.LBB280_20:                             ;   in Loop: Header=BB280_9 Depth=1
	v_add_co_u32 v35, vcc_lo, v6, s6
	v_add_co_ci_u32_e32 v36, vcc_lo, s7, v19, vcc_lo
	global_load_u8 v31, v[35:36], off
	s_or_b32 exec_lo, exec_lo, s0
	s_delay_alu instid0(SALU_CYCLE_1)
	s_mov_b32 s0, exec_lo
	v_cmpx_gt_u64_e64 s[2:3], v[1:2]
	s_cbranch_execz .LBB280_17
.LBB280_21:                             ;   in Loop: Header=BB280_9 Depth=1
	s_waitcnt vmcnt(0)
	v_lshlrev_b32_e32 v1, 24, v34
	s_delay_alu instid0(VALU_DEP_1) | instskip(NEXT) | instid1(VALU_DEP_1)
	v_and_b32_e32 v2, 0x7f000000, v1
	v_clz_i32_u32_e32 v4, v2
	v_cmp_ne_u32_e32 vcc_lo, 0, v2
	s_delay_alu instid0(VALU_DEP_2) | instskip(NEXT) | instid1(VALU_DEP_1)
	v_min_u32_e32 v4, 32, v4
	v_sub_nc_u32_e64 v4, v4, 4 clamp
	s_delay_alu instid0(VALU_DEP_1) | instskip(SKIP_1) | instid1(VALU_DEP_2)
	v_lshlrev_b32_e32 v35, v4, v2
	v_lshlrev_b32_e32 v4, 23, v4
	v_lshrrev_b32_e32 v35, 4, v35
	s_delay_alu instid0(VALU_DEP_1) | instskip(SKIP_1) | instid1(VALU_DEP_2)
	v_sub_nc_u32_e32 v4, v35, v4
	v_add_nc_u32_e32 v35, 0x1000000, v2
	v_add_nc_u32_e32 v4, 0x3c000000, v4
	s_delay_alu instid0(VALU_DEP_2) | instskip(NEXT) | instid1(VALU_DEP_1)
	v_ashrrev_i32_e32 v35, 8, v35
	v_and_or_b32 v4, 0x7f800000, v35, v4
	v_add_co_u32 v35, s8, s12, v5
	s_delay_alu instid0(VALU_DEP_1) | instskip(NEXT) | instid1(VALU_DEP_3)
	v_add_co_ci_u32_e64 v36, null, s13, 0, s8
	v_cndmask_b32_e32 v2, 0, v4, vcc_lo
	v_mov_b32_e32 v4, v3
	s_delay_alu instid0(VALU_DEP_2) | instskip(NEXT) | instid1(VALU_DEP_1)
	v_and_or_b32 v1, 0x80000000, v1, v2
	v_cvt_f64_f32_e32 v[1:2], v1
	global_store_b128 v[35:36], v[1:4], off
	s_or_b32 exec_lo, exec_lo, s0
	s_delay_alu instid0(SALU_CYCLE_1)
	s_mov_b32 s0, exec_lo
	v_cmpx_gt_u64_e64 s[2:3], v[13:14]
	s_cbranch_execz .LBB280_18
.LBB280_22:                             ;   in Loop: Header=BB280_9 Depth=1
	s_waitcnt vmcnt(0)
	v_lshlrev_b32_e32 v1, 24, v33
	s_delay_alu instid0(VALU_DEP_1) | instskip(NEXT) | instid1(VALU_DEP_1)
	v_and_b32_e32 v2, 0x7f000000, v1
	v_clz_i32_u32_e32 v4, v2
	v_add_nc_u32_e32 v14, 0x1000000, v2
	v_cmp_ne_u32_e32 vcc_lo, 0, v2
	s_delay_alu instid0(VALU_DEP_3) | instskip(NEXT) | instid1(VALU_DEP_1)
	v_min_u32_e32 v4, 32, v4
	v_sub_nc_u32_e64 v4, v4, 4 clamp
	s_delay_alu instid0(VALU_DEP_1) | instskip(SKIP_1) | instid1(VALU_DEP_2)
	v_lshlrev_b32_e32 v13, v4, v2
	v_lshlrev_b32_e32 v4, 23, v4
	v_lshrrev_b32_e32 v13, 4, v13
	s_delay_alu instid0(VALU_DEP_1) | instskip(SKIP_1) | instid1(VALU_DEP_2)
	v_sub_nc_u32_e32 v4, v13, v4
	v_ashrrev_i32_e32 v13, 8, v14
	v_add_nc_u32_e32 v4, 0x3c000000, v4
	s_delay_alu instid0(VALU_DEP_1) | instskip(SKIP_1) | instid1(VALU_DEP_1)
	v_and_or_b32 v4, 0x7f800000, v13, v4
	v_add_co_u32 v13, s8, s12, v20
	v_add_co_ci_u32_e64 v14, null, s13, 0, s8
	s_delay_alu instid0(VALU_DEP_3) | instskip(SKIP_1) | instid1(VALU_DEP_2)
	v_cndmask_b32_e32 v2, 0, v4, vcc_lo
	v_mov_b32_e32 v4, v3
	v_and_or_b32 v1, 0x80000000, v1, v2
	s_delay_alu instid0(VALU_DEP_1) | instskip(SKIP_2) | instid1(SALU_CYCLE_1)
	v_cvt_f64_f32_e32 v[1:2], v1
	global_store_b128 v[13:14], v[1:4], off
	s_or_b32 exec_lo, exec_lo, s0
	s_mov_b32 s0, exec_lo
	v_cmpx_gt_u64_e64 s[2:3], v[11:12]
	s_cbranch_execz .LBB280_19
.LBB280_23:                             ;   in Loop: Header=BB280_9 Depth=1
	s_waitcnt vmcnt(0)
	v_lshlrev_b32_e32 v1, 24, v32
	s_delay_alu instid0(VALU_DEP_1) | instskip(NEXT) | instid1(VALU_DEP_1)
	v_and_b32_e32 v2, 0x7f000000, v1
	v_clz_i32_u32_e32 v4, v2
	v_cmp_ne_u32_e32 vcc_lo, 0, v2
	v_add_nc_u32_e32 v12, 0x1000000, v2
	s_delay_alu instid0(VALU_DEP_3) | instskip(NEXT) | instid1(VALU_DEP_1)
	v_min_u32_e32 v4, 32, v4
	v_sub_nc_u32_e64 v4, v4, 4 clamp
	s_delay_alu instid0(VALU_DEP_1) | instskip(SKIP_1) | instid1(VALU_DEP_2)
	v_lshlrev_b32_e32 v11, v4, v2
	v_lshlrev_b32_e32 v4, 23, v4
	v_lshrrev_b32_e32 v11, 4, v11
	s_delay_alu instid0(VALU_DEP_1) | instskip(SKIP_1) | instid1(VALU_DEP_2)
	v_sub_nc_u32_e32 v4, v11, v4
	v_ashrrev_i32_e32 v11, 8, v12
	v_add_nc_u32_e32 v4, 0x3c000000, v4
	s_delay_alu instid0(VALU_DEP_1) | instskip(NEXT) | instid1(VALU_DEP_1)
	v_and_or_b32 v4, 0x7f800000, v11, v4
	v_cndmask_b32_e32 v2, 0, v4, vcc_lo
	v_mov_b32_e32 v4, v3
	v_add_co_u32 v11, vcc_lo, s12, v28
	v_add_co_ci_u32_e32 v12, vcc_lo, s13, v27, vcc_lo
	s_delay_alu instid0(VALU_DEP_4) | instskip(NEXT) | instid1(VALU_DEP_1)
	v_and_or_b32 v1, 0x80000000, v1, v2
	v_cvt_f64_f32_e32 v[1:2], v1
	global_store_b128 v[11:12], v[1:4], off offset:-8
	s_or_b32 exec_lo, exec_lo, s0
	s_delay_alu instid0(SALU_CYCLE_1)
	s_mov_b32 s0, exec_lo
	v_cmpx_gt_u64_e64 s[2:3], v[9:10]
	s_cbranch_execz .LBB280_8
.LBB280_24:                             ;   in Loop: Header=BB280_9 Depth=1
	s_waitcnt vmcnt(0)
	v_lshlrev_b32_e32 v1, 24, v31
	s_delay_alu instid0(VALU_DEP_1) | instskip(NEXT) | instid1(VALU_DEP_1)
	v_and_b32_e32 v2, 0x7f000000, v1
	v_clz_i32_u32_e32 v4, v2
	v_add_nc_u32_e32 v10, 0x1000000, v2
	v_cmp_ne_u32_e32 vcc_lo, 0, v2
	s_delay_alu instid0(VALU_DEP_3) | instskip(NEXT) | instid1(VALU_DEP_1)
	v_min_u32_e32 v4, 32, v4
	v_sub_nc_u32_e64 v4, v4, 4 clamp
	s_delay_alu instid0(VALU_DEP_1) | instskip(SKIP_1) | instid1(VALU_DEP_2)
	v_lshlrev_b32_e32 v9, v4, v2
	v_lshlrev_b32_e32 v4, 23, v4
	v_lshrrev_b32_e32 v9, 4, v9
	s_delay_alu instid0(VALU_DEP_1) | instskip(SKIP_1) | instid1(VALU_DEP_2)
	v_sub_nc_u32_e32 v4, v9, v4
	v_ashrrev_i32_e32 v9, 8, v10
	v_add_nc_u32_e32 v4, 0x3c000000, v4
	s_delay_alu instid0(VALU_DEP_1) | instskip(NEXT) | instid1(VALU_DEP_1)
	v_and_or_b32 v4, 0x7f800000, v9, v4
	v_cndmask_b32_e32 v2, 0, v4, vcc_lo
	v_mov_b32_e32 v4, v3
	v_add_co_u32 v9, vcc_lo, s12, v7
	v_add_co_ci_u32_e32 v10, vcc_lo, s13, v8, vcc_lo
	s_delay_alu instid0(VALU_DEP_4) | instskip(NEXT) | instid1(VALU_DEP_1)
	v_and_or_b32 v1, 0x80000000, v1, v2
	v_cvt_f64_f32_e32 v[1:2], v1
	global_store_b128 v[9:10], v[1:4], off offset:-8
	s_branch .LBB280_8
.LBB280_25:
	s_nop 0
	s_sendmsg sendmsg(MSG_DEALLOC_VGPRS)
	s_endpgm
	.section	.rodata,"a",@progbits
	.p2align	6, 0x0
	.amdhsa_kernel _ZN2at6native12_GLOBAL__N_125multi_tensor_apply_kernelINS1_18TensorListMetadataILi2EEENS1_11CopyFunctorIN3c107complexIdEENS6_13Float8_e4m3fnELi2ELi1ELi1EEEJNS0_4CopyIS8_S9_EEEEEvT_T0_DpT1_
		.amdhsa_group_segment_fixed_size 0
		.amdhsa_private_segment_fixed_size 0
		.amdhsa_kernarg_size 3408
		.amdhsa_user_sgpr_count 15
		.amdhsa_user_sgpr_dispatch_ptr 0
		.amdhsa_user_sgpr_queue_ptr 0
		.amdhsa_user_sgpr_kernarg_segment_ptr 1
		.amdhsa_user_sgpr_dispatch_id 0
		.amdhsa_user_sgpr_private_segment_size 0
		.amdhsa_wavefront_size32 1
		.amdhsa_uses_dynamic_stack 0
		.amdhsa_enable_private_segment 0
		.amdhsa_system_sgpr_workgroup_id_x 1
		.amdhsa_system_sgpr_workgroup_id_y 0
		.amdhsa_system_sgpr_workgroup_id_z 0
		.amdhsa_system_sgpr_workgroup_info 0
		.amdhsa_system_vgpr_workitem_id 0
		.amdhsa_next_free_vgpr 37
		.amdhsa_next_free_sgpr 22
		.amdhsa_reserve_vcc 1
		.amdhsa_float_round_mode_32 0
		.amdhsa_float_round_mode_16_64 0
		.amdhsa_float_denorm_mode_32 3
		.amdhsa_float_denorm_mode_16_64 3
		.amdhsa_dx10_clamp 1
		.amdhsa_ieee_mode 1
		.amdhsa_fp16_overflow 0
		.amdhsa_workgroup_processor_mode 1
		.amdhsa_memory_ordered 1
		.amdhsa_forward_progress 0
		.amdhsa_shared_vgpr_count 0
		.amdhsa_exception_fp_ieee_invalid_op 0
		.amdhsa_exception_fp_denorm_src 0
		.amdhsa_exception_fp_ieee_div_zero 0
		.amdhsa_exception_fp_ieee_overflow 0
		.amdhsa_exception_fp_ieee_underflow 0
		.amdhsa_exception_fp_ieee_inexact 0
		.amdhsa_exception_int_div_zero 0
	.end_amdhsa_kernel
	.section	.text._ZN2at6native12_GLOBAL__N_125multi_tensor_apply_kernelINS1_18TensorListMetadataILi2EEENS1_11CopyFunctorIN3c107complexIdEENS6_13Float8_e4m3fnELi2ELi1ELi1EEEJNS0_4CopyIS8_S9_EEEEEvT_T0_DpT1_,"axG",@progbits,_ZN2at6native12_GLOBAL__N_125multi_tensor_apply_kernelINS1_18TensorListMetadataILi2EEENS1_11CopyFunctorIN3c107complexIdEENS6_13Float8_e4m3fnELi2ELi1ELi1EEEJNS0_4CopyIS8_S9_EEEEEvT_T0_DpT1_,comdat
.Lfunc_end280:
	.size	_ZN2at6native12_GLOBAL__N_125multi_tensor_apply_kernelINS1_18TensorListMetadataILi2EEENS1_11CopyFunctorIN3c107complexIdEENS6_13Float8_e4m3fnELi2ELi1ELi1EEEJNS0_4CopyIS8_S9_EEEEEvT_T0_DpT1_, .Lfunc_end280-_ZN2at6native12_GLOBAL__N_125multi_tensor_apply_kernelINS1_18TensorListMetadataILi2EEENS1_11CopyFunctorIN3c107complexIdEENS6_13Float8_e4m3fnELi2ELi1ELi1EEEJNS0_4CopyIS8_S9_EEEEEvT_T0_DpT1_
                                        ; -- End function
	.section	.AMDGPU.csdata,"",@progbits
; Kernel info:
; codeLenInByte = 2424
; NumSgprs: 24
; NumVgprs: 37
; ScratchSize: 0
; MemoryBound: 0
; FloatMode: 240
; IeeeMode: 1
; LDSByteSize: 0 bytes/workgroup (compile time only)
; SGPRBlocks: 2
; VGPRBlocks: 4
; NumSGPRsForWavesPerEU: 24
; NumVGPRsForWavesPerEU: 37
; Occupancy: 16
; WaveLimiterHint : 0
; COMPUTE_PGM_RSRC2:SCRATCH_EN: 0
; COMPUTE_PGM_RSRC2:USER_SGPR: 15
; COMPUTE_PGM_RSRC2:TRAP_HANDLER: 0
; COMPUTE_PGM_RSRC2:TGID_X_EN: 1
; COMPUTE_PGM_RSRC2:TGID_Y_EN: 0
; COMPUTE_PGM_RSRC2:TGID_Z_EN: 0
; COMPUTE_PGM_RSRC2:TIDIG_COMP_CNT: 0
	.section	.text._ZN2at6native12_GLOBAL__N_125multi_tensor_apply_kernelINS1_18TensorListMetadataILi2EEENS1_11CopyFunctorIN3c107complexIdEENS6_15Float8_e4m3fnuzELi2ELi1ELi1EEEJNS0_4CopyIS8_S9_EEEEEvT_T0_DpT1_,"axG",@progbits,_ZN2at6native12_GLOBAL__N_125multi_tensor_apply_kernelINS1_18TensorListMetadataILi2EEENS1_11CopyFunctorIN3c107complexIdEENS6_15Float8_e4m3fnuzELi2ELi1ELi1EEEJNS0_4CopyIS8_S9_EEEEEvT_T0_DpT1_,comdat
	.globl	_ZN2at6native12_GLOBAL__N_125multi_tensor_apply_kernelINS1_18TensorListMetadataILi2EEENS1_11CopyFunctorIN3c107complexIdEENS6_15Float8_e4m3fnuzELi2ELi1ELi1EEEJNS0_4CopyIS8_S9_EEEEEvT_T0_DpT1_ ; -- Begin function _ZN2at6native12_GLOBAL__N_125multi_tensor_apply_kernelINS1_18TensorListMetadataILi2EEENS1_11CopyFunctorIN3c107complexIdEENS6_15Float8_e4m3fnuzELi2ELi1ELi1EEEJNS0_4CopyIS8_S9_EEEEEvT_T0_DpT1_
	.p2align	8
	.type	_ZN2at6native12_GLOBAL__N_125multi_tensor_apply_kernelINS1_18TensorListMetadataILi2EEENS1_11CopyFunctorIN3c107complexIdEENS6_15Float8_e4m3fnuzELi2ELi1ELi1EEEJNS0_4CopyIS8_S9_EEEEEvT_T0_DpT1_,@function
_ZN2at6native12_GLOBAL__N_125multi_tensor_apply_kernelINS1_18TensorListMetadataILi2EEENS1_11CopyFunctorIN3c107complexIdEENS6_15Float8_e4m3fnuzELi2ELi1ELi1EEEJNS0_4CopyIS8_S9_EEEEEvT_T0_DpT1_: ; @_ZN2at6native12_GLOBAL__N_125multi_tensor_apply_kernelINS1_18TensorListMetadataILi2EEENS1_11CopyFunctorIN3c107complexIdEENS6_15Float8_e4m3fnuzELi2ELi1ELi1EEEJNS0_4CopyIS8_S9_EEEEEvT_T0_DpT1_
; %bb.0:
	v_mov_b32_e32 v1, s15
	s_add_u32 s2, s0, s15
	s_mul_hi_u32 s3, s15, 3
	s_mul_i32 s15, s15, 3
	s_addc_u32 s4, s1, 0
	global_load_u8 v1, v1, s[0:1] offset:1536
	s_add_u32 s2, s2, s15
	s_addc_u32 s3, s4, s3
	s_mov_b32 s19, 0
	s_load_b32 s4, s[2:3], 0x740
	s_mov_b32 s21, s19
	s_waitcnt vmcnt(0)
	v_readfirstlane_b32 s5, v1
	s_delay_alu instid0(VALU_DEP_1)
	s_lshl_b32 s5, s5, 3
	s_clause 0x2
	s_load_b64 s[6:7], s[0:1], s5 offset:0x0
	s_load_b64 s[2:3], s[0:1], s5 offset:0x200
	s_load_b64 s[10:11], s[0:1], s5 offset:0x400
	s_waitcnt lgkmcnt(0)
	s_ashr_i32 s5, s4, 31
	s_delay_alu instid0(SALU_CYCLE_1) | instskip(NEXT) | instid1(SALU_CYCLE_1)
	s_lshl_b64 s[8:9], s[4:5], 16
	s_add_u32 s16, s6, s8
	s_addc_u32 s17, s7, s9
	s_lshl_b64 s[12:13], s[4:5], 20
	s_mov_b32 s5, s19
	s_add_u32 s14, s2, s12
	s_addc_u32 s15, s3, s13
	s_and_b32 s20, s10, 3
	s_and_b32 s4, s14, 63
	;; [unrolled: 1-line block ×3, first 2 shown]
	s_or_b64 s[4:5], s[4:5], s[20:21]
	s_delay_alu instid0(SALU_CYCLE_1)
	s_or_b64 s[18:19], s[18:19], s[4:5]
	s_sub_u32 s4, s10, s8
	s_subb_u32 s5, s11, s9
	s_cmp_eq_u64 s[18:19], 0
	s_mov_b32 s10, -1
	s_cbranch_scc0 .LBB281_37
; %bb.1:
	v_dual_mov_b32 v3, 0 :: v_dual_lshlrev_b32 v2, 2, v0
	s_mov_b32 s18, exec_lo
	s_delay_alu instid0(VALU_DEP_1)
	v_cmpx_gt_i64_e64 s[4:5], v[2:3]
	s_cbranch_execz .LBB281_36
; %bb.2:
	s_load_b32 s10, s[0:1], 0xc5c
	v_dual_mov_b32 v20, v3 :: v_dual_lshlrev_b32 v1, 6, v0
	v_mov_b32_e32 v19, v2
	s_waitcnt lgkmcnt(0)
	s_and_b32 s20, s10, 0xffff
	s_brev_b32 s10, 4
	s_lshl_b32 s19, s20, 2
	s_add_u32 s2, s2, s12
	s_addc_u32 s3, s3, s13
	v_add_co_u32 v17, s2, s2, v1
	s_delay_alu instid0(VALU_DEP_1)
	v_add_co_ci_u32_e64 v18, null, s3, 0, s2
	s_mov_b32 s11, 0x7ff80000
	s_mov_b32 s3, 0
	s_lshl_b32 s12, s20, 6
	s_branch .LBB281_4
.LBB281_3:                              ;   in Loop: Header=BB281_4 Depth=1
	s_or_b32 exec_lo, exec_lo, s13
	v_add_co_u32 v19, vcc_lo, s19, v19
	v_add_co_ci_u32_e32 v20, vcc_lo, 0, v20, vcc_lo
	v_mov_b32_e32 v4, v3
	v_mov_b32_e32 v7, v3
	;; [unrolled: 1-line block ×3, first 2 shown]
	s_delay_alu instid0(VALU_DEP_4)
	v_cmp_le_i64_e32 vcc_lo, s[4:5], v[19:20]
	v_cmp_lt_u64_e64 s2, 0xffff, v[19:20]
	v_mov_b32_e32 v11, v3
	v_mov_b32_e32 v12, v3
	;; [unrolled: 1-line block ×4, first 2 shown]
	s_clause 0x3
	global_store_b128 v[17:18], v[1:4], off
	global_store_b128 v[17:18], v[5:8], off offset:16
	global_store_b128 v[17:18], v[9:12], off offset:32
	;; [unrolled: 1-line block ×3, first 2 shown]
	s_or_b32 s2, vcc_lo, s2
	v_add_co_u32 v17, vcc_lo, v17, s12
	v_add_co_ci_u32_e32 v18, vcc_lo, 0, v18, vcc_lo
	s_and_b32 s2, exec_lo, s2
	s_delay_alu instid0(SALU_CYCLE_1) | instskip(NEXT) | instid1(SALU_CYCLE_1)
	s_or_b32 s3, s2, s3
	s_and_not1_b32 exec_lo, exec_lo, s3
	s_cbranch_execz .LBB281_36
.LBB281_4:                              ; =>This Inner Loop Header: Depth=1
	v_add_co_u32 v1, vcc_lo, s16, v19
	v_add_co_ci_u32_e32 v2, vcc_lo, s17, v20, vcc_lo
	s_mov_b32 s2, 0
	s_mov_b32 s13, exec_lo
	global_load_b32 v4, v[1:2], off
	s_waitcnt vmcnt(0)
	v_and_b32_e32 v5, 0xff, v4
	s_delay_alu instid0(VALU_DEP_1)
	v_cmpx_lt_i16_e32 0x7f, v5
	s_xor_b32 s13, exec_lo, s13
	s_cbranch_execz .LBB281_8
; %bb.5:                                ;   in Loop: Header=BB281_4 Depth=1
	s_mov_b32 s2, -1
	s_mov_b32 s20, exec_lo
	v_cmpx_eq_u16_e32 0x80, v5
; %bb.6:                                ;   in Loop: Header=BB281_4 Depth=1
	s_xor_b32 s2, exec_lo, -1
; %bb.7:                                ;   in Loop: Header=BB281_4 Depth=1
	s_or_b32 exec_lo, exec_lo, s20
	s_delay_alu instid0(SALU_CYCLE_1)
	s_and_b32 s2, s2, exec_lo
                                        ; implicit-def: $vgpr5
.LBB281_8:                              ;   in Loop: Header=BB281_4 Depth=1
	s_or_saveexec_b32 s13, s13
	v_dual_mov_b32 v1, s10 :: v_dual_mov_b32 v2, s11
	s_xor_b32 exec_lo, exec_lo, s13
; %bb.9:                                ;   in Loop: Header=BB281_4 Depth=1
	v_cmp_ne_u16_e32 vcc_lo, 0, v5
	v_mov_b32_e32 v1, 0
	v_mov_b32_e32 v2, 0
	s_and_not1_b32 s2, s2, exec_lo
	s_and_b32 s20, vcc_lo, exec_lo
	s_delay_alu instid0(SALU_CYCLE_1)
	s_or_b32 s2, s2, s20
; %bb.10:                               ;   in Loop: Header=BB281_4 Depth=1
	s_or_b32 exec_lo, exec_lo, s13
	s_and_saveexec_b32 s13, s2
	s_cbranch_execz .LBB281_12
; %bb.11:                               ;   in Loop: Header=BB281_4 Depth=1
	v_bfe_u32 v6, v4, 3, 4
	v_lshlrev_b32_e32 v7, 24, v4
	s_delay_alu instid0(VALU_DEP_2) | instskip(SKIP_1) | instid1(VALU_DEP_1)
	v_cmp_eq_u32_e32 vcc_lo, 0, v6
	v_and_b32_e32 v1, 7, v4
	v_clz_i32_u32_e32 v2, v1
	s_delay_alu instid0(VALU_DEP_1) | instskip(NEXT) | instid1(VALU_DEP_1)
	v_min_u32_e32 v2, 32, v2
	v_subrev_nc_u32_e32 v5, 28, v2
	v_sub_nc_u32_e32 v2, 29, v2
	s_delay_alu instid0(VALU_DEP_1) | instskip(NEXT) | instid1(VALU_DEP_1)
	v_dual_cndmask_b32 v2, v6, v2 :: v_dual_lshlrev_b32 v5, v5, v4
	v_and_b32_e32 v5, 7, v5
	s_delay_alu instid0(VALU_DEP_2) | instskip(NEXT) | instid1(VALU_DEP_2)
	v_lshl_add_u32 v2, v2, 23, 0x3b800000
	v_cndmask_b32_e32 v1, v1, v5, vcc_lo
	v_and_b32_e32 v5, 0x80000000, v7
	s_delay_alu instid0(VALU_DEP_2) | instskip(NEXT) | instid1(VALU_DEP_1)
	v_lshlrev_b32_e32 v1, 20, v1
	v_or3_b32 v1, v5, v2, v1
	s_delay_alu instid0(VALU_DEP_1)
	v_cvt_f64_f32_e32 v[1:2], v1
.LBB281_12:                             ;   in Loop: Header=BB281_4 Depth=1
	s_or_b32 exec_lo, exec_lo, s13
	v_lshrrev_b32_e32 v7, 8, v4
	s_mov_b32 s2, 0
	s_mov_b32 s13, exec_lo
	s_delay_alu instid0(VALU_DEP_1) | instskip(NEXT) | instid1(VALU_DEP_1)
	v_and_b32_e32 v8, 0xff, v7
	v_cmpx_lt_i16_e32 0x7f, v8
	s_xor_b32 s13, exec_lo, s13
	s_cbranch_execz .LBB281_16
; %bb.13:                               ;   in Loop: Header=BB281_4 Depth=1
	s_mov_b32 s2, -1
	s_mov_b32 s20, exec_lo
	v_cmpx_eq_u16_e32 0x80, v8
; %bb.14:                               ;   in Loop: Header=BB281_4 Depth=1
	s_xor_b32 s2, exec_lo, -1
; %bb.15:                               ;   in Loop: Header=BB281_4 Depth=1
	s_or_b32 exec_lo, exec_lo, s20
	s_delay_alu instid0(SALU_CYCLE_1)
	s_and_b32 s2, s2, exec_lo
                                        ; implicit-def: $vgpr8
.LBB281_16:                             ;   in Loop: Header=BB281_4 Depth=1
	s_or_saveexec_b32 s13, s13
	v_dual_mov_b32 v5, s10 :: v_dual_mov_b32 v6, s11
	s_xor_b32 exec_lo, exec_lo, s13
; %bb.17:                               ;   in Loop: Header=BB281_4 Depth=1
	v_cmp_ne_u16_e32 vcc_lo, 0, v8
	v_mov_b32_e32 v5, 0
	v_mov_b32_e32 v6, 0
	s_and_not1_b32 s2, s2, exec_lo
	s_and_b32 s20, vcc_lo, exec_lo
	s_delay_alu instid0(SALU_CYCLE_1)
	s_or_b32 s2, s2, s20
; %bb.18:                               ;   in Loop: Header=BB281_4 Depth=1
	s_or_b32 exec_lo, exec_lo, s13
	s_and_saveexec_b32 s13, s2
	s_cbranch_execz .LBB281_20
; %bb.19:                               ;   in Loop: Header=BB281_4 Depth=1
	v_bfe_u32 v5, v4, 8, 3
	v_bfe_u32 v9, v4, 11, 4
	s_delay_alu instid0(VALU_DEP_2) | instskip(NEXT) | instid1(VALU_DEP_2)
	v_clz_i32_u32_e32 v6, v5
	v_cmp_eq_u32_e32 vcc_lo, 0, v9
	s_delay_alu instid0(VALU_DEP_2) | instskip(NEXT) | instid1(VALU_DEP_1)
	v_min_u32_e32 v6, 32, v6
	v_subrev_nc_u32_e32 v8, 28, v6
	v_sub_nc_u32_e32 v6, 29, v6
	s_delay_alu instid0(VALU_DEP_2) | instskip(NEXT) | instid1(VALU_DEP_2)
	v_lshlrev_b32_e32 v8, v8, v7
	v_dual_cndmask_b32 v6, v9, v6 :: v_dual_lshlrev_b32 v7, 24, v7
	s_delay_alu instid0(VALU_DEP_2) | instskip(NEXT) | instid1(VALU_DEP_2)
	v_and_b32_e32 v8, 7, v8
	v_and_b32_e32 v7, 0x80000000, v7
	s_delay_alu instid0(VALU_DEP_3) | instskip(NEXT) | instid1(VALU_DEP_3)
	v_lshl_add_u32 v6, v6, 23, 0x3b800000
	v_cndmask_b32_e32 v5, v5, v8, vcc_lo
	s_delay_alu instid0(VALU_DEP_1) | instskip(NEXT) | instid1(VALU_DEP_1)
	v_lshlrev_b32_e32 v5, 20, v5
	v_or3_b32 v5, v7, v6, v5
	s_delay_alu instid0(VALU_DEP_1)
	v_cvt_f64_f32_e32 v[5:6], v5
.LBB281_20:                             ;   in Loop: Header=BB281_4 Depth=1
	s_or_b32 exec_lo, exec_lo, s13
	v_lshrrev_b32_e32 v7, 16, v4
	s_mov_b32 s2, 0
	s_mov_b32 s13, exec_lo
	s_delay_alu instid0(VALU_DEP_1) | instskip(NEXT) | instid1(VALU_DEP_1)
	v_and_b32_e32 v8, 0xff, v7
	v_cmpx_lt_i16_e32 0x7f, v8
	s_xor_b32 s13, exec_lo, s13
	s_cbranch_execz .LBB281_24
; %bb.21:                               ;   in Loop: Header=BB281_4 Depth=1
	s_mov_b32 s2, -1
	s_mov_b32 s20, exec_lo
	v_cmpx_eq_u16_e32 0x80, v8
; %bb.22:                               ;   in Loop: Header=BB281_4 Depth=1
	s_xor_b32 s2, exec_lo, -1
; %bb.23:                               ;   in Loop: Header=BB281_4 Depth=1
	s_or_b32 exec_lo, exec_lo, s20
	s_delay_alu instid0(SALU_CYCLE_1)
	s_and_b32 s2, s2, exec_lo
                                        ; implicit-def: $vgpr8
.LBB281_24:                             ;   in Loop: Header=BB281_4 Depth=1
	s_or_saveexec_b32 s13, s13
	v_dual_mov_b32 v9, s10 :: v_dual_mov_b32 v10, s11
	s_xor_b32 exec_lo, exec_lo, s13
; %bb.25:                               ;   in Loop: Header=BB281_4 Depth=1
	v_cmp_ne_u16_e32 vcc_lo, 0, v8
	v_mov_b32_e32 v9, 0
	v_mov_b32_e32 v10, 0
	s_and_not1_b32 s2, s2, exec_lo
	s_and_b32 s20, vcc_lo, exec_lo
	s_delay_alu instid0(SALU_CYCLE_1)
	s_or_b32 s2, s2, s20
; %bb.26:                               ;   in Loop: Header=BB281_4 Depth=1
	s_or_b32 exec_lo, exec_lo, s13
	s_and_saveexec_b32 s13, s2
	s_cbranch_execz .LBB281_28
; %bb.27:                               ;   in Loop: Header=BB281_4 Depth=1
	v_bfe_u32 v8, v4, 16, 3
	v_bfe_u32 v11, v4, 19, 4
	s_delay_alu instid0(VALU_DEP_2) | instskip(NEXT) | instid1(VALU_DEP_2)
	v_clz_i32_u32_e32 v9, v8
	v_cmp_eq_u32_e32 vcc_lo, 0, v11
	s_delay_alu instid0(VALU_DEP_2) | instskip(NEXT) | instid1(VALU_DEP_1)
	v_min_u32_e32 v9, 32, v9
	v_subrev_nc_u32_e32 v10, 28, v9
	v_sub_nc_u32_e32 v9, 29, v9
	s_delay_alu instid0(VALU_DEP_1) | instskip(NEXT) | instid1(VALU_DEP_1)
	v_dual_cndmask_b32 v9, v11, v9 :: v_dual_lshlrev_b32 v10, v10, v7
	v_and_b32_e32 v10, 7, v10
	v_lshlrev_b32_e32 v7, 24, v7
	s_delay_alu instid0(VALU_DEP_3) | instskip(NEXT) | instid1(VALU_DEP_2)
	v_lshl_add_u32 v9, v9, 23, 0x3b800000
	v_dual_cndmask_b32 v8, v8, v10 :: v_dual_and_b32 v7, 0x80000000, v7
	s_delay_alu instid0(VALU_DEP_1) | instskip(NEXT) | instid1(VALU_DEP_1)
	v_lshlrev_b32_e32 v8, 20, v8
	v_or3_b32 v7, v7, v9, v8
	s_delay_alu instid0(VALU_DEP_1)
	v_cvt_f64_f32_e32 v[9:10], v7
.LBB281_28:                             ;   in Loop: Header=BB281_4 Depth=1
	s_or_b32 exec_lo, exec_lo, s13
	v_lshrrev_b32_e32 v7, 24, v4
	s_mov_b32 s2, 0
	s_mov_b32 s13, exec_lo
	s_delay_alu instid0(VALU_DEP_1)
	v_cmpx_lt_i16_e32 0x7f, v7
	s_xor_b32 s13, exec_lo, s13
	s_cbranch_execz .LBB281_32
; %bb.29:                               ;   in Loop: Header=BB281_4 Depth=1
	s_mov_b32 s2, -1
	s_mov_b32 s20, exec_lo
	v_cmpx_eq_u16_e32 0x80, v7
; %bb.30:                               ;   in Loop: Header=BB281_4 Depth=1
	s_xor_b32 s2, exec_lo, -1
; %bb.31:                               ;   in Loop: Header=BB281_4 Depth=1
	s_or_b32 exec_lo, exec_lo, s20
	s_delay_alu instid0(SALU_CYCLE_1)
	s_and_b32 s2, s2, exec_lo
.LBB281_32:                             ;   in Loop: Header=BB281_4 Depth=1
	s_or_saveexec_b32 s13, s13
	v_dual_mov_b32 v14, s11 :: v_dual_mov_b32 v13, s10
	s_xor_b32 exec_lo, exec_lo, s13
; %bb.33:                               ;   in Loop: Header=BB281_4 Depth=1
	v_cmp_ne_u16_e32 vcc_lo, 0, v7
	v_mov_b32_e32 v13, 0
	v_mov_b32_e32 v14, 0
	s_and_not1_b32 s2, s2, exec_lo
	s_and_b32 s20, vcc_lo, exec_lo
	s_delay_alu instid0(SALU_CYCLE_1)
	s_or_b32 s2, s2, s20
; %bb.34:                               ;   in Loop: Header=BB281_4 Depth=1
	s_or_b32 exec_lo, exec_lo, s13
	s_and_saveexec_b32 s13, s2
	s_cbranch_execz .LBB281_3
; %bb.35:                               ;   in Loop: Header=BB281_4 Depth=1
	v_bfe_u32 v8, v4, 24, 3
	s_delay_alu instid0(VALU_DEP_1) | instskip(NEXT) | instid1(VALU_DEP_1)
	v_clz_i32_u32_e32 v11, v8
	v_min_u32_e32 v11, 32, v11
	s_delay_alu instid0(VALU_DEP_1) | instskip(SKIP_1) | instid1(VALU_DEP_2)
	v_subrev_nc_u32_e32 v12, 28, v11
	v_sub_nc_u32_e32 v11, 29, v11
	v_lshlrev_b32_e32 v7, v12, v7
	v_bfe_u32 v12, v4, 27, 4
	v_and_b32_e32 v4, 0x80000000, v4
	s_delay_alu instid0(VALU_DEP_3) | instskip(NEXT) | instid1(VALU_DEP_3)
	v_and_b32_e32 v7, 7, v7
	v_cmp_eq_u32_e32 vcc_lo, 0, v12
	v_cndmask_b32_e32 v11, v12, v11, vcc_lo
	s_delay_alu instid0(VALU_DEP_3) | instskip(NEXT) | instid1(VALU_DEP_2)
	v_cndmask_b32_e32 v7, v8, v7, vcc_lo
	v_lshl_add_u32 v8, v11, 23, 0x3b800000
	s_delay_alu instid0(VALU_DEP_2) | instskip(NEXT) | instid1(VALU_DEP_1)
	v_lshlrev_b32_e32 v7, 20, v7
	v_or3_b32 v4, v4, v8, v7
	s_delay_alu instid0(VALU_DEP_1)
	v_cvt_f64_f32_e32 v[13:14], v4
	s_branch .LBB281_3
.LBB281_36:
	s_or_b32 exec_lo, exec_lo, s18
	s_mov_b32 s10, 0
.LBB281_37:
	s_delay_alu instid0(SALU_CYCLE_1)
	s_and_not1_b32 vcc_lo, exec_lo, s10
	s_cbranch_vccnz .LBB281_89
; %bb.38:
	v_cmp_lt_i64_e64 s2, s[4:5], 1
	s_delay_alu instid0(VALU_DEP_1)
	s_and_b32 vcc_lo, exec_lo, s2
	s_cbranch_vccnz .LBB281_89
; %bb.39:
	s_load_b32 s0, s[0:1], 0xc5c
	v_cmp_gt_u64_e64 s1, 0x10000, s[4:5]
	v_add_co_u32 v1, s2, s8, v0
	s_delay_alu instid0(VALU_DEP_1) | instskip(NEXT) | instid1(VALU_DEP_2)
	v_add_co_ci_u32_e64 v2, null, s9, 0, s2
                                        ; implicit-def: $vgpr39
                                        ; implicit-def: $vgpr40
                                        ; implicit-def: $vgpr41
                                        ; implicit-def: $vgpr42
	v_add_co_u32 v23, vcc_lo, s6, v1
	s_delay_alu instid0(VALU_DEP_2)
	v_add_co_ci_u32_e32 v24, vcc_lo, s7, v2, vcc_lo
	s_waitcnt lgkmcnt(0)
	s_and_b32 s0, s0, 0xffff
	s_and_b32 s1, s1, exec_lo
	v_add_co_u32 v25, s10, v0, s0
	v_mov_b32_e32 v3, 0
	s_mul_i32 s12, s0, 3
	s_cselect_b32 s3, s5, 0
	s_delay_alu instid0(VALU_DEP_2)
	v_lshlrev_b32_e32 v28, 4, v25
	s_cselect_b32 s2, s4, 0x10000
	s_lshl_b32 s11, s0, 1
	s_lshl_b32 s1, s0, 2
	v_add_co_ci_u32_e64 v26, null, 0, 0, s10
	s_lshl_b32 s10, s0, 6
	s_add_u32 s13, s8, s12
	s_addc_u32 s16, s9, 0
	s_add_u32 s13, s6, s13
	v_dual_mov_b32 v18, v3 :: v_dual_lshlrev_b32 v17, 4, v0
	s_addc_u32 s16, s7, s16
	s_add_u32 s8, s8, s11
	s_addc_u32 s9, s9, 0
	s_add_u32 s8, s6, s8
	s_addc_u32 s9, s7, s9
	v_mad_u64_u32 v[19:20], null, s0, 48, v[17:18]
	s_add_u32 s6, s6, s0
	s_addc_u32 s7, s7, 0
	s_lshl_b32 s0, s0, 5
	v_add_co_u32 v18, s13, s13, v0
	v_add_co_u32 v4, s0, s0, v17
	;; [unrolled: 1-line block ×4, first 2 shown]
	v_add_co_u32 v33, vcc_lo, s6, v1
	v_add_co_ci_u32_e64 v35, null, 0, 0, s0
	v_add_co_u32 v37, s0, s11, v0
	v_add_co_ci_u32_e64 v27, null, s16, 0, s13
	v_or_b32_e32 v19, 8, v19
	v_add_co_ci_u32_e64 v30, null, 0, 0, s12
	v_add_co_ci_u32_e64 v32, null, s9, 0, s8
	v_add_co_ci_u32_e32 v34, vcc_lo, s7, v2, vcc_lo
	v_or_b32_e32 v36, 8, v4
	v_add_co_ci_u32_e64 v38, null, 0, 0, s0
	s_brev_b32 s6, 4
	s_mov_b32 s7, 0x7ff80000
	s_mov_b64 s[8:9], 0
	s_branch .LBB281_41
.LBB281_40:                             ;   in Loop: Header=BB281_41 Depth=1
	s_or_b32 exec_lo, exec_lo, s0
	s_add_u32 s8, s8, s1
	s_addc_u32 s9, s9, 0
	s_delay_alu instid0(SALU_CYCLE_1) | instskip(SKIP_1) | instid1(VALU_DEP_1)
	v_cmp_ge_i64_e64 s0, s[8:9], s[4:5]
	v_cmp_lt_u64_e64 s11, 0xffff, s[8:9]
	s_or_b32 s0, s0, s11
	s_add_u32 s14, s14, s10
	s_addc_u32 s15, s15, 0
	s_and_b32 vcc_lo, exec_lo, s0
	s_cbranch_vccnz .LBB281_89
.LBB281_41:                             ; =>This Inner Loop Header: Depth=1
	v_add_co_u32 v7, s0, v0, s8
	s_delay_alu instid0(VALU_DEP_1) | instskip(NEXT) | instid1(VALU_DEP_1)
	v_add_co_ci_u32_e64 v8, null, 0, s9, s0
	v_cmp_gt_i64_e32 vcc_lo, s[4:5], v[7:8]
	v_cmp_gt_u64_e64 s0, 0x10000, v[7:8]
	s_delay_alu instid0(VALU_DEP_1) | instskip(NEXT) | instid1(SALU_CYCLE_1)
	s_and_b32 s11, vcc_lo, s0
	s_and_saveexec_b32 s0, s11
	s_cbranch_execz .LBB281_43
; %bb.42:                               ;   in Loop: Header=BB281_41 Depth=1
	v_add_co_u32 v1, vcc_lo, v23, s8
	v_add_co_ci_u32_e32 v2, vcc_lo, s9, v24, vcc_lo
	global_load_u8 v42, v[1:2], off
.LBB281_43:                             ;   in Loop: Header=BB281_41 Depth=1
	s_or_b32 exec_lo, exec_lo, s0
	v_add_co_u32 v11, vcc_lo, v25, s8
	v_add_co_ci_u32_e32 v12, vcc_lo, s9, v26, vcc_lo
	s_delay_alu instid0(VALU_DEP_1) | instskip(SKIP_1) | instid1(VALU_DEP_1)
	v_cmp_gt_i64_e32 vcc_lo, s[4:5], v[11:12]
	v_cmp_gt_u64_e64 s0, 0x10000, v[11:12]
	s_and_b32 s11, vcc_lo, s0
	s_delay_alu instid0(SALU_CYCLE_1)
	s_and_saveexec_b32 s0, s11
	s_cbranch_execz .LBB281_45
; %bb.44:                               ;   in Loop: Header=BB281_41 Depth=1
	v_add_co_u32 v1, vcc_lo, v33, s8
	v_add_co_ci_u32_e32 v2, vcc_lo, s9, v34, vcc_lo
	global_load_u8 v41, v[1:2], off
.LBB281_45:                             ;   in Loop: Header=BB281_41 Depth=1
	s_or_b32 exec_lo, exec_lo, s0
	v_add_co_u32 v15, vcc_lo, v37, s8
	v_add_co_ci_u32_e32 v16, vcc_lo, s9, v38, vcc_lo
	s_delay_alu instid0(VALU_DEP_1) | instskip(SKIP_1) | instid1(VALU_DEP_1)
	v_cmp_gt_i64_e32 vcc_lo, s[4:5], v[15:16]
	v_cmp_gt_u64_e64 s0, 0x10000, v[15:16]
	s_and_b32 s11, vcc_lo, s0
	s_delay_alu instid0(SALU_CYCLE_1)
	;; [unrolled: 15-line block ×3, first 2 shown]
	s_and_saveexec_b32 s0, s11
	s_cbranch_execz .LBB281_49
; %bb.48:                               ;   in Loop: Header=BB281_41 Depth=1
	v_add_co_u32 v1, vcc_lo, v18, s8
	v_add_co_ci_u32_e32 v2, vcc_lo, s9, v27, vcc_lo
	global_load_u8 v39, v[1:2], off
.LBB281_49:                             ;   in Loop: Header=BB281_41 Depth=1
	s_or_b32 exec_lo, exec_lo, s0
	s_waitcnt vmcnt(0)
	v_and_b32_e32 v4, 0xff, v42
	s_mov_b32 s0, 0
	s_mov_b32 s11, exec_lo
	s_delay_alu instid0(VALU_DEP_1)
	v_cmpx_lt_i16_e32 0x7f, v4
	s_xor_b32 s11, exec_lo, s11
	s_cbranch_execz .LBB281_53
; %bb.50:                               ;   in Loop: Header=BB281_41 Depth=1
	s_mov_b32 s0, -1
	s_mov_b32 s12, exec_lo
	v_cmpx_eq_u16_e32 0x80, v4
; %bb.51:                               ;   in Loop: Header=BB281_41 Depth=1
	s_xor_b32 s0, exec_lo, -1
; %bb.52:                               ;   in Loop: Header=BB281_41 Depth=1
	s_or_b32 exec_lo, exec_lo, s12
	s_delay_alu instid0(SALU_CYCLE_1)
	s_and_b32 s0, s0, exec_lo
                                        ; implicit-def: $vgpr4
.LBB281_53:                             ;   in Loop: Header=BB281_41 Depth=1
	s_or_saveexec_b32 s11, s11
	v_dual_mov_b32 v1, s6 :: v_dual_mov_b32 v2, s7
	s_xor_b32 exec_lo, exec_lo, s11
; %bb.54:                               ;   in Loop: Header=BB281_41 Depth=1
	v_cmp_ne_u16_e32 vcc_lo, 0, v4
	v_mov_b32_e32 v1, 0
	v_mov_b32_e32 v2, 0
	s_and_not1_b32 s0, s0, exec_lo
	s_and_b32 s12, vcc_lo, exec_lo
	s_delay_alu instid0(SALU_CYCLE_1)
	s_or_b32 s0, s0, s12
; %bb.55:                               ;   in Loop: Header=BB281_41 Depth=1
	s_or_b32 exec_lo, exec_lo, s11
	s_and_saveexec_b32 s11, s0
	s_cbranch_execz .LBB281_57
; %bb.56:                               ;   in Loop: Header=BB281_41 Depth=1
	v_and_b32_e32 v1, 7, v42
	v_lshrrev_b16 v5, 3, v42
	s_delay_alu instid0(VALU_DEP_2) | instskip(NEXT) | instid1(VALU_DEP_2)
	v_clz_i32_u32_e32 v2, v1
	v_and_b32_e32 v5, 15, v5
	s_delay_alu instid0(VALU_DEP_2) | instskip(NEXT) | instid1(VALU_DEP_2)
	v_min_u32_e32 v2, 32, v2
	v_cmp_eq_u32_e32 vcc_lo, 0, v5
	s_delay_alu instid0(VALU_DEP_2) | instskip(SKIP_1) | instid1(VALU_DEP_2)
	v_subrev_nc_u32_e32 v4, 28, v2
	v_sub_nc_u32_e32 v2, 29, v2
	v_lshlrev_b32_e32 v4, v4, v42
	s_delay_alu instid0(VALU_DEP_1) | instskip(NEXT) | instid1(VALU_DEP_1)
	v_and_b32_e32 v4, 7, v4
	v_dual_cndmask_b32 v1, v1, v4 :: v_dual_lshlrev_b32 v6, 24, v42
	s_delay_alu instid0(VALU_DEP_4) | instskip(NEXT) | instid1(VALU_DEP_2)
	v_cndmask_b32_e32 v2, v5, v2, vcc_lo
	v_and_b32_e32 v4, 0x80000000, v6
	s_delay_alu instid0(VALU_DEP_3) | instskip(NEXT) | instid1(VALU_DEP_3)
	v_lshlrev_b32_e32 v1, 20, v1
	v_lshl_add_u32 v2, v2, 23, 0x3b800000
	s_delay_alu instid0(VALU_DEP_1) | instskip(NEXT) | instid1(VALU_DEP_1)
	v_or3_b32 v1, v4, v2, v1
	v_cvt_f64_f32_e32 v[1:2], v1
.LBB281_57:                             ;   in Loop: Header=BB281_41 Depth=1
	s_or_b32 exec_lo, exec_lo, s11
	v_and_b32_e32 v4, 0xff, v41
	s_mov_b32 s0, 0
	s_mov_b32 s11, exec_lo
	s_delay_alu instid0(VALU_DEP_1)
	v_cmpx_lt_i16_e32 0x7f, v4
	s_xor_b32 s11, exec_lo, s11
	s_cbranch_execz .LBB281_61
; %bb.58:                               ;   in Loop: Header=BB281_41 Depth=1
	s_mov_b32 s0, -1
	s_mov_b32 s12, exec_lo
	v_cmpx_eq_u16_e32 0x80, v4
; %bb.59:                               ;   in Loop: Header=BB281_41 Depth=1
	s_xor_b32 s0, exec_lo, -1
; %bb.60:                               ;   in Loop: Header=BB281_41 Depth=1
	s_or_b32 exec_lo, exec_lo, s12
	s_delay_alu instid0(SALU_CYCLE_1)
	s_and_b32 s0, s0, exec_lo
                                        ; implicit-def: $vgpr4
.LBB281_61:                             ;   in Loop: Header=BB281_41 Depth=1
	s_or_saveexec_b32 s11, s11
	v_dual_mov_b32 v5, s6 :: v_dual_mov_b32 v6, s7
	s_xor_b32 exec_lo, exec_lo, s11
; %bb.62:                               ;   in Loop: Header=BB281_41 Depth=1
	v_cmp_ne_u16_e32 vcc_lo, 0, v4
	v_mov_b32_e32 v5, 0
	v_mov_b32_e32 v6, 0
	s_and_not1_b32 s0, s0, exec_lo
	s_and_b32 s12, vcc_lo, exec_lo
	s_delay_alu instid0(SALU_CYCLE_1)
	s_or_b32 s0, s0, s12
; %bb.63:                               ;   in Loop: Header=BB281_41 Depth=1
	s_or_b32 exec_lo, exec_lo, s11
	s_and_saveexec_b32 s11, s0
	s_cbranch_execz .LBB281_65
; %bb.64:                               ;   in Loop: Header=BB281_41 Depth=1
	v_and_b32_e32 v4, 7, v41
	v_lshrrev_b16 v9, 3, v41
	v_lshlrev_b32_e32 v10, 24, v41
	s_delay_alu instid0(VALU_DEP_3) | instskip(NEXT) | instid1(VALU_DEP_1)
	v_clz_i32_u32_e32 v5, v4
	v_min_u32_e32 v5, 32, v5
	s_delay_alu instid0(VALU_DEP_1) | instskip(SKIP_1) | instid1(VALU_DEP_2)
	v_subrev_nc_u32_e32 v6, 28, v5
	v_sub_nc_u32_e32 v5, 29, v5
	v_lshlrev_b32_e32 v6, v6, v41
	s_delay_alu instid0(VALU_DEP_1) | instskip(SKIP_1) | instid1(VALU_DEP_1)
	v_and_b32_e32 v6, 7, v6
	v_and_b32_e32 v9, 15, v9
	v_cmp_eq_u32_e32 vcc_lo, 0, v9
	s_delay_alu instid0(VALU_DEP_3) | instskip(SKIP_1) | instid1(VALU_DEP_2)
	v_dual_cndmask_b32 v4, v4, v6 :: v_dual_cndmask_b32 v5, v9, v5
	v_and_b32_e32 v6, 0x80000000, v10
	v_lshlrev_b32_e32 v4, 20, v4
	s_delay_alu instid0(VALU_DEP_3) | instskip(NEXT) | instid1(VALU_DEP_1)
	v_lshl_add_u32 v5, v5, 23, 0x3b800000
	v_or3_b32 v4, v6, v5, v4
	s_delay_alu instid0(VALU_DEP_1)
	v_cvt_f64_f32_e32 v[5:6], v4
.LBB281_65:                             ;   in Loop: Header=BB281_41 Depth=1
	s_or_b32 exec_lo, exec_lo, s11
	v_and_b32_e32 v4, 0xff, v40
	s_mov_b32 s0, 0
	s_mov_b32 s11, exec_lo
	s_delay_alu instid0(VALU_DEP_1)
	v_cmpx_lt_i16_e32 0x7f, v4
	s_xor_b32 s11, exec_lo, s11
	s_cbranch_execz .LBB281_69
; %bb.66:                               ;   in Loop: Header=BB281_41 Depth=1
	s_mov_b32 s0, -1
	s_mov_b32 s12, exec_lo
	v_cmpx_eq_u16_e32 0x80, v4
; %bb.67:                               ;   in Loop: Header=BB281_41 Depth=1
	s_xor_b32 s0, exec_lo, -1
; %bb.68:                               ;   in Loop: Header=BB281_41 Depth=1
	s_or_b32 exec_lo, exec_lo, s12
	s_delay_alu instid0(SALU_CYCLE_1)
	s_and_b32 s0, s0, exec_lo
                                        ; implicit-def: $vgpr4
.LBB281_69:                             ;   in Loop: Header=BB281_41 Depth=1
	s_or_saveexec_b32 s11, s11
	v_dual_mov_b32 v10, s7 :: v_dual_mov_b32 v9, s6
	s_xor_b32 exec_lo, exec_lo, s11
; %bb.70:                               ;   in Loop: Header=BB281_41 Depth=1
	v_cmp_ne_u16_e32 vcc_lo, 0, v4
	v_mov_b32_e32 v9, 0
	v_mov_b32_e32 v10, 0
	s_and_not1_b32 s0, s0, exec_lo
	s_and_b32 s12, vcc_lo, exec_lo
	s_delay_alu instid0(SALU_CYCLE_1)
	s_or_b32 s0, s0, s12
; %bb.71:                               ;   in Loop: Header=BB281_41 Depth=1
	s_or_b32 exec_lo, exec_lo, s11
	s_and_saveexec_b32 s11, s0
	s_cbranch_execz .LBB281_73
; %bb.72:                               ;   in Loop: Header=BB281_41 Depth=1
	v_lshrrev_b16 v13, 3, v40
	v_lshlrev_b32_e32 v14, 24, v40
	s_delay_alu instid0(VALU_DEP_2) | instskip(NEXT) | instid1(VALU_DEP_1)
	v_and_b32_e32 v13, 15, v13
	v_cmp_eq_u32_e32 vcc_lo, 0, v13
	v_and_b32_e32 v4, 7, v40
	s_delay_alu instid0(VALU_DEP_1) | instskip(NEXT) | instid1(VALU_DEP_1)
	v_clz_i32_u32_e32 v9, v4
	v_min_u32_e32 v9, 32, v9
	s_delay_alu instid0(VALU_DEP_1) | instskip(SKIP_1) | instid1(VALU_DEP_1)
	v_subrev_nc_u32_e32 v10, 28, v9
	v_sub_nc_u32_e32 v9, 29, v9
	v_dual_cndmask_b32 v9, v13, v9 :: v_dual_lshlrev_b32 v10, v10, v40
	s_delay_alu instid0(VALU_DEP_1) | instskip(NEXT) | instid1(VALU_DEP_2)
	v_and_b32_e32 v10, 7, v10
	v_lshl_add_u32 v9, v9, 23, 0x3b800000
	s_delay_alu instid0(VALU_DEP_2) | instskip(SKIP_1) | instid1(VALU_DEP_2)
	v_cndmask_b32_e32 v4, v4, v10, vcc_lo
	v_and_b32_e32 v10, 0x80000000, v14
	v_lshlrev_b32_e32 v4, 20, v4
	s_delay_alu instid0(VALU_DEP_1) | instskip(NEXT) | instid1(VALU_DEP_1)
	v_or3_b32 v4, v10, v9, v4
	v_cvt_f64_f32_e32 v[9:10], v4
.LBB281_73:                             ;   in Loop: Header=BB281_41 Depth=1
	s_or_b32 exec_lo, exec_lo, s11
	v_and_b32_e32 v4, 0xff, v39
	s_mov_b32 s0, 0
	s_mov_b32 s11, exec_lo
	s_delay_alu instid0(VALU_DEP_1)
	v_cmpx_lt_i16_e32 0x7f, v4
	s_xor_b32 s11, exec_lo, s11
	s_cbranch_execz .LBB281_77
; %bb.74:                               ;   in Loop: Header=BB281_41 Depth=1
	s_mov_b32 s0, -1
	s_mov_b32 s12, exec_lo
	v_cmpx_eq_u16_e32 0x80, v4
; %bb.75:                               ;   in Loop: Header=BB281_41 Depth=1
	s_xor_b32 s0, exec_lo, -1
; %bb.76:                               ;   in Loop: Header=BB281_41 Depth=1
	s_or_b32 exec_lo, exec_lo, s12
	s_delay_alu instid0(SALU_CYCLE_1)
	s_and_b32 s0, s0, exec_lo
                                        ; implicit-def: $vgpr4
.LBB281_77:                             ;   in Loop: Header=BB281_41 Depth=1
	s_or_saveexec_b32 s11, s11
	v_dual_mov_b32 v14, s7 :: v_dual_mov_b32 v13, s6
	s_xor_b32 exec_lo, exec_lo, s11
; %bb.78:                               ;   in Loop: Header=BB281_41 Depth=1
	v_cmp_ne_u16_e32 vcc_lo, 0, v4
	v_mov_b32_e32 v13, 0
	v_mov_b32_e32 v14, 0
	s_and_not1_b32 s0, s0, exec_lo
	s_and_b32 s12, vcc_lo, exec_lo
	s_delay_alu instid0(SALU_CYCLE_1)
	s_or_b32 s0, s0, s12
; %bb.79:                               ;   in Loop: Header=BB281_41 Depth=1
	s_or_b32 exec_lo, exec_lo, s11
	s_and_saveexec_b32 s11, s0
	s_cbranch_execz .LBB281_81
; %bb.80:                               ;   in Loop: Header=BB281_41 Depth=1
	v_lshrrev_b16 v43, 3, v39
	v_lshlrev_b32_e32 v44, 24, v39
	s_delay_alu instid0(VALU_DEP_2) | instskip(NEXT) | instid1(VALU_DEP_1)
	v_and_b32_e32 v43, 15, v43
	v_cmp_eq_u32_e32 vcc_lo, 0, v43
	v_and_b32_e32 v4, 7, v39
	s_delay_alu instid0(VALU_DEP_1) | instskip(NEXT) | instid1(VALU_DEP_1)
	v_clz_i32_u32_e32 v13, v4
	v_min_u32_e32 v13, 32, v13
	s_delay_alu instid0(VALU_DEP_1) | instskip(SKIP_1) | instid1(VALU_DEP_1)
	v_subrev_nc_u32_e32 v14, 28, v13
	v_sub_nc_u32_e32 v13, 29, v13
	v_dual_cndmask_b32 v13, v43, v13 :: v_dual_lshlrev_b32 v14, v14, v39
	s_delay_alu instid0(VALU_DEP_1) | instskip(NEXT) | instid1(VALU_DEP_2)
	v_and_b32_e32 v14, 7, v14
	v_lshl_add_u32 v13, v13, 23, 0x3b800000
	s_delay_alu instid0(VALU_DEP_2) | instskip(SKIP_1) | instid1(VALU_DEP_2)
	v_cndmask_b32_e32 v4, v4, v14, vcc_lo
	v_and_b32_e32 v14, 0x80000000, v44
	v_lshlrev_b32_e32 v4, 20, v4
	s_delay_alu instid0(VALU_DEP_1) | instskip(NEXT) | instid1(VALU_DEP_1)
	v_or3_b32 v4, v14, v13, v4
	v_cvt_f64_f32_e32 v[13:14], v4
.LBB281_81:                             ;   in Loop: Header=BB281_41 Depth=1
	s_or_b32 exec_lo, exec_lo, s11
	s_delay_alu instid0(SALU_CYCLE_1)
	s_mov_b32 s0, exec_lo
	v_cmpx_gt_u64_e64 s[2:3], v[7:8]
	s_xor_b32 s0, exec_lo, s0
	s_cbranch_execnz .LBB281_85
; %bb.82:                               ;   in Loop: Header=BB281_41 Depth=1
	s_or_b32 exec_lo, exec_lo, s0
	s_delay_alu instid0(SALU_CYCLE_1)
	s_mov_b32 s0, exec_lo
	v_cmpx_gt_u64_e64 s[2:3], v[11:12]
	s_cbranch_execnz .LBB281_86
.LBB281_83:                             ;   in Loop: Header=BB281_41 Depth=1
	s_or_b32 exec_lo, exec_lo, s0
	s_delay_alu instid0(SALU_CYCLE_1)
	s_mov_b32 s0, exec_lo
	v_cmpx_gt_u64_e64 s[2:3], v[15:16]
	s_cbranch_execnz .LBB281_87
.LBB281_84:                             ;   in Loop: Header=BB281_41 Depth=1
	s_or_b32 exec_lo, exec_lo, s0
	s_delay_alu instid0(SALU_CYCLE_1)
	s_mov_b32 s0, exec_lo
	v_cmpx_gt_u64_e64 s[2:3], v[21:22]
	s_cbranch_execz .LBB281_40
	s_branch .LBB281_88
.LBB281_85:                             ;   in Loop: Header=BB281_41 Depth=1
	v_add_co_u32 v7, s11, s14, v17
	s_delay_alu instid0(VALU_DEP_1) | instskip(SKIP_3) | instid1(SALU_CYCLE_1)
	v_add_co_ci_u32_e64 v8, null, s15, 0, s11
	v_mov_b32_e32 v4, v3
	global_store_b128 v[7:8], v[1:4], off
	s_or_b32 exec_lo, exec_lo, s0
	s_mov_b32 s0, exec_lo
	v_cmpx_gt_u64_e64 s[2:3], v[11:12]
	s_cbranch_execz .LBB281_83
.LBB281_86:                             ;   in Loop: Header=BB281_41 Depth=1
	v_add_co_u32 v1, s11, s14, v28
	s_delay_alu instid0(VALU_DEP_1) | instskip(SKIP_4) | instid1(SALU_CYCLE_1)
	v_add_co_ci_u32_e64 v2, null, s15, 0, s11
	v_mov_b32_e32 v7, v3
	v_mov_b32_e32 v8, v3
	global_store_b128 v[1:2], v[5:8], off
	s_or_b32 exec_lo, exec_lo, s0
	s_mov_b32 s0, exec_lo
	v_cmpx_gt_u64_e64 s[2:3], v[15:16]
	s_cbranch_execz .LBB281_84
.LBB281_87:                             ;   in Loop: Header=BB281_41 Depth=1
	v_add_co_u32 v1, vcc_lo, s14, v36
	v_add_co_ci_u32_e32 v2, vcc_lo, s15, v35, vcc_lo
	v_mov_b32_e32 v11, v3
	v_mov_b32_e32 v12, v3
	global_store_b128 v[1:2], v[9:12], off offset:-8
	s_or_b32 exec_lo, exec_lo, s0
	s_delay_alu instid0(SALU_CYCLE_1)
	s_mov_b32 s0, exec_lo
	v_cmpx_gt_u64_e64 s[2:3], v[21:22]
	s_cbranch_execz .LBB281_40
.LBB281_88:                             ;   in Loop: Header=BB281_41 Depth=1
	v_add_co_u32 v1, vcc_lo, s14, v19
	v_add_co_ci_u32_e32 v2, vcc_lo, s15, v20, vcc_lo
	v_mov_b32_e32 v15, v3
	v_mov_b32_e32 v16, v3
	global_store_b128 v[1:2], v[13:16], off offset:-8
	s_branch .LBB281_40
.LBB281_89:
	s_nop 0
	s_sendmsg sendmsg(MSG_DEALLOC_VGPRS)
	s_endpgm
	.section	.rodata,"a",@progbits
	.p2align	6, 0x0
	.amdhsa_kernel _ZN2at6native12_GLOBAL__N_125multi_tensor_apply_kernelINS1_18TensorListMetadataILi2EEENS1_11CopyFunctorIN3c107complexIdEENS6_15Float8_e4m3fnuzELi2ELi1ELi1EEEJNS0_4CopyIS8_S9_EEEEEvT_T0_DpT1_
		.amdhsa_group_segment_fixed_size 0
		.amdhsa_private_segment_fixed_size 0
		.amdhsa_kernarg_size 3408
		.amdhsa_user_sgpr_count 15
		.amdhsa_user_sgpr_dispatch_ptr 0
		.amdhsa_user_sgpr_queue_ptr 0
		.amdhsa_user_sgpr_kernarg_segment_ptr 1
		.amdhsa_user_sgpr_dispatch_id 0
		.amdhsa_user_sgpr_private_segment_size 0
		.amdhsa_wavefront_size32 1
		.amdhsa_uses_dynamic_stack 0
		.amdhsa_enable_private_segment 0
		.amdhsa_system_sgpr_workgroup_id_x 1
		.amdhsa_system_sgpr_workgroup_id_y 0
		.amdhsa_system_sgpr_workgroup_id_z 0
		.amdhsa_system_sgpr_workgroup_info 0
		.amdhsa_system_vgpr_workitem_id 0
		.amdhsa_next_free_vgpr 45
		.amdhsa_next_free_sgpr 22
		.amdhsa_reserve_vcc 1
		.amdhsa_float_round_mode_32 0
		.amdhsa_float_round_mode_16_64 0
		.amdhsa_float_denorm_mode_32 3
		.amdhsa_float_denorm_mode_16_64 3
		.amdhsa_dx10_clamp 1
		.amdhsa_ieee_mode 1
		.amdhsa_fp16_overflow 0
		.amdhsa_workgroup_processor_mode 1
		.amdhsa_memory_ordered 1
		.amdhsa_forward_progress 0
		.amdhsa_shared_vgpr_count 0
		.amdhsa_exception_fp_ieee_invalid_op 0
		.amdhsa_exception_fp_denorm_src 0
		.amdhsa_exception_fp_ieee_div_zero 0
		.amdhsa_exception_fp_ieee_overflow 0
		.amdhsa_exception_fp_ieee_underflow 0
		.amdhsa_exception_fp_ieee_inexact 0
		.amdhsa_exception_int_div_zero 0
	.end_amdhsa_kernel
	.section	.text._ZN2at6native12_GLOBAL__N_125multi_tensor_apply_kernelINS1_18TensorListMetadataILi2EEENS1_11CopyFunctorIN3c107complexIdEENS6_15Float8_e4m3fnuzELi2ELi1ELi1EEEJNS0_4CopyIS8_S9_EEEEEvT_T0_DpT1_,"axG",@progbits,_ZN2at6native12_GLOBAL__N_125multi_tensor_apply_kernelINS1_18TensorListMetadataILi2EEENS1_11CopyFunctorIN3c107complexIdEENS6_15Float8_e4m3fnuzELi2ELi1ELi1EEEJNS0_4CopyIS8_S9_EEEEEvT_T0_DpT1_,comdat
.Lfunc_end281:
	.size	_ZN2at6native12_GLOBAL__N_125multi_tensor_apply_kernelINS1_18TensorListMetadataILi2EEENS1_11CopyFunctorIN3c107complexIdEENS6_15Float8_e4m3fnuzELi2ELi1ELi1EEEJNS0_4CopyIS8_S9_EEEEEvT_T0_DpT1_, .Lfunc_end281-_ZN2at6native12_GLOBAL__N_125multi_tensor_apply_kernelINS1_18TensorListMetadataILi2EEENS1_11CopyFunctorIN3c107complexIdEENS6_15Float8_e4m3fnuzELi2ELi1ELi1EEEJNS0_4CopyIS8_S9_EEEEEvT_T0_DpT1_
                                        ; -- End function
	.section	.AMDGPU.csdata,"",@progbits
; Kernel info:
; codeLenInByte = 3416
; NumSgprs: 24
; NumVgprs: 45
; ScratchSize: 0
; MemoryBound: 0
; FloatMode: 240
; IeeeMode: 1
; LDSByteSize: 0 bytes/workgroup (compile time only)
; SGPRBlocks: 2
; VGPRBlocks: 5
; NumSGPRsForWavesPerEU: 24
; NumVGPRsForWavesPerEU: 45
; Occupancy: 16
; WaveLimiterHint : 0
; COMPUTE_PGM_RSRC2:SCRATCH_EN: 0
; COMPUTE_PGM_RSRC2:USER_SGPR: 15
; COMPUTE_PGM_RSRC2:TRAP_HANDLER: 0
; COMPUTE_PGM_RSRC2:TGID_X_EN: 1
; COMPUTE_PGM_RSRC2:TGID_Y_EN: 0
; COMPUTE_PGM_RSRC2:TGID_Z_EN: 0
; COMPUTE_PGM_RSRC2:TIDIG_COMP_CNT: 0
	.section	.text._ZN2at6native12_GLOBAL__N_125multi_tensor_apply_kernelINS1_18TensorListMetadataILi2EEENS1_11CopyFunctorIN3c107complexIdEENS6_11Float8_e5m2ELi2ELi1ELi1EEEJNS0_4CopyIS8_S9_EEEEEvT_T0_DpT1_,"axG",@progbits,_ZN2at6native12_GLOBAL__N_125multi_tensor_apply_kernelINS1_18TensorListMetadataILi2EEENS1_11CopyFunctorIN3c107complexIdEENS6_11Float8_e5m2ELi2ELi1ELi1EEEJNS0_4CopyIS8_S9_EEEEEvT_T0_DpT1_,comdat
	.globl	_ZN2at6native12_GLOBAL__N_125multi_tensor_apply_kernelINS1_18TensorListMetadataILi2EEENS1_11CopyFunctorIN3c107complexIdEENS6_11Float8_e5m2ELi2ELi1ELi1EEEJNS0_4CopyIS8_S9_EEEEEvT_T0_DpT1_ ; -- Begin function _ZN2at6native12_GLOBAL__N_125multi_tensor_apply_kernelINS1_18TensorListMetadataILi2EEENS1_11CopyFunctorIN3c107complexIdEENS6_11Float8_e5m2ELi2ELi1ELi1EEEJNS0_4CopyIS8_S9_EEEEEvT_T0_DpT1_
	.p2align	8
	.type	_ZN2at6native12_GLOBAL__N_125multi_tensor_apply_kernelINS1_18TensorListMetadataILi2EEENS1_11CopyFunctorIN3c107complexIdEENS6_11Float8_e5m2ELi2ELi1ELi1EEEJNS0_4CopyIS8_S9_EEEEEvT_T0_DpT1_,@function
_ZN2at6native12_GLOBAL__N_125multi_tensor_apply_kernelINS1_18TensorListMetadataILi2EEENS1_11CopyFunctorIN3c107complexIdEENS6_11Float8_e5m2ELi2ELi1ELi1EEEJNS0_4CopyIS8_S9_EEEEEvT_T0_DpT1_: ; @_ZN2at6native12_GLOBAL__N_125multi_tensor_apply_kernelINS1_18TensorListMetadataILi2EEENS1_11CopyFunctorIN3c107complexIdEENS6_11Float8_e5m2ELi2ELi1ELi1EEEJNS0_4CopyIS8_S9_EEEEEvT_T0_DpT1_
; %bb.0:
	v_mov_b32_e32 v1, s15
	s_add_u32 s2, s0, s15
	s_mul_hi_u32 s3, s15, 3
	s_mul_i32 s15, s15, 3
	s_addc_u32 s4, s1, 0
	global_load_u8 v1, v1, s[0:1] offset:1536
	s_add_u32 s2, s2, s15
	s_addc_u32 s3, s4, s3
	s_mov_b32 s19, 0
	s_load_b32 s4, s[2:3], 0x740
	s_mov_b32 s21, s19
	s_waitcnt vmcnt(0)
	v_readfirstlane_b32 s5, v1
	s_delay_alu instid0(VALU_DEP_1)
	s_lshl_b32 s5, s5, 3
	s_clause 0x2
	s_load_b64 s[6:7], s[0:1], s5 offset:0x0
	s_load_b64 s[2:3], s[0:1], s5 offset:0x200
	;; [unrolled: 1-line block ×3, first 2 shown]
	s_waitcnt lgkmcnt(0)
	s_ashr_i32 s5, s4, 31
	s_delay_alu instid0(SALU_CYCLE_1) | instskip(NEXT) | instid1(SALU_CYCLE_1)
	s_lshl_b64 s[8:9], s[4:5], 16
	s_add_u32 s14, s6, s8
	s_addc_u32 s15, s7, s9
	s_lshl_b64 s[10:11], s[4:5], 20
	s_mov_b32 s5, s19
	s_add_u32 s12, s2, s10
	s_addc_u32 s13, s3, s11
	s_and_b32 s20, s16, 3
	s_and_b32 s4, s12, 63
	s_and_b32 s18, s14, 3
	s_or_b64 s[4:5], s[4:5], s[20:21]
	s_delay_alu instid0(SALU_CYCLE_1)
	s_or_b64 s[18:19], s[18:19], s[4:5]
	s_sub_u32 s4, s16, s8
	s_subb_u32 s5, s17, s9
	s_cmp_eq_u64 s[18:19], 0
	s_mov_b32 s16, -1
	s_cbranch_scc0 .LBB282_5
; %bb.1:
	v_dual_mov_b32 v3, 0 :: v_dual_lshlrev_b32 v2, 2, v0
	s_mov_b32 s16, exec_lo
	s_delay_alu instid0(VALU_DEP_1)
	v_cmpx_gt_i64_e64 s[4:5], v[2:3]
	s_cbranch_execz .LBB282_4
; %bb.2:
	s_load_b32 s17, s[0:1], 0xc5c
	v_dual_mov_b32 v8, v3 :: v_dual_lshlrev_b32 v1, 6, v0
	v_mov_b32_e32 v7, v2
	s_waitcnt lgkmcnt(0)
	s_and_b32 s18, s17, 0xffff
	s_delay_alu instid0(SALU_CYCLE_1) | instskip(SKIP_3) | instid1(VALU_DEP_1)
	s_lshl_b32 s17, s18, 2
	s_add_u32 s2, s2, s10
	s_addc_u32 s3, s3, s11
	v_add_co_u32 v5, s2, s2, v1
	v_add_co_ci_u32_e64 v6, null, s3, 0, s2
	s_mov_b32 s10, 0
	s_lshl_b32 s11, s18, 6
	s_mov_b32 s18, 0xfe00000
.LBB282_3:                              ; =>This Inner Loop Header: Depth=1
	v_add_co_u32 v1, vcc_lo, s14, v7
	v_add_co_ci_u32_e32 v2, vcc_lo, s15, v8, vcc_lo
	global_load_b32 v1, v[1:2], off
	s_waitcnt vmcnt(0)
	v_lshlrev_b16 v2, 8, v1
	v_and_or_b32 v11, 0x7f00, v1, 0.5
	v_lshlrev_b32_e32 v4, 25, v1
	v_lshrrev_b32_e32 v13, 8, v1
	v_lshlrev_b32_e32 v14, 5, v1
	v_and_or_b32 v19, 0x7f00, v2, 0.5
	v_dual_add_f32 v11, -0.5, v11 :: v_dual_lshlrev_b32 v10, 13, v1
	v_lshrrev_b32_e32 v18, 4, v4
	v_lshlrev_b32_e32 v20, 17, v13
	v_and_or_b32 v14, v14, s18, 0x70000000
	v_and_or_b32 v13, 0x7f00, v13, 0.5
	v_add_f32_e32 v19, -0.5, v19
	v_and_or_b32 v10, v10, s18, 0x70000000
	v_lshlrev_b32_e32 v9, 17, v1
	v_dual_mul_f32 v14, 0x7800000, v14 :: v_dual_lshlrev_b32 v15, 8, v1
	v_lshrrev_b32_e32 v16, 16, v1
	v_lshrrev_b32_e32 v17, 3, v1
	v_or_b32_e32 v18, 0x70000000, v18
	v_dual_mul_f32 v10, 0x7800000, v10 :: v_dual_add_f32 v13, -0.5, v13
	v_cmp_gt_u32_e32 vcc_lo, 0x8000000, v20
	v_cmp_gt_u32_e64 s3, 0x8000000, v9
	s_delay_alu instid0(VALU_DEP_4) | instskip(SKIP_2) | instid1(VALU_DEP_4)
	v_dual_mul_f32 v9, 0x7800000, v18 :: v_dual_lshlrev_b32 v12, 16, v1
	v_and_or_b32 v17, v17, s18, 0x70000000
	v_bfe_i32 v2, v2, 0, 16
	v_cndmask_b32_e64 v10, v10, v11, s3
	v_cndmask_b32_e32 v11, v14, v13, vcc_lo
	v_cmp_gt_u32_e32 vcc_lo, 0x8000000, v4
	v_lshlrev_b32_e32 v21, 17, v16
	v_and_or_b32 v16, 0x7f00, v16, 0.5
	v_dual_mul_f32 v17, 0x7800000, v17 :: v_dual_mov_b32 v20, v3
	v_cndmask_b32_e32 v4, v9, v19, vcc_lo
	s_delay_alu instid0(VALU_DEP_4) | instskip(NEXT) | instid1(VALU_DEP_4)
	v_cmp_gt_u32_e64 s2, 0x8000000, v21
	v_add_f32_e32 v16, -0.5, v16
	v_and_or_b32 v9, 0x80000000, v12, v10
	v_mov_b32_e32 v12, v3
	v_and_or_b32 v2, 0x80000000, v2, v4
	v_mov_b32_e32 v4, v3
	v_cndmask_b32_e64 v13, v17, v16, s2
	v_and_or_b32 v11, 0x80000000, v15, v11
	v_cvt_f64_f32_e32 v[9:10], v9
	v_add_co_u32 v7, vcc_lo, s17, v7
	s_delay_alu instid0(VALU_DEP_4) | instskip(NEXT) | instid1(VALU_DEP_4)
	v_and_or_b32 v1, 0x80000000, v1, v13
	v_cvt_f64_f32_e32 v[13:14], v11
	v_add_co_ci_u32_e32 v8, vcc_lo, 0, v8, vcc_lo
	v_mov_b32_e32 v15, v3
	s_delay_alu instid0(VALU_DEP_4) | instskip(SKIP_1) | instid1(VALU_DEP_4)
	v_cvt_f64_f32_e32 v[17:18], v1
	v_cvt_f64_f32_e32 v[1:2], v2
	v_cmp_le_i64_e32 vcc_lo, s[4:5], v[7:8]
	v_cmp_lt_u64_e64 s2, 0xffff, v[7:8]
	v_mov_b32_e32 v16, v3
	v_mov_b32_e32 v19, v3
	;; [unrolled: 1-line block ×3, first 2 shown]
	s_clause 0x3
	global_store_b128 v[5:6], v[13:16], off offset:32
	global_store_b128 v[5:6], v[17:20], off offset:48
	global_store_b128 v[5:6], v[1:4], off
	global_store_b128 v[5:6], v[9:12], off offset:16
	s_or_b32 s2, vcc_lo, s2
	v_add_co_u32 v5, vcc_lo, v5, s11
	v_add_co_ci_u32_e32 v6, vcc_lo, 0, v6, vcc_lo
	s_and_b32 s2, exec_lo, s2
	s_delay_alu instid0(SALU_CYCLE_1) | instskip(NEXT) | instid1(SALU_CYCLE_1)
	s_or_b32 s10, s2, s10
	s_and_not1_b32 exec_lo, exec_lo, s10
	s_cbranch_execnz .LBB282_3
.LBB282_4:
	s_or_b32 exec_lo, exec_lo, s16
	s_mov_b32 s16, 0
.LBB282_5:
	s_delay_alu instid0(SALU_CYCLE_1)
	s_and_not1_b32 vcc_lo, exec_lo, s16
	s_cbranch_vccnz .LBB282_25
; %bb.6:
	v_cmp_lt_i64_e64 s2, s[4:5], 1
	s_delay_alu instid0(VALU_DEP_1)
	s_and_b32 vcc_lo, exec_lo, s2
	s_cbranch_vccnz .LBB282_25
; %bb.7:
	s_load_b32 s0, s[0:1], 0xc5c
	v_cmp_gt_u64_e64 s1, 0x10000, s[4:5]
	v_add_co_u32 v1, s2, s8, v0
	s_delay_alu instid0(VALU_DEP_1) | instskip(NEXT) | instid1(VALU_DEP_2)
	v_add_co_ci_u32_e64 v2, null, s9, 0, s2
                                        ; implicit-def: $vgpr31
                                        ; implicit-def: $vgpr32
                                        ; implicit-def: $vgpr33
                                        ; implicit-def: $vgpr34
	v_add_co_u32 v15, vcc_lo, s6, v1
	s_delay_alu instid0(VALU_DEP_2)
	v_add_co_ci_u32_e32 v16, vcc_lo, s7, v2, vcc_lo
	s_waitcnt lgkmcnt(0)
	s_and_b32 s0, s0, 0xffff
	s_and_b32 s1, s1, exec_lo
	v_add_co_u32 v17, s10, v0, s0
	v_mov_b32_e32 v3, 0
	s_mul_i32 s14, s0, 3
	s_cselect_b32 s3, s5, 0
	s_delay_alu instid0(VALU_DEP_2)
	v_lshlrev_b32_e32 v20, 4, v17
	s_cselect_b32 s2, s4, 0x10000
	s_lshl_b32 s11, s0, 1
	s_lshl_b32 s1, s0, 2
	v_add_co_ci_u32_e64 v18, null, 0, 0, s10
	s_lshl_b32 s10, s0, 6
	s_add_u32 s15, s8, s14
	s_addc_u32 s16, s9, 0
	s_add_u32 s15, s6, s15
	v_dual_mov_b32 v6, v3 :: v_dual_lshlrev_b32 v5, 4, v0
	s_addc_u32 s16, s7, s16
	s_add_u32 s8, s8, s11
	s_addc_u32 s9, s9, 0
	s_add_u32 s8, s6, s8
	s_addc_u32 s9, s7, s9
	v_mad_u64_u32 v[7:8], null, s0, 48, v[5:6]
	s_add_u32 s6, s6, s0
	s_addc_u32 s7, s7, 0
	s_lshl_b32 s0, s0, 5
	v_add_co_u32 v6, s15, s15, v0
	v_add_co_u32 v4, s0, s0, v5
	;; [unrolled: 1-line block ×4, first 2 shown]
	v_add_co_u32 v25, vcc_lo, s6, v1
	v_add_co_ci_u32_e64 v27, null, 0, 0, s0
	v_add_co_u32 v29, s0, s11, v0
	v_add_co_ci_u32_e64 v19, null, s16, 0, s15
	v_or_b32_e32 v7, 8, v7
	v_add_co_ci_u32_e64 v22, null, 0, 0, s14
	v_add_co_ci_u32_e64 v24, null, s9, 0, s8
	v_add_co_ci_u32_e32 v26, vcc_lo, s7, v2, vcc_lo
	v_or_b32_e32 v28, 8, v4
	v_add_co_ci_u32_e64 v30, null, 0, 0, s0
	s_mov_b64 s[6:7], 0
	s_branch .LBB282_9
.LBB282_8:                              ;   in Loop: Header=BB282_9 Depth=1
	s_or_b32 exec_lo, exec_lo, s0
	s_add_u32 s6, s6, s1
	s_addc_u32 s7, s7, 0
	s_delay_alu instid0(SALU_CYCLE_1) | instskip(SKIP_1) | instid1(VALU_DEP_1)
	v_cmp_ge_i64_e64 s0, s[6:7], s[4:5]
	v_cmp_lt_u64_e64 s8, 0xffff, s[6:7]
	s_or_b32 s0, s0, s8
	s_add_u32 s12, s12, s10
	s_addc_u32 s13, s13, 0
	s_and_b32 vcc_lo, exec_lo, s0
	s_cbranch_vccnz .LBB282_25
.LBB282_9:                              ; =>This Inner Loop Header: Depth=1
	v_add_co_u32 v1, s0, v0, s6
	s_delay_alu instid0(VALU_DEP_1) | instskip(NEXT) | instid1(VALU_DEP_1)
	v_add_co_ci_u32_e64 v2, null, 0, s7, s0
	v_cmp_gt_i64_e32 vcc_lo, s[4:5], v[1:2]
	v_cmp_gt_u64_e64 s0, 0x10000, v[1:2]
	s_delay_alu instid0(VALU_DEP_1) | instskip(NEXT) | instid1(SALU_CYCLE_1)
	s_and_b32 s8, vcc_lo, s0
	s_and_saveexec_b32 s0, s8
	s_cbranch_execz .LBB282_11
; %bb.10:                               ;   in Loop: Header=BB282_9 Depth=1
	v_add_co_u32 v9, vcc_lo, v15, s6
	v_add_co_ci_u32_e32 v10, vcc_lo, s7, v16, vcc_lo
	global_load_u8 v34, v[9:10], off
.LBB282_11:                             ;   in Loop: Header=BB282_9 Depth=1
	s_or_b32 exec_lo, exec_lo, s0
	v_add_co_u32 v13, vcc_lo, v17, s6
	v_add_co_ci_u32_e32 v14, vcc_lo, s7, v18, vcc_lo
	s_delay_alu instid0(VALU_DEP_1) | instskip(SKIP_1) | instid1(VALU_DEP_1)
	v_cmp_gt_i64_e32 vcc_lo, s[4:5], v[13:14]
	v_cmp_gt_u64_e64 s0, 0x10000, v[13:14]
	s_and_b32 s8, vcc_lo, s0
	s_delay_alu instid0(SALU_CYCLE_1)
	s_and_saveexec_b32 s0, s8
	s_cbranch_execz .LBB282_13
; %bb.12:                               ;   in Loop: Header=BB282_9 Depth=1
	v_add_co_u32 v9, vcc_lo, v25, s6
	v_add_co_ci_u32_e32 v10, vcc_lo, s7, v26, vcc_lo
	global_load_u8 v33, v[9:10], off
.LBB282_13:                             ;   in Loop: Header=BB282_9 Depth=1
	s_or_b32 exec_lo, exec_lo, s0
	v_add_co_u32 v11, vcc_lo, v29, s6
	v_add_co_ci_u32_e32 v12, vcc_lo, s7, v30, vcc_lo
	s_delay_alu instid0(VALU_DEP_1) | instskip(SKIP_1) | instid1(VALU_DEP_1)
	v_cmp_gt_i64_e32 vcc_lo, s[4:5], v[11:12]
	v_cmp_gt_u64_e64 s0, 0x10000, v[11:12]
	s_and_b32 s8, vcc_lo, s0
	s_delay_alu instid0(SALU_CYCLE_1)
	;; [unrolled: 15-line block ×3, first 2 shown]
	s_and_saveexec_b32 s0, s8
	s_cbranch_execnz .LBB282_20
; %bb.16:                               ;   in Loop: Header=BB282_9 Depth=1
	s_or_b32 exec_lo, exec_lo, s0
	s_delay_alu instid0(SALU_CYCLE_1)
	s_mov_b32 s0, exec_lo
	v_cmpx_gt_u64_e64 s[2:3], v[1:2]
	s_cbranch_execnz .LBB282_21
.LBB282_17:                             ;   in Loop: Header=BB282_9 Depth=1
	s_or_b32 exec_lo, exec_lo, s0
	s_delay_alu instid0(SALU_CYCLE_1)
	s_mov_b32 s0, exec_lo
	v_cmpx_gt_u64_e64 s[2:3], v[13:14]
	s_cbranch_execnz .LBB282_22
.LBB282_18:                             ;   in Loop: Header=BB282_9 Depth=1
	s_or_b32 exec_lo, exec_lo, s0
	s_delay_alu instid0(SALU_CYCLE_1)
	s_mov_b32 s0, exec_lo
	v_cmpx_gt_u64_e64 s[2:3], v[11:12]
	s_cbranch_execnz .LBB282_23
.LBB282_19:                             ;   in Loop: Header=BB282_9 Depth=1
	s_or_b32 exec_lo, exec_lo, s0
	s_delay_alu instid0(SALU_CYCLE_1)
	s_mov_b32 s0, exec_lo
	v_cmpx_gt_u64_e64 s[2:3], v[9:10]
	s_cbranch_execz .LBB282_8
	s_branch .LBB282_24
.LBB282_20:                             ;   in Loop: Header=BB282_9 Depth=1
	v_add_co_u32 v35, vcc_lo, v6, s6
	v_add_co_ci_u32_e32 v36, vcc_lo, s7, v19, vcc_lo
	global_load_u8 v31, v[35:36], off
	s_or_b32 exec_lo, exec_lo, s0
	s_delay_alu instid0(SALU_CYCLE_1)
	s_mov_b32 s0, exec_lo
	v_cmpx_gt_u64_e64 s[2:3], v[1:2]
	s_cbranch_execz .LBB282_17
.LBB282_21:                             ;   in Loop: Header=BB282_9 Depth=1
	s_waitcnt vmcnt(0)
	v_lshlrev_b32_e32 v1, 25, v34
	v_lshlrev_b16 v2, 8, v34
	s_delay_alu instid0(VALU_DEP_2) | instskip(NEXT) | instid1(VALU_DEP_2)
	v_lshrrev_b32_e32 v4, 4, v1
	v_and_or_b32 v35, 0x7f00, v2, 0.5
	v_bfe_i32 v2, v2, 0, 16
	s_delay_alu instid0(VALU_DEP_3) | instskip(NEXT) | instid1(VALU_DEP_1)
	v_or_b32_e32 v4, 0x70000000, v4
	v_dual_add_f32 v35, -0.5, v35 :: v_dual_mul_f32 v4, 0x7800000, v4
	v_cmp_gt_u32_e32 vcc_lo, 0x8000000, v1
	s_delay_alu instid0(VALU_DEP_2) | instskip(SKIP_1) | instid1(VALU_DEP_1)
	v_dual_cndmask_b32 v1, v4, v35 :: v_dual_mov_b32 v4, v3
	v_add_co_u32 v35, s8, s12, v5
	v_add_co_ci_u32_e64 v36, null, s13, 0, s8
	s_delay_alu instid0(VALU_DEP_3) | instskip(NEXT) | instid1(VALU_DEP_1)
	v_and_or_b32 v1, 0x80000000, v2, v1
	v_cvt_f64_f32_e32 v[1:2], v1
	global_store_b128 v[35:36], v[1:4], off
	s_or_b32 exec_lo, exec_lo, s0
	s_delay_alu instid0(SALU_CYCLE_1)
	s_mov_b32 s0, exec_lo
	v_cmpx_gt_u64_e64 s[2:3], v[13:14]
	s_cbranch_execz .LBB282_18
.LBB282_22:                             ;   in Loop: Header=BB282_9 Depth=1
	s_waitcnt vmcnt(0)
	v_lshlrev_b32_e32 v1, 25, v33
	v_lshlrev_b16 v2, 8, v33
	s_delay_alu instid0(VALU_DEP_2) | instskip(NEXT) | instid1(VALU_DEP_2)
	v_lshrrev_b32_e32 v4, 4, v1
	v_and_or_b32 v13, 0x7f00, v2, 0.5
	v_bfe_i32 v2, v2, 0, 16
	s_delay_alu instid0(VALU_DEP_3) | instskip(NEXT) | instid1(VALU_DEP_1)
	v_or_b32_e32 v4, 0x70000000, v4
	v_dual_add_f32 v13, -0.5, v13 :: v_dual_mul_f32 v4, 0x7800000, v4
	v_cmp_gt_u32_e32 vcc_lo, 0x8000000, v1
	s_delay_alu instid0(VALU_DEP_2) | instskip(SKIP_1) | instid1(VALU_DEP_1)
	v_dual_cndmask_b32 v1, v4, v13 :: v_dual_mov_b32 v4, v3
	v_add_co_u32 v13, s8, s12, v20
	v_add_co_ci_u32_e64 v14, null, s13, 0, s8
	s_delay_alu instid0(VALU_DEP_3) | instskip(NEXT) | instid1(VALU_DEP_1)
	v_and_or_b32 v1, 0x80000000, v2, v1
	v_cvt_f64_f32_e32 v[1:2], v1
	global_store_b128 v[13:14], v[1:4], off
	s_or_b32 exec_lo, exec_lo, s0
	s_delay_alu instid0(SALU_CYCLE_1)
	s_mov_b32 s0, exec_lo
	v_cmpx_gt_u64_e64 s[2:3], v[11:12]
	s_cbranch_execz .LBB282_19
.LBB282_23:                             ;   in Loop: Header=BB282_9 Depth=1
	s_waitcnt vmcnt(0)
	v_lshlrev_b32_e32 v1, 25, v32
	v_lshlrev_b16 v2, 8, v32
	s_delay_alu instid0(VALU_DEP_2) | instskip(NEXT) | instid1(VALU_DEP_2)
	v_lshrrev_b32_e32 v4, 4, v1
	v_and_or_b32 v11, 0x7f00, v2, 0.5
	v_cmp_gt_u32_e32 vcc_lo, 0x8000000, v1
	v_bfe_i32 v2, v2, 0, 16
	s_delay_alu instid0(VALU_DEP_4) | instskip(NEXT) | instid1(VALU_DEP_1)
	v_or_b32_e32 v4, 0x70000000, v4
	v_dual_add_f32 v11, -0.5, v11 :: v_dual_mul_f32 v4, 0x7800000, v4
	s_delay_alu instid0(VALU_DEP_1) | instskip(SKIP_2) | instid1(VALU_DEP_3)
	v_cndmask_b32_e32 v1, v4, v11, vcc_lo
	v_add_co_u32 v11, vcc_lo, s12, v28
	v_add_co_ci_u32_e32 v12, vcc_lo, s13, v27, vcc_lo
	v_and_or_b32 v1, 0x80000000, v2, v1
	v_mov_b32_e32 v4, v3
	s_delay_alu instid0(VALU_DEP_2) | instskip(SKIP_2) | instid1(SALU_CYCLE_1)
	v_cvt_f64_f32_e32 v[1:2], v1
	global_store_b128 v[11:12], v[1:4], off offset:-8
	s_or_b32 exec_lo, exec_lo, s0
	s_mov_b32 s0, exec_lo
	v_cmpx_gt_u64_e64 s[2:3], v[9:10]
	s_cbranch_execz .LBB282_8
.LBB282_24:                             ;   in Loop: Header=BB282_9 Depth=1
	s_waitcnt vmcnt(0)
	v_lshlrev_b32_e32 v1, 25, v31
	v_lshlrev_b16 v2, 8, v31
	s_delay_alu instid0(VALU_DEP_2) | instskip(NEXT) | instid1(VALU_DEP_2)
	v_lshrrev_b32_e32 v4, 4, v1
	v_and_or_b32 v9, 0x7f00, v2, 0.5
	v_bfe_i32 v2, v2, 0, 16
	s_delay_alu instid0(VALU_DEP_3) | instskip(NEXT) | instid1(VALU_DEP_1)
	v_or_b32_e32 v4, 0x70000000, v4
	v_dual_add_f32 v9, -0.5, v9 :: v_dual_mul_f32 v4, 0x7800000, v4
	v_cmp_gt_u32_e32 vcc_lo, 0x8000000, v1
	s_delay_alu instid0(VALU_DEP_2) | instskip(SKIP_2) | instid1(VALU_DEP_3)
	v_dual_cndmask_b32 v1, v4, v9 :: v_dual_mov_b32 v4, v3
	v_add_co_u32 v9, vcc_lo, s12, v7
	v_add_co_ci_u32_e32 v10, vcc_lo, s13, v8, vcc_lo
	v_and_or_b32 v1, 0x80000000, v2, v1
	s_delay_alu instid0(VALU_DEP_1)
	v_cvt_f64_f32_e32 v[1:2], v1
	global_store_b128 v[9:10], v[1:4], off offset:-8
	s_branch .LBB282_8
.LBB282_25:
	s_nop 0
	s_sendmsg sendmsg(MSG_DEALLOC_VGPRS)
	s_endpgm
	.section	.rodata,"a",@progbits
	.p2align	6, 0x0
	.amdhsa_kernel _ZN2at6native12_GLOBAL__N_125multi_tensor_apply_kernelINS1_18TensorListMetadataILi2EEENS1_11CopyFunctorIN3c107complexIdEENS6_11Float8_e5m2ELi2ELi1ELi1EEEJNS0_4CopyIS8_S9_EEEEEvT_T0_DpT1_
		.amdhsa_group_segment_fixed_size 0
		.amdhsa_private_segment_fixed_size 0
		.amdhsa_kernarg_size 3408
		.amdhsa_user_sgpr_count 15
		.amdhsa_user_sgpr_dispatch_ptr 0
		.amdhsa_user_sgpr_queue_ptr 0
		.amdhsa_user_sgpr_kernarg_segment_ptr 1
		.amdhsa_user_sgpr_dispatch_id 0
		.amdhsa_user_sgpr_private_segment_size 0
		.amdhsa_wavefront_size32 1
		.amdhsa_uses_dynamic_stack 0
		.amdhsa_enable_private_segment 0
		.amdhsa_system_sgpr_workgroup_id_x 1
		.amdhsa_system_sgpr_workgroup_id_y 0
		.amdhsa_system_sgpr_workgroup_id_z 0
		.amdhsa_system_sgpr_workgroup_info 0
		.amdhsa_system_vgpr_workitem_id 0
		.amdhsa_next_free_vgpr 37
		.amdhsa_next_free_sgpr 22
		.amdhsa_reserve_vcc 1
		.amdhsa_float_round_mode_32 0
		.amdhsa_float_round_mode_16_64 0
		.amdhsa_float_denorm_mode_32 3
		.amdhsa_float_denorm_mode_16_64 3
		.amdhsa_dx10_clamp 1
		.amdhsa_ieee_mode 1
		.amdhsa_fp16_overflow 0
		.amdhsa_workgroup_processor_mode 1
		.amdhsa_memory_ordered 1
		.amdhsa_forward_progress 0
		.amdhsa_shared_vgpr_count 0
		.amdhsa_exception_fp_ieee_invalid_op 0
		.amdhsa_exception_fp_denorm_src 0
		.amdhsa_exception_fp_ieee_div_zero 0
		.amdhsa_exception_fp_ieee_overflow 0
		.amdhsa_exception_fp_ieee_underflow 0
		.amdhsa_exception_fp_ieee_inexact 0
		.amdhsa_exception_int_div_zero 0
	.end_amdhsa_kernel
	.section	.text._ZN2at6native12_GLOBAL__N_125multi_tensor_apply_kernelINS1_18TensorListMetadataILi2EEENS1_11CopyFunctorIN3c107complexIdEENS6_11Float8_e5m2ELi2ELi1ELi1EEEJNS0_4CopyIS8_S9_EEEEEvT_T0_DpT1_,"axG",@progbits,_ZN2at6native12_GLOBAL__N_125multi_tensor_apply_kernelINS1_18TensorListMetadataILi2EEENS1_11CopyFunctorIN3c107complexIdEENS6_11Float8_e5m2ELi2ELi1ELi1EEEJNS0_4CopyIS8_S9_EEEEEvT_T0_DpT1_,comdat
.Lfunc_end282:
	.size	_ZN2at6native12_GLOBAL__N_125multi_tensor_apply_kernelINS1_18TensorListMetadataILi2EEENS1_11CopyFunctorIN3c107complexIdEENS6_11Float8_e5m2ELi2ELi1ELi1EEEJNS0_4CopyIS8_S9_EEEEEvT_T0_DpT1_, .Lfunc_end282-_ZN2at6native12_GLOBAL__N_125multi_tensor_apply_kernelINS1_18TensorListMetadataILi2EEENS1_11CopyFunctorIN3c107complexIdEENS6_11Float8_e5m2ELi2ELi1ELi1EEEJNS0_4CopyIS8_S9_EEEEEvT_T0_DpT1_
                                        ; -- End function
	.section	.AMDGPU.csdata,"",@progbits
; Kernel info:
; codeLenInByte = 2196
; NumSgprs: 24
; NumVgprs: 37
; ScratchSize: 0
; MemoryBound: 0
; FloatMode: 240
; IeeeMode: 1
; LDSByteSize: 0 bytes/workgroup (compile time only)
; SGPRBlocks: 2
; VGPRBlocks: 4
; NumSGPRsForWavesPerEU: 24
; NumVGPRsForWavesPerEU: 37
; Occupancy: 16
; WaveLimiterHint : 0
; COMPUTE_PGM_RSRC2:SCRATCH_EN: 0
; COMPUTE_PGM_RSRC2:USER_SGPR: 15
; COMPUTE_PGM_RSRC2:TRAP_HANDLER: 0
; COMPUTE_PGM_RSRC2:TGID_X_EN: 1
; COMPUTE_PGM_RSRC2:TGID_Y_EN: 0
; COMPUTE_PGM_RSRC2:TGID_Z_EN: 0
; COMPUTE_PGM_RSRC2:TIDIG_COMP_CNT: 0
	.section	.text._ZN2at6native12_GLOBAL__N_125multi_tensor_apply_kernelINS1_18TensorListMetadataILi2EEENS1_11CopyFunctorIN3c107complexIdEENS6_15Float8_e5m2fnuzELi2ELi1ELi1EEEJNS0_4CopyIS8_S9_EEEEEvT_T0_DpT1_,"axG",@progbits,_ZN2at6native12_GLOBAL__N_125multi_tensor_apply_kernelINS1_18TensorListMetadataILi2EEENS1_11CopyFunctorIN3c107complexIdEENS6_15Float8_e5m2fnuzELi2ELi1ELi1EEEJNS0_4CopyIS8_S9_EEEEEvT_T0_DpT1_,comdat
	.globl	_ZN2at6native12_GLOBAL__N_125multi_tensor_apply_kernelINS1_18TensorListMetadataILi2EEENS1_11CopyFunctorIN3c107complexIdEENS6_15Float8_e5m2fnuzELi2ELi1ELi1EEEJNS0_4CopyIS8_S9_EEEEEvT_T0_DpT1_ ; -- Begin function _ZN2at6native12_GLOBAL__N_125multi_tensor_apply_kernelINS1_18TensorListMetadataILi2EEENS1_11CopyFunctorIN3c107complexIdEENS6_15Float8_e5m2fnuzELi2ELi1ELi1EEEJNS0_4CopyIS8_S9_EEEEEvT_T0_DpT1_
	.p2align	8
	.type	_ZN2at6native12_GLOBAL__N_125multi_tensor_apply_kernelINS1_18TensorListMetadataILi2EEENS1_11CopyFunctorIN3c107complexIdEENS6_15Float8_e5m2fnuzELi2ELi1ELi1EEEJNS0_4CopyIS8_S9_EEEEEvT_T0_DpT1_,@function
_ZN2at6native12_GLOBAL__N_125multi_tensor_apply_kernelINS1_18TensorListMetadataILi2EEENS1_11CopyFunctorIN3c107complexIdEENS6_15Float8_e5m2fnuzELi2ELi1ELi1EEEJNS0_4CopyIS8_S9_EEEEEvT_T0_DpT1_: ; @_ZN2at6native12_GLOBAL__N_125multi_tensor_apply_kernelINS1_18TensorListMetadataILi2EEENS1_11CopyFunctorIN3c107complexIdEENS6_15Float8_e5m2fnuzELi2ELi1ELi1EEEJNS0_4CopyIS8_S9_EEEEEvT_T0_DpT1_
; %bb.0:
	v_mov_b32_e32 v1, s15
	s_add_u32 s2, s0, s15
	s_mul_hi_u32 s3, s15, 3
	s_mul_i32 s15, s15, 3
	s_addc_u32 s4, s1, 0
	global_load_u8 v1, v1, s[0:1] offset:1536
	s_add_u32 s2, s2, s15
	s_addc_u32 s3, s4, s3
	s_mov_b32 s19, 0
	s_load_b32 s4, s[2:3], 0x740
	s_mov_b32 s21, s19
	s_waitcnt vmcnt(0)
	v_readfirstlane_b32 s5, v1
	s_delay_alu instid0(VALU_DEP_1)
	s_lshl_b32 s5, s5, 3
	s_clause 0x2
	s_load_b64 s[6:7], s[0:1], s5 offset:0x0
	s_load_b64 s[2:3], s[0:1], s5 offset:0x200
	;; [unrolled: 1-line block ×3, first 2 shown]
	s_waitcnt lgkmcnt(0)
	s_ashr_i32 s5, s4, 31
	s_delay_alu instid0(SALU_CYCLE_1) | instskip(NEXT) | instid1(SALU_CYCLE_1)
	s_lshl_b64 s[8:9], s[4:5], 16
	s_add_u32 s16, s6, s8
	s_addc_u32 s17, s7, s9
	s_lshl_b64 s[12:13], s[4:5], 20
	s_mov_b32 s5, s19
	s_add_u32 s14, s2, s12
	s_addc_u32 s15, s3, s13
	s_and_b32 s20, s10, 3
	s_and_b32 s4, s14, 63
	;; [unrolled: 1-line block ×3, first 2 shown]
	s_or_b64 s[4:5], s[4:5], s[20:21]
	s_delay_alu instid0(SALU_CYCLE_1)
	s_or_b64 s[18:19], s[18:19], s[4:5]
	s_sub_u32 s4, s10, s8
	s_subb_u32 s5, s11, s9
	s_cmp_eq_u64 s[18:19], 0
	s_mov_b32 s10, -1
	s_cbranch_scc0 .LBB283_37
; %bb.1:
	v_dual_mov_b32 v3, 0 :: v_dual_lshlrev_b32 v2, 2, v0
	s_mov_b32 s18, exec_lo
	s_delay_alu instid0(VALU_DEP_1)
	v_cmpx_gt_i64_e64 s[4:5], v[2:3]
	s_cbranch_execz .LBB283_36
; %bb.2:
	s_load_b32 s10, s[0:1], 0xc5c
	v_dual_mov_b32 v20, v3 :: v_dual_lshlrev_b32 v1, 6, v0
	v_mov_b32_e32 v19, v2
	s_waitcnt lgkmcnt(0)
	s_and_b32 s20, s10, 0xffff
	s_brev_b32 s10, 4
	s_lshl_b32 s19, s20, 2
	s_add_u32 s2, s2, s12
	s_addc_u32 s3, s3, s13
	v_add_co_u32 v17, s2, s2, v1
	s_delay_alu instid0(VALU_DEP_1)
	v_add_co_ci_u32_e64 v18, null, s3, 0, s2
	s_mov_b32 s11, 0x7ff80000
	s_mov_b32 s3, 0
	s_lshl_b32 s12, s20, 6
	s_branch .LBB283_4
.LBB283_3:                              ;   in Loop: Header=BB283_4 Depth=1
	s_or_b32 exec_lo, exec_lo, s13
	v_add_co_u32 v19, vcc_lo, s19, v19
	v_add_co_ci_u32_e32 v20, vcc_lo, 0, v20, vcc_lo
	v_mov_b32_e32 v4, v3
	v_mov_b32_e32 v7, v3
	;; [unrolled: 1-line block ×3, first 2 shown]
	s_delay_alu instid0(VALU_DEP_4)
	v_cmp_le_i64_e32 vcc_lo, s[4:5], v[19:20]
	v_cmp_lt_u64_e64 s2, 0xffff, v[19:20]
	v_mov_b32_e32 v11, v3
	v_mov_b32_e32 v12, v3
	;; [unrolled: 1-line block ×4, first 2 shown]
	s_clause 0x3
	global_store_b128 v[17:18], v[1:4], off
	global_store_b128 v[17:18], v[5:8], off offset:16
	global_store_b128 v[17:18], v[9:12], off offset:32
	global_store_b128 v[17:18], v[13:16], off offset:48
	s_or_b32 s2, vcc_lo, s2
	v_add_co_u32 v17, vcc_lo, v17, s12
	v_add_co_ci_u32_e32 v18, vcc_lo, 0, v18, vcc_lo
	s_and_b32 s2, exec_lo, s2
	s_delay_alu instid0(SALU_CYCLE_1) | instskip(NEXT) | instid1(SALU_CYCLE_1)
	s_or_b32 s3, s2, s3
	s_and_not1_b32 exec_lo, exec_lo, s3
	s_cbranch_execz .LBB283_36
.LBB283_4:                              ; =>This Inner Loop Header: Depth=1
	v_add_co_u32 v1, vcc_lo, s16, v19
	v_add_co_ci_u32_e32 v2, vcc_lo, s17, v20, vcc_lo
	s_mov_b32 s2, 0
	s_mov_b32 s13, exec_lo
	global_load_b32 v4, v[1:2], off
	s_waitcnt vmcnt(0)
	v_and_b32_e32 v5, 0xff, v4
	s_delay_alu instid0(VALU_DEP_1)
	v_cmpx_lt_i16_e32 0x7f, v5
	s_xor_b32 s13, exec_lo, s13
	s_cbranch_execz .LBB283_8
; %bb.5:                                ;   in Loop: Header=BB283_4 Depth=1
	s_mov_b32 s2, -1
	s_mov_b32 s20, exec_lo
	v_cmpx_eq_u16_e32 0x80, v5
; %bb.6:                                ;   in Loop: Header=BB283_4 Depth=1
	s_xor_b32 s2, exec_lo, -1
; %bb.7:                                ;   in Loop: Header=BB283_4 Depth=1
	s_or_b32 exec_lo, exec_lo, s20
	s_delay_alu instid0(SALU_CYCLE_1)
	s_and_b32 s2, s2, exec_lo
                                        ; implicit-def: $vgpr5
.LBB283_8:                              ;   in Loop: Header=BB283_4 Depth=1
	s_or_saveexec_b32 s13, s13
	v_dual_mov_b32 v1, s10 :: v_dual_mov_b32 v2, s11
	s_xor_b32 exec_lo, exec_lo, s13
; %bb.9:                                ;   in Loop: Header=BB283_4 Depth=1
	v_cmp_ne_u16_e32 vcc_lo, 0, v5
	v_mov_b32_e32 v1, 0
	v_mov_b32_e32 v2, 0
	s_and_not1_b32 s2, s2, exec_lo
	s_and_b32 s20, vcc_lo, exec_lo
	s_delay_alu instid0(SALU_CYCLE_1)
	s_or_b32 s2, s2, s20
; %bb.10:                               ;   in Loop: Header=BB283_4 Depth=1
	s_or_b32 exec_lo, exec_lo, s13
	s_and_saveexec_b32 s13, s2
	s_cbranch_execz .LBB283_12
; %bb.11:                               ;   in Loop: Header=BB283_4 Depth=1
	v_bfe_u32 v6, v4, 2, 5
	v_lshlrev_b32_e32 v7, 24, v4
	s_delay_alu instid0(VALU_DEP_2) | instskip(SKIP_1) | instid1(VALU_DEP_1)
	v_cmp_eq_u32_e32 vcc_lo, 0, v6
	v_and_b32_e32 v1, 3, v4
	v_clz_i32_u32_e32 v2, v1
	s_delay_alu instid0(VALU_DEP_1) | instskip(NEXT) | instid1(VALU_DEP_1)
	v_min_u32_e32 v2, 32, v2
	v_subrev_nc_u32_e32 v5, 29, v2
	v_sub_nc_u32_e32 v2, 30, v2
	s_delay_alu instid0(VALU_DEP_1) | instskip(NEXT) | instid1(VALU_DEP_1)
	v_dual_cndmask_b32 v2, v6, v2 :: v_dual_lshlrev_b32 v5, v5, v4
	v_and_b32_e32 v5, 3, v5
	s_delay_alu instid0(VALU_DEP_2) | instskip(NEXT) | instid1(VALU_DEP_2)
	v_lshl_add_u32 v2, v2, 23, 0x37800000
	v_cndmask_b32_e32 v1, v1, v5, vcc_lo
	v_and_b32_e32 v5, 0x80000000, v7
	s_delay_alu instid0(VALU_DEP_2) | instskip(NEXT) | instid1(VALU_DEP_1)
	v_lshlrev_b32_e32 v1, 21, v1
	v_or3_b32 v1, v5, v2, v1
	s_delay_alu instid0(VALU_DEP_1)
	v_cvt_f64_f32_e32 v[1:2], v1
.LBB283_12:                             ;   in Loop: Header=BB283_4 Depth=1
	s_or_b32 exec_lo, exec_lo, s13
	v_lshrrev_b32_e32 v7, 8, v4
	s_mov_b32 s2, 0
	s_mov_b32 s13, exec_lo
	s_delay_alu instid0(VALU_DEP_1) | instskip(NEXT) | instid1(VALU_DEP_1)
	v_and_b32_e32 v8, 0xff, v7
	v_cmpx_lt_i16_e32 0x7f, v8
	s_xor_b32 s13, exec_lo, s13
	s_cbranch_execz .LBB283_16
; %bb.13:                               ;   in Loop: Header=BB283_4 Depth=1
	s_mov_b32 s2, -1
	s_mov_b32 s20, exec_lo
	v_cmpx_eq_u16_e32 0x80, v8
; %bb.14:                               ;   in Loop: Header=BB283_4 Depth=1
	s_xor_b32 s2, exec_lo, -1
; %bb.15:                               ;   in Loop: Header=BB283_4 Depth=1
	s_or_b32 exec_lo, exec_lo, s20
	s_delay_alu instid0(SALU_CYCLE_1)
	s_and_b32 s2, s2, exec_lo
                                        ; implicit-def: $vgpr8
.LBB283_16:                             ;   in Loop: Header=BB283_4 Depth=1
	s_or_saveexec_b32 s13, s13
	v_dual_mov_b32 v5, s10 :: v_dual_mov_b32 v6, s11
	s_xor_b32 exec_lo, exec_lo, s13
; %bb.17:                               ;   in Loop: Header=BB283_4 Depth=1
	v_cmp_ne_u16_e32 vcc_lo, 0, v8
	v_mov_b32_e32 v5, 0
	v_mov_b32_e32 v6, 0
	s_and_not1_b32 s2, s2, exec_lo
	s_and_b32 s20, vcc_lo, exec_lo
	s_delay_alu instid0(SALU_CYCLE_1)
	s_or_b32 s2, s2, s20
; %bb.18:                               ;   in Loop: Header=BB283_4 Depth=1
	s_or_b32 exec_lo, exec_lo, s13
	s_and_saveexec_b32 s13, s2
	s_cbranch_execz .LBB283_20
; %bb.19:                               ;   in Loop: Header=BB283_4 Depth=1
	v_bfe_u32 v5, v4, 8, 2
	v_bfe_u32 v9, v4, 10, 5
	s_delay_alu instid0(VALU_DEP_2) | instskip(NEXT) | instid1(VALU_DEP_2)
	v_clz_i32_u32_e32 v6, v5
	v_cmp_eq_u32_e32 vcc_lo, 0, v9
	s_delay_alu instid0(VALU_DEP_2) | instskip(NEXT) | instid1(VALU_DEP_1)
	v_min_u32_e32 v6, 32, v6
	v_subrev_nc_u32_e32 v8, 29, v6
	v_sub_nc_u32_e32 v6, 30, v6
	s_delay_alu instid0(VALU_DEP_2) | instskip(NEXT) | instid1(VALU_DEP_2)
	v_lshlrev_b32_e32 v8, v8, v7
	v_dual_cndmask_b32 v6, v9, v6 :: v_dual_lshlrev_b32 v7, 24, v7
	s_delay_alu instid0(VALU_DEP_2) | instskip(NEXT) | instid1(VALU_DEP_2)
	v_and_b32_e32 v8, 3, v8
	v_and_b32_e32 v7, 0x80000000, v7
	s_delay_alu instid0(VALU_DEP_3) | instskip(NEXT) | instid1(VALU_DEP_3)
	v_lshl_add_u32 v6, v6, 23, 0x37800000
	v_cndmask_b32_e32 v5, v5, v8, vcc_lo
	s_delay_alu instid0(VALU_DEP_1) | instskip(NEXT) | instid1(VALU_DEP_1)
	v_lshlrev_b32_e32 v5, 21, v5
	v_or3_b32 v5, v7, v6, v5
	s_delay_alu instid0(VALU_DEP_1)
	v_cvt_f64_f32_e32 v[5:6], v5
.LBB283_20:                             ;   in Loop: Header=BB283_4 Depth=1
	s_or_b32 exec_lo, exec_lo, s13
	v_lshrrev_b32_e32 v7, 16, v4
	s_mov_b32 s2, 0
	s_mov_b32 s13, exec_lo
	s_delay_alu instid0(VALU_DEP_1) | instskip(NEXT) | instid1(VALU_DEP_1)
	v_and_b32_e32 v8, 0xff, v7
	v_cmpx_lt_i16_e32 0x7f, v8
	s_xor_b32 s13, exec_lo, s13
	s_cbranch_execz .LBB283_24
; %bb.21:                               ;   in Loop: Header=BB283_4 Depth=1
	s_mov_b32 s2, -1
	s_mov_b32 s20, exec_lo
	v_cmpx_eq_u16_e32 0x80, v8
; %bb.22:                               ;   in Loop: Header=BB283_4 Depth=1
	s_xor_b32 s2, exec_lo, -1
; %bb.23:                               ;   in Loop: Header=BB283_4 Depth=1
	s_or_b32 exec_lo, exec_lo, s20
	s_delay_alu instid0(SALU_CYCLE_1)
	s_and_b32 s2, s2, exec_lo
                                        ; implicit-def: $vgpr8
.LBB283_24:                             ;   in Loop: Header=BB283_4 Depth=1
	s_or_saveexec_b32 s13, s13
	v_dual_mov_b32 v9, s10 :: v_dual_mov_b32 v10, s11
	s_xor_b32 exec_lo, exec_lo, s13
; %bb.25:                               ;   in Loop: Header=BB283_4 Depth=1
	v_cmp_ne_u16_e32 vcc_lo, 0, v8
	v_mov_b32_e32 v9, 0
	v_mov_b32_e32 v10, 0
	s_and_not1_b32 s2, s2, exec_lo
	s_and_b32 s20, vcc_lo, exec_lo
	s_delay_alu instid0(SALU_CYCLE_1)
	s_or_b32 s2, s2, s20
; %bb.26:                               ;   in Loop: Header=BB283_4 Depth=1
	s_or_b32 exec_lo, exec_lo, s13
	s_and_saveexec_b32 s13, s2
	s_cbranch_execz .LBB283_28
; %bb.27:                               ;   in Loop: Header=BB283_4 Depth=1
	v_bfe_u32 v8, v4, 16, 2
	v_bfe_u32 v11, v4, 18, 5
	s_delay_alu instid0(VALU_DEP_2) | instskip(NEXT) | instid1(VALU_DEP_2)
	v_clz_i32_u32_e32 v9, v8
	v_cmp_eq_u32_e32 vcc_lo, 0, v11
	s_delay_alu instid0(VALU_DEP_2) | instskip(NEXT) | instid1(VALU_DEP_1)
	v_min_u32_e32 v9, 32, v9
	v_subrev_nc_u32_e32 v10, 29, v9
	v_sub_nc_u32_e32 v9, 30, v9
	s_delay_alu instid0(VALU_DEP_1) | instskip(NEXT) | instid1(VALU_DEP_1)
	v_dual_cndmask_b32 v9, v11, v9 :: v_dual_lshlrev_b32 v10, v10, v7
	v_and_b32_e32 v10, 3, v10
	v_lshlrev_b32_e32 v7, 24, v7
	s_delay_alu instid0(VALU_DEP_3) | instskip(NEXT) | instid1(VALU_DEP_2)
	v_lshl_add_u32 v9, v9, 23, 0x37800000
	v_dual_cndmask_b32 v8, v8, v10 :: v_dual_and_b32 v7, 0x80000000, v7
	s_delay_alu instid0(VALU_DEP_1) | instskip(NEXT) | instid1(VALU_DEP_1)
	v_lshlrev_b32_e32 v8, 21, v8
	v_or3_b32 v7, v7, v9, v8
	s_delay_alu instid0(VALU_DEP_1)
	v_cvt_f64_f32_e32 v[9:10], v7
.LBB283_28:                             ;   in Loop: Header=BB283_4 Depth=1
	s_or_b32 exec_lo, exec_lo, s13
	v_lshrrev_b32_e32 v7, 24, v4
	s_mov_b32 s2, 0
	s_mov_b32 s13, exec_lo
	s_delay_alu instid0(VALU_DEP_1)
	v_cmpx_lt_i16_e32 0x7f, v7
	s_xor_b32 s13, exec_lo, s13
	s_cbranch_execz .LBB283_32
; %bb.29:                               ;   in Loop: Header=BB283_4 Depth=1
	s_mov_b32 s2, -1
	s_mov_b32 s20, exec_lo
	v_cmpx_eq_u16_e32 0x80, v7
; %bb.30:                               ;   in Loop: Header=BB283_4 Depth=1
	s_xor_b32 s2, exec_lo, -1
; %bb.31:                               ;   in Loop: Header=BB283_4 Depth=1
	s_or_b32 exec_lo, exec_lo, s20
	s_delay_alu instid0(SALU_CYCLE_1)
	s_and_b32 s2, s2, exec_lo
.LBB283_32:                             ;   in Loop: Header=BB283_4 Depth=1
	s_or_saveexec_b32 s13, s13
	v_dual_mov_b32 v14, s11 :: v_dual_mov_b32 v13, s10
	s_xor_b32 exec_lo, exec_lo, s13
; %bb.33:                               ;   in Loop: Header=BB283_4 Depth=1
	v_cmp_ne_u16_e32 vcc_lo, 0, v7
	v_mov_b32_e32 v13, 0
	v_mov_b32_e32 v14, 0
	s_and_not1_b32 s2, s2, exec_lo
	s_and_b32 s20, vcc_lo, exec_lo
	s_delay_alu instid0(SALU_CYCLE_1)
	s_or_b32 s2, s2, s20
; %bb.34:                               ;   in Loop: Header=BB283_4 Depth=1
	s_or_b32 exec_lo, exec_lo, s13
	s_and_saveexec_b32 s13, s2
	s_cbranch_execz .LBB283_3
; %bb.35:                               ;   in Loop: Header=BB283_4 Depth=1
	v_bfe_u32 v8, v4, 24, 2
	s_delay_alu instid0(VALU_DEP_1) | instskip(NEXT) | instid1(VALU_DEP_1)
	v_clz_i32_u32_e32 v11, v8
	v_min_u32_e32 v11, 32, v11
	s_delay_alu instid0(VALU_DEP_1) | instskip(SKIP_1) | instid1(VALU_DEP_2)
	v_subrev_nc_u32_e32 v12, 29, v11
	v_sub_nc_u32_e32 v11, 30, v11
	v_lshlrev_b32_e32 v7, v12, v7
	v_bfe_u32 v12, v4, 26, 5
	v_and_b32_e32 v4, 0x80000000, v4
	s_delay_alu instid0(VALU_DEP_3) | instskip(NEXT) | instid1(VALU_DEP_3)
	v_and_b32_e32 v7, 3, v7
	v_cmp_eq_u32_e32 vcc_lo, 0, v12
	v_cndmask_b32_e32 v11, v12, v11, vcc_lo
	s_delay_alu instid0(VALU_DEP_3) | instskip(NEXT) | instid1(VALU_DEP_2)
	v_cndmask_b32_e32 v7, v8, v7, vcc_lo
	v_lshl_add_u32 v8, v11, 23, 0x37800000
	s_delay_alu instid0(VALU_DEP_2) | instskip(NEXT) | instid1(VALU_DEP_1)
	v_lshlrev_b32_e32 v7, 21, v7
	v_or3_b32 v4, v4, v8, v7
	s_delay_alu instid0(VALU_DEP_1)
	v_cvt_f64_f32_e32 v[13:14], v4
	s_branch .LBB283_3
.LBB283_36:
	s_or_b32 exec_lo, exec_lo, s18
	s_mov_b32 s10, 0
.LBB283_37:
	s_delay_alu instid0(SALU_CYCLE_1)
	s_and_not1_b32 vcc_lo, exec_lo, s10
	s_cbranch_vccnz .LBB283_89
; %bb.38:
	v_cmp_lt_i64_e64 s2, s[4:5], 1
	s_delay_alu instid0(VALU_DEP_1)
	s_and_b32 vcc_lo, exec_lo, s2
	s_cbranch_vccnz .LBB283_89
; %bb.39:
	s_load_b32 s0, s[0:1], 0xc5c
	v_cmp_gt_u64_e64 s1, 0x10000, s[4:5]
	v_add_co_u32 v1, s2, s8, v0
	s_delay_alu instid0(VALU_DEP_1) | instskip(NEXT) | instid1(VALU_DEP_2)
	v_add_co_ci_u32_e64 v2, null, s9, 0, s2
                                        ; implicit-def: $vgpr39
                                        ; implicit-def: $vgpr40
                                        ; implicit-def: $vgpr41
                                        ; implicit-def: $vgpr42
	v_add_co_u32 v23, vcc_lo, s6, v1
	s_delay_alu instid0(VALU_DEP_2)
	v_add_co_ci_u32_e32 v24, vcc_lo, s7, v2, vcc_lo
	s_waitcnt lgkmcnt(0)
	s_and_b32 s0, s0, 0xffff
	s_and_b32 s1, s1, exec_lo
	v_add_co_u32 v25, s10, v0, s0
	v_mov_b32_e32 v3, 0
	s_mul_i32 s12, s0, 3
	s_cselect_b32 s3, s5, 0
	s_delay_alu instid0(VALU_DEP_2)
	v_lshlrev_b32_e32 v28, 4, v25
	s_cselect_b32 s2, s4, 0x10000
	s_lshl_b32 s11, s0, 1
	s_lshl_b32 s1, s0, 2
	v_add_co_ci_u32_e64 v26, null, 0, 0, s10
	s_lshl_b32 s10, s0, 6
	s_add_u32 s13, s8, s12
	s_addc_u32 s16, s9, 0
	s_add_u32 s13, s6, s13
	v_dual_mov_b32 v18, v3 :: v_dual_lshlrev_b32 v17, 4, v0
	s_addc_u32 s16, s7, s16
	s_add_u32 s8, s8, s11
	s_addc_u32 s9, s9, 0
	s_add_u32 s8, s6, s8
	s_addc_u32 s9, s7, s9
	v_mad_u64_u32 v[19:20], null, s0, 48, v[17:18]
	s_add_u32 s6, s6, s0
	s_addc_u32 s7, s7, 0
	s_lshl_b32 s0, s0, 5
	v_add_co_u32 v18, s13, s13, v0
	v_add_co_u32 v4, s0, s0, v17
	v_add_co_u32 v29, s12, s12, v0
	v_add_co_u32 v31, s8, s8, v0
	v_add_co_u32 v33, vcc_lo, s6, v1
	v_add_co_ci_u32_e64 v35, null, 0, 0, s0
	v_add_co_u32 v37, s0, s11, v0
	v_add_co_ci_u32_e64 v27, null, s16, 0, s13
	v_or_b32_e32 v19, 8, v19
	v_add_co_ci_u32_e64 v30, null, 0, 0, s12
	v_add_co_ci_u32_e64 v32, null, s9, 0, s8
	v_add_co_ci_u32_e32 v34, vcc_lo, s7, v2, vcc_lo
	v_or_b32_e32 v36, 8, v4
	v_add_co_ci_u32_e64 v38, null, 0, 0, s0
	s_brev_b32 s6, 4
	s_mov_b32 s7, 0x7ff80000
	s_mov_b64 s[8:9], 0
	s_branch .LBB283_41
.LBB283_40:                             ;   in Loop: Header=BB283_41 Depth=1
	s_or_b32 exec_lo, exec_lo, s0
	s_add_u32 s8, s8, s1
	s_addc_u32 s9, s9, 0
	s_delay_alu instid0(SALU_CYCLE_1) | instskip(SKIP_1) | instid1(VALU_DEP_1)
	v_cmp_ge_i64_e64 s0, s[8:9], s[4:5]
	v_cmp_lt_u64_e64 s11, 0xffff, s[8:9]
	s_or_b32 s0, s0, s11
	s_add_u32 s14, s14, s10
	s_addc_u32 s15, s15, 0
	s_and_b32 vcc_lo, exec_lo, s0
	s_cbranch_vccnz .LBB283_89
.LBB283_41:                             ; =>This Inner Loop Header: Depth=1
	v_add_co_u32 v7, s0, v0, s8
	s_delay_alu instid0(VALU_DEP_1) | instskip(NEXT) | instid1(VALU_DEP_1)
	v_add_co_ci_u32_e64 v8, null, 0, s9, s0
	v_cmp_gt_i64_e32 vcc_lo, s[4:5], v[7:8]
	v_cmp_gt_u64_e64 s0, 0x10000, v[7:8]
	s_delay_alu instid0(VALU_DEP_1) | instskip(NEXT) | instid1(SALU_CYCLE_1)
	s_and_b32 s11, vcc_lo, s0
	s_and_saveexec_b32 s0, s11
	s_cbranch_execz .LBB283_43
; %bb.42:                               ;   in Loop: Header=BB283_41 Depth=1
	v_add_co_u32 v1, vcc_lo, v23, s8
	v_add_co_ci_u32_e32 v2, vcc_lo, s9, v24, vcc_lo
	global_load_u8 v42, v[1:2], off
.LBB283_43:                             ;   in Loop: Header=BB283_41 Depth=1
	s_or_b32 exec_lo, exec_lo, s0
	v_add_co_u32 v11, vcc_lo, v25, s8
	v_add_co_ci_u32_e32 v12, vcc_lo, s9, v26, vcc_lo
	s_delay_alu instid0(VALU_DEP_1) | instskip(SKIP_1) | instid1(VALU_DEP_1)
	v_cmp_gt_i64_e32 vcc_lo, s[4:5], v[11:12]
	v_cmp_gt_u64_e64 s0, 0x10000, v[11:12]
	s_and_b32 s11, vcc_lo, s0
	s_delay_alu instid0(SALU_CYCLE_1)
	s_and_saveexec_b32 s0, s11
	s_cbranch_execz .LBB283_45
; %bb.44:                               ;   in Loop: Header=BB283_41 Depth=1
	v_add_co_u32 v1, vcc_lo, v33, s8
	v_add_co_ci_u32_e32 v2, vcc_lo, s9, v34, vcc_lo
	global_load_u8 v41, v[1:2], off
.LBB283_45:                             ;   in Loop: Header=BB283_41 Depth=1
	s_or_b32 exec_lo, exec_lo, s0
	v_add_co_u32 v15, vcc_lo, v37, s8
	v_add_co_ci_u32_e32 v16, vcc_lo, s9, v38, vcc_lo
	s_delay_alu instid0(VALU_DEP_1) | instskip(SKIP_1) | instid1(VALU_DEP_1)
	v_cmp_gt_i64_e32 vcc_lo, s[4:5], v[15:16]
	v_cmp_gt_u64_e64 s0, 0x10000, v[15:16]
	s_and_b32 s11, vcc_lo, s0
	s_delay_alu instid0(SALU_CYCLE_1)
	;; [unrolled: 15-line block ×3, first 2 shown]
	s_and_saveexec_b32 s0, s11
	s_cbranch_execz .LBB283_49
; %bb.48:                               ;   in Loop: Header=BB283_41 Depth=1
	v_add_co_u32 v1, vcc_lo, v18, s8
	v_add_co_ci_u32_e32 v2, vcc_lo, s9, v27, vcc_lo
	global_load_u8 v39, v[1:2], off
.LBB283_49:                             ;   in Loop: Header=BB283_41 Depth=1
	s_or_b32 exec_lo, exec_lo, s0
	s_waitcnt vmcnt(0)
	v_and_b32_e32 v4, 0xff, v42
	s_mov_b32 s0, 0
	s_mov_b32 s11, exec_lo
	s_delay_alu instid0(VALU_DEP_1)
	v_cmpx_lt_i16_e32 0x7f, v4
	s_xor_b32 s11, exec_lo, s11
	s_cbranch_execz .LBB283_53
; %bb.50:                               ;   in Loop: Header=BB283_41 Depth=1
	s_mov_b32 s0, -1
	s_mov_b32 s12, exec_lo
	v_cmpx_eq_u16_e32 0x80, v4
; %bb.51:                               ;   in Loop: Header=BB283_41 Depth=1
	s_xor_b32 s0, exec_lo, -1
; %bb.52:                               ;   in Loop: Header=BB283_41 Depth=1
	s_or_b32 exec_lo, exec_lo, s12
	s_delay_alu instid0(SALU_CYCLE_1)
	s_and_b32 s0, s0, exec_lo
                                        ; implicit-def: $vgpr4
.LBB283_53:                             ;   in Loop: Header=BB283_41 Depth=1
	s_or_saveexec_b32 s11, s11
	v_dual_mov_b32 v1, s6 :: v_dual_mov_b32 v2, s7
	s_xor_b32 exec_lo, exec_lo, s11
; %bb.54:                               ;   in Loop: Header=BB283_41 Depth=1
	v_cmp_ne_u16_e32 vcc_lo, 0, v4
	v_mov_b32_e32 v1, 0
	v_mov_b32_e32 v2, 0
	s_and_not1_b32 s0, s0, exec_lo
	s_and_b32 s12, vcc_lo, exec_lo
	s_delay_alu instid0(SALU_CYCLE_1)
	s_or_b32 s0, s0, s12
; %bb.55:                               ;   in Loop: Header=BB283_41 Depth=1
	s_or_b32 exec_lo, exec_lo, s11
	s_and_saveexec_b32 s11, s0
	s_cbranch_execz .LBB283_57
; %bb.56:                               ;   in Loop: Header=BB283_41 Depth=1
	v_and_b32_e32 v1, 3, v42
	v_lshrrev_b16 v5, 2, v42
	s_delay_alu instid0(VALU_DEP_2) | instskip(NEXT) | instid1(VALU_DEP_2)
	v_clz_i32_u32_e32 v2, v1
	v_and_b32_e32 v5, 31, v5
	s_delay_alu instid0(VALU_DEP_2) | instskip(NEXT) | instid1(VALU_DEP_2)
	v_min_u32_e32 v2, 32, v2
	v_cmp_eq_u32_e32 vcc_lo, 0, v5
	s_delay_alu instid0(VALU_DEP_2) | instskip(SKIP_1) | instid1(VALU_DEP_2)
	v_subrev_nc_u32_e32 v4, 29, v2
	v_sub_nc_u32_e32 v2, 30, v2
	v_lshlrev_b32_e32 v4, v4, v42
	s_delay_alu instid0(VALU_DEP_1) | instskip(NEXT) | instid1(VALU_DEP_1)
	v_and_b32_e32 v4, 3, v4
	v_dual_cndmask_b32 v1, v1, v4 :: v_dual_lshlrev_b32 v6, 24, v42
	s_delay_alu instid0(VALU_DEP_4) | instskip(NEXT) | instid1(VALU_DEP_2)
	v_cndmask_b32_e32 v2, v5, v2, vcc_lo
	v_and_b32_e32 v4, 0x80000000, v6
	s_delay_alu instid0(VALU_DEP_3) | instskip(NEXT) | instid1(VALU_DEP_3)
	v_lshlrev_b32_e32 v1, 21, v1
	v_lshl_add_u32 v2, v2, 23, 0x37800000
	s_delay_alu instid0(VALU_DEP_1) | instskip(NEXT) | instid1(VALU_DEP_1)
	v_or3_b32 v1, v4, v2, v1
	v_cvt_f64_f32_e32 v[1:2], v1
.LBB283_57:                             ;   in Loop: Header=BB283_41 Depth=1
	s_or_b32 exec_lo, exec_lo, s11
	v_and_b32_e32 v4, 0xff, v41
	s_mov_b32 s0, 0
	s_mov_b32 s11, exec_lo
	s_delay_alu instid0(VALU_DEP_1)
	v_cmpx_lt_i16_e32 0x7f, v4
	s_xor_b32 s11, exec_lo, s11
	s_cbranch_execz .LBB283_61
; %bb.58:                               ;   in Loop: Header=BB283_41 Depth=1
	s_mov_b32 s0, -1
	s_mov_b32 s12, exec_lo
	v_cmpx_eq_u16_e32 0x80, v4
; %bb.59:                               ;   in Loop: Header=BB283_41 Depth=1
	s_xor_b32 s0, exec_lo, -1
; %bb.60:                               ;   in Loop: Header=BB283_41 Depth=1
	s_or_b32 exec_lo, exec_lo, s12
	s_delay_alu instid0(SALU_CYCLE_1)
	s_and_b32 s0, s0, exec_lo
                                        ; implicit-def: $vgpr4
.LBB283_61:                             ;   in Loop: Header=BB283_41 Depth=1
	s_or_saveexec_b32 s11, s11
	v_dual_mov_b32 v5, s6 :: v_dual_mov_b32 v6, s7
	s_xor_b32 exec_lo, exec_lo, s11
; %bb.62:                               ;   in Loop: Header=BB283_41 Depth=1
	v_cmp_ne_u16_e32 vcc_lo, 0, v4
	v_mov_b32_e32 v5, 0
	v_mov_b32_e32 v6, 0
	s_and_not1_b32 s0, s0, exec_lo
	s_and_b32 s12, vcc_lo, exec_lo
	s_delay_alu instid0(SALU_CYCLE_1)
	s_or_b32 s0, s0, s12
; %bb.63:                               ;   in Loop: Header=BB283_41 Depth=1
	s_or_b32 exec_lo, exec_lo, s11
	s_and_saveexec_b32 s11, s0
	s_cbranch_execz .LBB283_65
; %bb.64:                               ;   in Loop: Header=BB283_41 Depth=1
	v_and_b32_e32 v4, 3, v41
	v_lshrrev_b16 v9, 2, v41
	v_lshlrev_b32_e32 v10, 24, v41
	s_delay_alu instid0(VALU_DEP_3) | instskip(NEXT) | instid1(VALU_DEP_1)
	v_clz_i32_u32_e32 v5, v4
	v_min_u32_e32 v5, 32, v5
	s_delay_alu instid0(VALU_DEP_1) | instskip(SKIP_1) | instid1(VALU_DEP_2)
	v_subrev_nc_u32_e32 v6, 29, v5
	v_sub_nc_u32_e32 v5, 30, v5
	v_lshlrev_b32_e32 v6, v6, v41
	s_delay_alu instid0(VALU_DEP_1) | instskip(SKIP_1) | instid1(VALU_DEP_1)
	v_and_b32_e32 v6, 3, v6
	v_and_b32_e32 v9, 31, v9
	v_cmp_eq_u32_e32 vcc_lo, 0, v9
	s_delay_alu instid0(VALU_DEP_3) | instskip(SKIP_1) | instid1(VALU_DEP_2)
	v_dual_cndmask_b32 v4, v4, v6 :: v_dual_cndmask_b32 v5, v9, v5
	v_and_b32_e32 v6, 0x80000000, v10
	v_lshlrev_b32_e32 v4, 21, v4
	s_delay_alu instid0(VALU_DEP_3) | instskip(NEXT) | instid1(VALU_DEP_1)
	v_lshl_add_u32 v5, v5, 23, 0x37800000
	v_or3_b32 v4, v6, v5, v4
	s_delay_alu instid0(VALU_DEP_1)
	v_cvt_f64_f32_e32 v[5:6], v4
.LBB283_65:                             ;   in Loop: Header=BB283_41 Depth=1
	s_or_b32 exec_lo, exec_lo, s11
	v_and_b32_e32 v4, 0xff, v40
	s_mov_b32 s0, 0
	s_mov_b32 s11, exec_lo
	s_delay_alu instid0(VALU_DEP_1)
	v_cmpx_lt_i16_e32 0x7f, v4
	s_xor_b32 s11, exec_lo, s11
	s_cbranch_execz .LBB283_69
; %bb.66:                               ;   in Loop: Header=BB283_41 Depth=1
	s_mov_b32 s0, -1
	s_mov_b32 s12, exec_lo
	v_cmpx_eq_u16_e32 0x80, v4
; %bb.67:                               ;   in Loop: Header=BB283_41 Depth=1
	s_xor_b32 s0, exec_lo, -1
; %bb.68:                               ;   in Loop: Header=BB283_41 Depth=1
	s_or_b32 exec_lo, exec_lo, s12
	s_delay_alu instid0(SALU_CYCLE_1)
	s_and_b32 s0, s0, exec_lo
                                        ; implicit-def: $vgpr4
.LBB283_69:                             ;   in Loop: Header=BB283_41 Depth=1
	s_or_saveexec_b32 s11, s11
	v_dual_mov_b32 v10, s7 :: v_dual_mov_b32 v9, s6
	s_xor_b32 exec_lo, exec_lo, s11
; %bb.70:                               ;   in Loop: Header=BB283_41 Depth=1
	v_cmp_ne_u16_e32 vcc_lo, 0, v4
	v_mov_b32_e32 v9, 0
	v_mov_b32_e32 v10, 0
	s_and_not1_b32 s0, s0, exec_lo
	s_and_b32 s12, vcc_lo, exec_lo
	s_delay_alu instid0(SALU_CYCLE_1)
	s_or_b32 s0, s0, s12
; %bb.71:                               ;   in Loop: Header=BB283_41 Depth=1
	s_or_b32 exec_lo, exec_lo, s11
	s_and_saveexec_b32 s11, s0
	s_cbranch_execz .LBB283_73
; %bb.72:                               ;   in Loop: Header=BB283_41 Depth=1
	v_lshrrev_b16 v13, 2, v40
	v_lshlrev_b32_e32 v14, 24, v40
	s_delay_alu instid0(VALU_DEP_2) | instskip(NEXT) | instid1(VALU_DEP_1)
	v_and_b32_e32 v13, 31, v13
	v_cmp_eq_u32_e32 vcc_lo, 0, v13
	v_and_b32_e32 v4, 3, v40
	s_delay_alu instid0(VALU_DEP_1) | instskip(NEXT) | instid1(VALU_DEP_1)
	v_clz_i32_u32_e32 v9, v4
	v_min_u32_e32 v9, 32, v9
	s_delay_alu instid0(VALU_DEP_1) | instskip(SKIP_1) | instid1(VALU_DEP_1)
	v_subrev_nc_u32_e32 v10, 29, v9
	v_sub_nc_u32_e32 v9, 30, v9
	v_dual_cndmask_b32 v9, v13, v9 :: v_dual_lshlrev_b32 v10, v10, v40
	s_delay_alu instid0(VALU_DEP_1) | instskip(NEXT) | instid1(VALU_DEP_2)
	v_and_b32_e32 v10, 3, v10
	v_lshl_add_u32 v9, v9, 23, 0x37800000
	s_delay_alu instid0(VALU_DEP_2) | instskip(SKIP_1) | instid1(VALU_DEP_2)
	v_cndmask_b32_e32 v4, v4, v10, vcc_lo
	v_and_b32_e32 v10, 0x80000000, v14
	v_lshlrev_b32_e32 v4, 21, v4
	s_delay_alu instid0(VALU_DEP_1) | instskip(NEXT) | instid1(VALU_DEP_1)
	v_or3_b32 v4, v10, v9, v4
	v_cvt_f64_f32_e32 v[9:10], v4
.LBB283_73:                             ;   in Loop: Header=BB283_41 Depth=1
	s_or_b32 exec_lo, exec_lo, s11
	v_and_b32_e32 v4, 0xff, v39
	s_mov_b32 s0, 0
	s_mov_b32 s11, exec_lo
	s_delay_alu instid0(VALU_DEP_1)
	v_cmpx_lt_i16_e32 0x7f, v4
	s_xor_b32 s11, exec_lo, s11
	s_cbranch_execz .LBB283_77
; %bb.74:                               ;   in Loop: Header=BB283_41 Depth=1
	s_mov_b32 s0, -1
	s_mov_b32 s12, exec_lo
	v_cmpx_eq_u16_e32 0x80, v4
; %bb.75:                               ;   in Loop: Header=BB283_41 Depth=1
	s_xor_b32 s0, exec_lo, -1
; %bb.76:                               ;   in Loop: Header=BB283_41 Depth=1
	s_or_b32 exec_lo, exec_lo, s12
	s_delay_alu instid0(SALU_CYCLE_1)
	s_and_b32 s0, s0, exec_lo
                                        ; implicit-def: $vgpr4
.LBB283_77:                             ;   in Loop: Header=BB283_41 Depth=1
	s_or_saveexec_b32 s11, s11
	v_dual_mov_b32 v14, s7 :: v_dual_mov_b32 v13, s6
	s_xor_b32 exec_lo, exec_lo, s11
; %bb.78:                               ;   in Loop: Header=BB283_41 Depth=1
	v_cmp_ne_u16_e32 vcc_lo, 0, v4
	v_mov_b32_e32 v13, 0
	v_mov_b32_e32 v14, 0
	s_and_not1_b32 s0, s0, exec_lo
	s_and_b32 s12, vcc_lo, exec_lo
	s_delay_alu instid0(SALU_CYCLE_1)
	s_or_b32 s0, s0, s12
; %bb.79:                               ;   in Loop: Header=BB283_41 Depth=1
	s_or_b32 exec_lo, exec_lo, s11
	s_and_saveexec_b32 s11, s0
	s_cbranch_execz .LBB283_81
; %bb.80:                               ;   in Loop: Header=BB283_41 Depth=1
	v_lshrrev_b16 v43, 2, v39
	v_lshlrev_b32_e32 v44, 24, v39
	s_delay_alu instid0(VALU_DEP_2) | instskip(NEXT) | instid1(VALU_DEP_1)
	v_and_b32_e32 v43, 31, v43
	v_cmp_eq_u32_e32 vcc_lo, 0, v43
	v_and_b32_e32 v4, 3, v39
	s_delay_alu instid0(VALU_DEP_1) | instskip(NEXT) | instid1(VALU_DEP_1)
	v_clz_i32_u32_e32 v13, v4
	v_min_u32_e32 v13, 32, v13
	s_delay_alu instid0(VALU_DEP_1) | instskip(SKIP_1) | instid1(VALU_DEP_1)
	v_subrev_nc_u32_e32 v14, 29, v13
	v_sub_nc_u32_e32 v13, 30, v13
	v_dual_cndmask_b32 v13, v43, v13 :: v_dual_lshlrev_b32 v14, v14, v39
	s_delay_alu instid0(VALU_DEP_1) | instskip(NEXT) | instid1(VALU_DEP_2)
	v_and_b32_e32 v14, 3, v14
	v_lshl_add_u32 v13, v13, 23, 0x37800000
	s_delay_alu instid0(VALU_DEP_2) | instskip(SKIP_1) | instid1(VALU_DEP_2)
	v_cndmask_b32_e32 v4, v4, v14, vcc_lo
	v_and_b32_e32 v14, 0x80000000, v44
	v_lshlrev_b32_e32 v4, 21, v4
	s_delay_alu instid0(VALU_DEP_1) | instskip(NEXT) | instid1(VALU_DEP_1)
	v_or3_b32 v4, v14, v13, v4
	v_cvt_f64_f32_e32 v[13:14], v4
.LBB283_81:                             ;   in Loop: Header=BB283_41 Depth=1
	s_or_b32 exec_lo, exec_lo, s11
	s_delay_alu instid0(SALU_CYCLE_1)
	s_mov_b32 s0, exec_lo
	v_cmpx_gt_u64_e64 s[2:3], v[7:8]
	s_xor_b32 s0, exec_lo, s0
	s_cbranch_execnz .LBB283_85
; %bb.82:                               ;   in Loop: Header=BB283_41 Depth=1
	s_or_b32 exec_lo, exec_lo, s0
	s_delay_alu instid0(SALU_CYCLE_1)
	s_mov_b32 s0, exec_lo
	v_cmpx_gt_u64_e64 s[2:3], v[11:12]
	s_cbranch_execnz .LBB283_86
.LBB283_83:                             ;   in Loop: Header=BB283_41 Depth=1
	s_or_b32 exec_lo, exec_lo, s0
	s_delay_alu instid0(SALU_CYCLE_1)
	s_mov_b32 s0, exec_lo
	v_cmpx_gt_u64_e64 s[2:3], v[15:16]
	s_cbranch_execnz .LBB283_87
.LBB283_84:                             ;   in Loop: Header=BB283_41 Depth=1
	s_or_b32 exec_lo, exec_lo, s0
	s_delay_alu instid0(SALU_CYCLE_1)
	s_mov_b32 s0, exec_lo
	v_cmpx_gt_u64_e64 s[2:3], v[21:22]
	s_cbranch_execz .LBB283_40
	s_branch .LBB283_88
.LBB283_85:                             ;   in Loop: Header=BB283_41 Depth=1
	v_add_co_u32 v7, s11, s14, v17
	s_delay_alu instid0(VALU_DEP_1) | instskip(SKIP_3) | instid1(SALU_CYCLE_1)
	v_add_co_ci_u32_e64 v8, null, s15, 0, s11
	v_mov_b32_e32 v4, v3
	global_store_b128 v[7:8], v[1:4], off
	s_or_b32 exec_lo, exec_lo, s0
	s_mov_b32 s0, exec_lo
	v_cmpx_gt_u64_e64 s[2:3], v[11:12]
	s_cbranch_execz .LBB283_83
.LBB283_86:                             ;   in Loop: Header=BB283_41 Depth=1
	v_add_co_u32 v1, s11, s14, v28
	s_delay_alu instid0(VALU_DEP_1) | instskip(SKIP_4) | instid1(SALU_CYCLE_1)
	v_add_co_ci_u32_e64 v2, null, s15, 0, s11
	v_mov_b32_e32 v7, v3
	v_mov_b32_e32 v8, v3
	global_store_b128 v[1:2], v[5:8], off
	s_or_b32 exec_lo, exec_lo, s0
	s_mov_b32 s0, exec_lo
	v_cmpx_gt_u64_e64 s[2:3], v[15:16]
	s_cbranch_execz .LBB283_84
.LBB283_87:                             ;   in Loop: Header=BB283_41 Depth=1
	v_add_co_u32 v1, vcc_lo, s14, v36
	v_add_co_ci_u32_e32 v2, vcc_lo, s15, v35, vcc_lo
	v_mov_b32_e32 v11, v3
	v_mov_b32_e32 v12, v3
	global_store_b128 v[1:2], v[9:12], off offset:-8
	s_or_b32 exec_lo, exec_lo, s0
	s_delay_alu instid0(SALU_CYCLE_1)
	s_mov_b32 s0, exec_lo
	v_cmpx_gt_u64_e64 s[2:3], v[21:22]
	s_cbranch_execz .LBB283_40
.LBB283_88:                             ;   in Loop: Header=BB283_41 Depth=1
	v_add_co_u32 v1, vcc_lo, s14, v19
	v_add_co_ci_u32_e32 v2, vcc_lo, s15, v20, vcc_lo
	v_mov_b32_e32 v15, v3
	v_mov_b32_e32 v16, v3
	global_store_b128 v[1:2], v[13:16], off offset:-8
	s_branch .LBB283_40
.LBB283_89:
	s_nop 0
	s_sendmsg sendmsg(MSG_DEALLOC_VGPRS)
	s_endpgm
	.section	.rodata,"a",@progbits
	.p2align	6, 0x0
	.amdhsa_kernel _ZN2at6native12_GLOBAL__N_125multi_tensor_apply_kernelINS1_18TensorListMetadataILi2EEENS1_11CopyFunctorIN3c107complexIdEENS6_15Float8_e5m2fnuzELi2ELi1ELi1EEEJNS0_4CopyIS8_S9_EEEEEvT_T0_DpT1_
		.amdhsa_group_segment_fixed_size 0
		.amdhsa_private_segment_fixed_size 0
		.amdhsa_kernarg_size 3408
		.amdhsa_user_sgpr_count 15
		.amdhsa_user_sgpr_dispatch_ptr 0
		.amdhsa_user_sgpr_queue_ptr 0
		.amdhsa_user_sgpr_kernarg_segment_ptr 1
		.amdhsa_user_sgpr_dispatch_id 0
		.amdhsa_user_sgpr_private_segment_size 0
		.amdhsa_wavefront_size32 1
		.amdhsa_uses_dynamic_stack 0
		.amdhsa_enable_private_segment 0
		.amdhsa_system_sgpr_workgroup_id_x 1
		.amdhsa_system_sgpr_workgroup_id_y 0
		.amdhsa_system_sgpr_workgroup_id_z 0
		.amdhsa_system_sgpr_workgroup_info 0
		.amdhsa_system_vgpr_workitem_id 0
		.amdhsa_next_free_vgpr 45
		.amdhsa_next_free_sgpr 22
		.amdhsa_reserve_vcc 1
		.amdhsa_float_round_mode_32 0
		.amdhsa_float_round_mode_16_64 0
		.amdhsa_float_denorm_mode_32 3
		.amdhsa_float_denorm_mode_16_64 3
		.amdhsa_dx10_clamp 1
		.amdhsa_ieee_mode 1
		.amdhsa_fp16_overflow 0
		.amdhsa_workgroup_processor_mode 1
		.amdhsa_memory_ordered 1
		.amdhsa_forward_progress 0
		.amdhsa_shared_vgpr_count 0
		.amdhsa_exception_fp_ieee_invalid_op 0
		.amdhsa_exception_fp_denorm_src 0
		.amdhsa_exception_fp_ieee_div_zero 0
		.amdhsa_exception_fp_ieee_overflow 0
		.amdhsa_exception_fp_ieee_underflow 0
		.amdhsa_exception_fp_ieee_inexact 0
		.amdhsa_exception_int_div_zero 0
	.end_amdhsa_kernel
	.section	.text._ZN2at6native12_GLOBAL__N_125multi_tensor_apply_kernelINS1_18TensorListMetadataILi2EEENS1_11CopyFunctorIN3c107complexIdEENS6_15Float8_e5m2fnuzELi2ELi1ELi1EEEJNS0_4CopyIS8_S9_EEEEEvT_T0_DpT1_,"axG",@progbits,_ZN2at6native12_GLOBAL__N_125multi_tensor_apply_kernelINS1_18TensorListMetadataILi2EEENS1_11CopyFunctorIN3c107complexIdEENS6_15Float8_e5m2fnuzELi2ELi1ELi1EEEJNS0_4CopyIS8_S9_EEEEEvT_T0_DpT1_,comdat
.Lfunc_end283:
	.size	_ZN2at6native12_GLOBAL__N_125multi_tensor_apply_kernelINS1_18TensorListMetadataILi2EEENS1_11CopyFunctorIN3c107complexIdEENS6_15Float8_e5m2fnuzELi2ELi1ELi1EEEJNS0_4CopyIS8_S9_EEEEEvT_T0_DpT1_, .Lfunc_end283-_ZN2at6native12_GLOBAL__N_125multi_tensor_apply_kernelINS1_18TensorListMetadataILi2EEENS1_11CopyFunctorIN3c107complexIdEENS6_15Float8_e5m2fnuzELi2ELi1ELi1EEEJNS0_4CopyIS8_S9_EEEEEvT_T0_DpT1_
                                        ; -- End function
	.section	.AMDGPU.csdata,"",@progbits
; Kernel info:
; codeLenInByte = 3416
; NumSgprs: 24
; NumVgprs: 45
; ScratchSize: 0
; MemoryBound: 0
; FloatMode: 240
; IeeeMode: 1
; LDSByteSize: 0 bytes/workgroup (compile time only)
; SGPRBlocks: 2
; VGPRBlocks: 5
; NumSGPRsForWavesPerEU: 24
; NumVGPRsForWavesPerEU: 45
; Occupancy: 16
; WaveLimiterHint : 0
; COMPUTE_PGM_RSRC2:SCRATCH_EN: 0
; COMPUTE_PGM_RSRC2:USER_SGPR: 15
; COMPUTE_PGM_RSRC2:TRAP_HANDLER: 0
; COMPUTE_PGM_RSRC2:TGID_X_EN: 1
; COMPUTE_PGM_RSRC2:TGID_Y_EN: 0
; COMPUTE_PGM_RSRC2:TGID_Z_EN: 0
; COMPUTE_PGM_RSRC2:TIDIG_COMP_CNT: 0
	.section	.text._ZN2at6native12_GLOBAL__N_125multi_tensor_apply_kernelINS1_18TensorListMetadataILi2EEENS1_11CopyFunctorIN3c107complexIfEEhLi2ELi1ELi1EEEJNS0_4CopyIS8_hEEEEEvT_T0_DpT1_,"axG",@progbits,_ZN2at6native12_GLOBAL__N_125multi_tensor_apply_kernelINS1_18TensorListMetadataILi2EEENS1_11CopyFunctorIN3c107complexIfEEhLi2ELi1ELi1EEEJNS0_4CopyIS8_hEEEEEvT_T0_DpT1_,comdat
	.globl	_ZN2at6native12_GLOBAL__N_125multi_tensor_apply_kernelINS1_18TensorListMetadataILi2EEENS1_11CopyFunctorIN3c107complexIfEEhLi2ELi1ELi1EEEJNS0_4CopyIS8_hEEEEEvT_T0_DpT1_ ; -- Begin function _ZN2at6native12_GLOBAL__N_125multi_tensor_apply_kernelINS1_18TensorListMetadataILi2EEENS1_11CopyFunctorIN3c107complexIfEEhLi2ELi1ELi1EEEJNS0_4CopyIS8_hEEEEEvT_T0_DpT1_
	.p2align	8
	.type	_ZN2at6native12_GLOBAL__N_125multi_tensor_apply_kernelINS1_18TensorListMetadataILi2EEENS1_11CopyFunctorIN3c107complexIfEEhLi2ELi1ELi1EEEJNS0_4CopyIS8_hEEEEEvT_T0_DpT1_,@function
_ZN2at6native12_GLOBAL__N_125multi_tensor_apply_kernelINS1_18TensorListMetadataILi2EEENS1_11CopyFunctorIN3c107complexIfEEhLi2ELi1ELi1EEEJNS0_4CopyIS8_hEEEEEvT_T0_DpT1_: ; @_ZN2at6native12_GLOBAL__N_125multi_tensor_apply_kernelINS1_18TensorListMetadataILi2EEENS1_11CopyFunctorIN3c107complexIfEEhLi2ELi1ELi1EEEJNS0_4CopyIS8_hEEEEEvT_T0_DpT1_
; %bb.0:
	v_mov_b32_e32 v1, s15
	s_add_u32 s2, s0, s15
	s_mul_hi_u32 s3, s15, 3
	s_mul_i32 s15, s15, 3
	s_addc_u32 s4, s1, 0
	global_load_u8 v1, v1, s[0:1] offset:1536
	s_add_u32 s2, s2, s15
	s_addc_u32 s3, s4, s3
	s_mov_b32 s19, 0
	s_load_b32 s4, s[2:3], 0x740
	s_mov_b32 s21, s19
	s_waitcnt vmcnt(0)
	v_readfirstlane_b32 s5, v1
	s_delay_alu instid0(VALU_DEP_1)
	s_lshl_b32 s5, s5, 3
	s_clause 0x2
	s_load_b64 s[6:7], s[0:1], s5 offset:0x0
	s_load_b64 s[2:3], s[0:1], s5 offset:0x200
	;; [unrolled: 1-line block ×3, first 2 shown]
	s_waitcnt lgkmcnt(0)
	s_ashr_i32 s5, s4, 31
	s_delay_alu instid0(SALU_CYCLE_1) | instskip(NEXT) | instid1(SALU_CYCLE_1)
	s_lshl_b64 s[8:9], s[4:5], 16
	s_add_u32 s14, s6, s8
	s_addc_u32 s15, s7, s9
	s_lshl_b64 s[10:11], s[4:5], 19
	s_mov_b32 s5, s19
	s_add_u32 s12, s2, s10
	s_addc_u32 s13, s3, s11
	s_and_b32 s20, s16, 3
	s_and_b32 s4, s12, 31
	;; [unrolled: 1-line block ×3, first 2 shown]
	s_or_b64 s[4:5], s[4:5], s[20:21]
	s_delay_alu instid0(SALU_CYCLE_1)
	s_or_b64 s[18:19], s[18:19], s[4:5]
	s_sub_u32 s4, s16, s8
	s_subb_u32 s5, s17, s9
	s_cmp_eq_u64 s[18:19], 0
	s_mov_b32 s16, -1
	s_cbranch_scc0 .LBB284_5
; %bb.1:
	v_dual_mov_b32 v2, 0 :: v_dual_lshlrev_b32 v1, 2, v0
	s_mov_b32 s16, exec_lo
	s_delay_alu instid0(VALU_DEP_1)
	v_cmpx_gt_i64_e64 s[4:5], v[1:2]
	s_cbranch_execz .LBB284_4
; %bb.2:
	s_load_b32 s17, s[0:1], 0xc5c
	v_dual_mov_b32 v8, v2 :: v_dual_lshlrev_b32 v3, 5, v0
	v_mov_b32_e32 v7, v1
	s_waitcnt lgkmcnt(0)
	s_and_b32 s18, s17, 0xffff
	s_delay_alu instid0(SALU_CYCLE_1) | instskip(SKIP_3) | instid1(VALU_DEP_1)
	s_lshl_b32 s17, s18, 2
	s_add_u32 s2, s2, s10
	s_addc_u32 s3, s3, s11
	v_add_co_u32 v5, s2, s2, v3
	v_add_co_ci_u32_e64 v6, null, s3, 0, s2
	s_mov_b32 s3, 0
	s_lshl_b32 s10, s18, 5
	.p2align	6
.LBB284_3:                              ; =>This Inner Loop Header: Depth=1
	v_add_co_u32 v3, vcc_lo, s14, v7
	v_add_co_ci_u32_e32 v4, vcc_lo, s15, v8, vcc_lo
	v_add_co_u32 v7, vcc_lo, s17, v7
	v_add_co_ci_u32_e32 v8, vcc_lo, 0, v8, vcc_lo
	global_load_b32 v11, v[3:4], off
	v_mov_b32_e32 v4, v2
	v_mov_b32_e32 v10, v2
	v_cmp_le_i64_e32 vcc_lo, s[4:5], v[7:8]
	v_cmp_lt_u64_e64 s2, 0xffff, v[7:8]
	v_mov_b32_e32 v12, v2
	s_delay_alu instid0(VALU_DEP_2) | instskip(NEXT) | instid1(SALU_CYCLE_1)
	s_or_b32 s2, vcc_lo, s2
	s_and_b32 s2, exec_lo, s2
	s_delay_alu instid0(SALU_CYCLE_1)
	s_or_b32 s3, s2, s3
	s_waitcnt vmcnt(0)
	v_cvt_f32_ubyte0_e32 v1, v11
	v_cvt_f32_ubyte1_e32 v3, v11
	v_cvt_f32_ubyte2_e32 v9, v11
	v_cvt_f32_ubyte3_e32 v11, v11
	s_clause 0x1
	global_store_b128 v[5:6], v[1:4], off
	global_store_b128 v[5:6], v[9:12], off offset:16
	v_add_co_u32 v5, vcc_lo, v5, s10
	v_add_co_ci_u32_e32 v6, vcc_lo, 0, v6, vcc_lo
	s_and_not1_b32 exec_lo, exec_lo, s3
	s_cbranch_execnz .LBB284_3
.LBB284_4:
	s_or_b32 exec_lo, exec_lo, s16
	s_mov_b32 s16, 0
.LBB284_5:
	s_delay_alu instid0(SALU_CYCLE_1)
	s_and_not1_b32 vcc_lo, exec_lo, s16
	s_cbranch_vccnz .LBB284_25
; %bb.6:
	v_cmp_lt_i64_e64 s2, s[4:5], 1
	s_delay_alu instid0(VALU_DEP_1)
	s_and_b32 vcc_lo, exec_lo, s2
	s_cbranch_vccnz .LBB284_25
; %bb.7:
	s_load_b32 s0, s[0:1], 0xc5c
	v_cmp_gt_u64_e64 s1, 0x10000, s[4:5]
	v_add_co_u32 v1, s2, s8, v0
	s_delay_alu instid0(VALU_DEP_1) | instskip(SKIP_1) | instid1(VALU_DEP_3)
	v_add_co_ci_u32_e64 v7, null, s9, 0, s2
	v_dual_mov_b32 v2, 0 :: v_dual_lshlrev_b32 v3, 3, v0
	v_add_co_u32 v15, vcc_lo, s6, v1
	s_delay_alu instid0(VALU_DEP_3) | instskip(NEXT) | instid1(VALU_DEP_3)
	v_add_co_ci_u32_e32 v16, vcc_lo, s7, v7, vcc_lo
	v_mov_b32_e32 v4, v2
                                        ; implicit-def: $vgpr31
                                        ; implicit-def: $vgpr32
                                        ; implicit-def: $vgpr33
                                        ; implicit-def: $vgpr34
	s_waitcnt lgkmcnt(0)
	s_and_b32 s0, s0, 0xffff
	s_and_b32 s1, s1, exec_lo
	s_mul_i32 s14, s0, 3
	s_cselect_b32 s3, s5, 0
	s_cselect_b32 s2, s4, 0x10000
	s_lshl_b32 s11, s0, 1
	s_lshl_b32 s1, s0, 2
	;; [unrolled: 1-line block ×3, first 2 shown]
	s_add_u32 s15, s8, s14
	s_addc_u32 s16, s9, 0
	s_add_u32 s15, s6, s15
	s_addc_u32 s16, s7, s16
	;; [unrolled: 2-line block ×4, first 2 shown]
	v_add_co_u32 v20, s8, s8, v0
	s_delay_alu instid0(VALU_DEP_1)
	v_add_co_ci_u32_e64 v21, null, s9, 0, s8
	s_lshl_b32 s8, s0, 4
	v_mad_u64_u32 v[5:6], null, s0, 24, v[3:4]
	s_add_u32 s6, s6, s0
	v_add_co_u32 v26, s0, v0, s0
	v_add_co_u32 v22, s8, s8, v3
	;; [unrolled: 1-line block ×4, first 2 shown]
	v_add_co_ci_u32_e64 v23, null, 0, 0, s8
	v_add_co_u32 v24, s8, s11, v0
	s_addc_u32 s7, s7, 0
	v_add_co_u32 v27, vcc_lo, s6, v1
	v_add_co_ci_u32_e64 v18, null, s16, 0, s15
	v_add_co_ci_u32_e64 v19, null, 0, 0, s14
	;; [unrolled: 1-line block ×3, first 2 shown]
	v_add_co_ci_u32_e32 v28, vcc_lo, s7, v7, vcc_lo
	v_add_co_ci_u32_e64 v29, null, 0, 0, s0
	v_lshlrev_b32_e32 v30, 3, v26
	s_mov_b64 s[6:7], 0
	s_branch .LBB284_9
.LBB284_8:                              ;   in Loop: Header=BB284_9 Depth=1
	s_or_b32 exec_lo, exec_lo, s0
	s_add_u32 s6, s6, s1
	s_addc_u32 s7, s7, 0
	s_delay_alu instid0(SALU_CYCLE_1) | instskip(SKIP_1) | instid1(VALU_DEP_1)
	v_cmp_ge_i64_e64 s0, s[6:7], s[4:5]
	v_cmp_lt_u64_e64 s8, 0xffff, s[6:7]
	s_or_b32 s0, s0, s8
	s_add_u32 s12, s12, s10
	s_addc_u32 s13, s13, 0
	s_and_b32 vcc_lo, exec_lo, s0
	s_cbranch_vccnz .LBB284_25
.LBB284_9:                              ; =>This Inner Loop Header: Depth=1
	v_add_co_u32 v7, s0, v0, s6
	s_delay_alu instid0(VALU_DEP_1) | instskip(NEXT) | instid1(VALU_DEP_1)
	v_add_co_ci_u32_e64 v8, null, 0, s7, s0
	v_cmp_gt_i64_e32 vcc_lo, s[4:5], v[7:8]
	v_cmp_gt_u64_e64 s0, 0x10000, v[7:8]
	s_delay_alu instid0(VALU_DEP_1) | instskip(NEXT) | instid1(SALU_CYCLE_1)
	s_and_b32 s8, vcc_lo, s0
	s_and_saveexec_b32 s0, s8
	s_cbranch_execz .LBB284_11
; %bb.10:                               ;   in Loop: Header=BB284_9 Depth=1
	v_add_co_u32 v9, vcc_lo, v15, s6
	v_add_co_ci_u32_e32 v10, vcc_lo, s7, v16, vcc_lo
	global_load_u8 v31, v[9:10], off
.LBB284_11:                             ;   in Loop: Header=BB284_9 Depth=1
	s_or_b32 exec_lo, exec_lo, s0
	v_add_co_u32 v9, vcc_lo, v26, s6
	v_add_co_ci_u32_e32 v10, vcc_lo, s7, v29, vcc_lo
	s_delay_alu instid0(VALU_DEP_1) | instskip(SKIP_1) | instid1(VALU_DEP_1)
	v_cmp_gt_i64_e32 vcc_lo, s[4:5], v[9:10]
	v_cmp_gt_u64_e64 s0, 0x10000, v[9:10]
	s_and_b32 s8, vcc_lo, s0
	s_delay_alu instid0(SALU_CYCLE_1)
	s_and_saveexec_b32 s0, s8
	s_cbranch_execz .LBB284_13
; %bb.12:                               ;   in Loop: Header=BB284_9 Depth=1
	v_add_co_u32 v11, vcc_lo, v27, s6
	v_add_co_ci_u32_e32 v12, vcc_lo, s7, v28, vcc_lo
	global_load_u8 v32, v[11:12], off
.LBB284_13:                             ;   in Loop: Header=BB284_9 Depth=1
	s_or_b32 exec_lo, exec_lo, s0
	v_add_co_u32 v11, vcc_lo, v24, s6
	v_add_co_ci_u32_e32 v12, vcc_lo, s7, v25, vcc_lo
	s_delay_alu instid0(VALU_DEP_1) | instskip(SKIP_1) | instid1(VALU_DEP_1)
	v_cmp_gt_i64_e32 vcc_lo, s[4:5], v[11:12]
	v_cmp_gt_u64_e64 s0, 0x10000, v[11:12]
	s_and_b32 s8, vcc_lo, s0
	s_delay_alu instid0(SALU_CYCLE_1)
	;; [unrolled: 15-line block ×3, first 2 shown]
	s_and_saveexec_b32 s0, s8
	s_cbranch_execnz .LBB284_20
; %bb.16:                               ;   in Loop: Header=BB284_9 Depth=1
	s_or_b32 exec_lo, exec_lo, s0
	s_delay_alu instid0(SALU_CYCLE_1)
	s_mov_b32 s0, exec_lo
	v_cmpx_gt_u64_e64 s[2:3], v[7:8]
	s_cbranch_execnz .LBB284_21
.LBB284_17:                             ;   in Loop: Header=BB284_9 Depth=1
	s_or_b32 exec_lo, exec_lo, s0
	s_delay_alu instid0(SALU_CYCLE_1)
	s_mov_b32 s0, exec_lo
	v_cmpx_gt_u64_e64 s[2:3], v[9:10]
	s_cbranch_execnz .LBB284_22
.LBB284_18:                             ;   in Loop: Header=BB284_9 Depth=1
	s_or_b32 exec_lo, exec_lo, s0
	s_delay_alu instid0(SALU_CYCLE_1)
	s_mov_b32 s0, exec_lo
	v_cmpx_gt_u64_e64 s[2:3], v[11:12]
	s_cbranch_execnz .LBB284_23
.LBB284_19:                             ;   in Loop: Header=BB284_9 Depth=1
	s_or_b32 exec_lo, exec_lo, s0
	s_delay_alu instid0(SALU_CYCLE_1)
	s_mov_b32 s0, exec_lo
	v_cmpx_gt_u64_e64 s[2:3], v[13:14]
	s_cbranch_execz .LBB284_8
	s_branch .LBB284_24
.LBB284_20:                             ;   in Loop: Header=BB284_9 Depth=1
	s_waitcnt vmcnt(0)
	v_add_co_u32 v34, vcc_lo, v17, s6
	v_add_co_ci_u32_e32 v35, vcc_lo, s7, v18, vcc_lo
	global_load_u8 v34, v[34:35], off
	s_or_b32 exec_lo, exec_lo, s0
	s_delay_alu instid0(SALU_CYCLE_1)
	s_mov_b32 s0, exec_lo
	v_cmpx_gt_u64_e64 s[2:3], v[7:8]
	s_cbranch_execz .LBB284_17
.LBB284_21:                             ;   in Loop: Header=BB284_9 Depth=1
	v_add_co_u32 v7, s8, s12, v3
	s_delay_alu instid0(VALU_DEP_1) | instskip(SKIP_4) | instid1(SALU_CYCLE_1)
	v_add_co_ci_u32_e64 v8, null, s13, 0, s8
	s_waitcnt vmcnt(0)
	v_cvt_f32_ubyte0_e32 v1, v31
	global_store_b64 v[7:8], v[1:2], off
	s_or_b32 exec_lo, exec_lo, s0
	s_mov_b32 s0, exec_lo
	v_cmpx_gt_u64_e64 s[2:3], v[9:10]
	s_cbranch_execz .LBB284_18
.LBB284_22:                             ;   in Loop: Header=BB284_9 Depth=1
	v_add_co_u32 v7, s8, s12, v30
	s_waitcnt vmcnt(0)
	v_cvt_f32_ubyte0_e32 v1, v32
	v_add_co_ci_u32_e64 v8, null, s13, 0, s8
	global_store_b64 v[7:8], v[1:2], off
	s_or_b32 exec_lo, exec_lo, s0
	s_delay_alu instid0(SALU_CYCLE_1)
	s_mov_b32 s0, exec_lo
	v_cmpx_gt_u64_e64 s[2:3], v[11:12]
	s_cbranch_execz .LBB284_19
.LBB284_23:                             ;   in Loop: Header=BB284_9 Depth=1
	v_add_co_u32 v7, vcc_lo, s12, v22
	s_waitcnt vmcnt(0)
	v_cvt_f32_ubyte0_e32 v1, v33
	v_add_co_ci_u32_e32 v8, vcc_lo, s13, v23, vcc_lo
	global_store_b64 v[7:8], v[1:2], off
	s_or_b32 exec_lo, exec_lo, s0
	s_delay_alu instid0(SALU_CYCLE_1)
	s_mov_b32 s0, exec_lo
	v_cmpx_gt_u64_e64 s[2:3], v[13:14]
	s_cbranch_execz .LBB284_8
.LBB284_24:                             ;   in Loop: Header=BB284_9 Depth=1
	v_add_co_u32 v7, vcc_lo, s12, v5
	s_waitcnt vmcnt(0)
	v_cvt_f32_ubyte0_e32 v1, v34
	v_add_co_ci_u32_e32 v8, vcc_lo, s13, v6, vcc_lo
	global_store_b64 v[7:8], v[1:2], off
	s_branch .LBB284_8
.LBB284_25:
	s_nop 0
	s_sendmsg sendmsg(MSG_DEALLOC_VGPRS)
	s_endpgm
	.section	.rodata,"a",@progbits
	.p2align	6, 0x0
	.amdhsa_kernel _ZN2at6native12_GLOBAL__N_125multi_tensor_apply_kernelINS1_18TensorListMetadataILi2EEENS1_11CopyFunctorIN3c107complexIfEEhLi2ELi1ELi1EEEJNS0_4CopyIS8_hEEEEEvT_T0_DpT1_
		.amdhsa_group_segment_fixed_size 0
		.amdhsa_private_segment_fixed_size 0
		.amdhsa_kernarg_size 3408
		.amdhsa_user_sgpr_count 15
		.amdhsa_user_sgpr_dispatch_ptr 0
		.amdhsa_user_sgpr_queue_ptr 0
		.amdhsa_user_sgpr_kernarg_segment_ptr 1
		.amdhsa_user_sgpr_dispatch_id 0
		.amdhsa_user_sgpr_private_segment_size 0
		.amdhsa_wavefront_size32 1
		.amdhsa_uses_dynamic_stack 0
		.amdhsa_enable_private_segment 0
		.amdhsa_system_sgpr_workgroup_id_x 1
		.amdhsa_system_sgpr_workgroup_id_y 0
		.amdhsa_system_sgpr_workgroup_id_z 0
		.amdhsa_system_sgpr_workgroup_info 0
		.amdhsa_system_vgpr_workitem_id 0
		.amdhsa_next_free_vgpr 36
		.amdhsa_next_free_sgpr 22
		.amdhsa_reserve_vcc 1
		.amdhsa_float_round_mode_32 0
		.amdhsa_float_round_mode_16_64 0
		.amdhsa_float_denorm_mode_32 3
		.amdhsa_float_denorm_mode_16_64 3
		.amdhsa_dx10_clamp 1
		.amdhsa_ieee_mode 1
		.amdhsa_fp16_overflow 0
		.amdhsa_workgroup_processor_mode 1
		.amdhsa_memory_ordered 1
		.amdhsa_forward_progress 0
		.amdhsa_shared_vgpr_count 0
		.amdhsa_exception_fp_ieee_invalid_op 0
		.amdhsa_exception_fp_denorm_src 0
		.amdhsa_exception_fp_ieee_div_zero 0
		.amdhsa_exception_fp_ieee_overflow 0
		.amdhsa_exception_fp_ieee_underflow 0
		.amdhsa_exception_fp_ieee_inexact 0
		.amdhsa_exception_int_div_zero 0
	.end_amdhsa_kernel
	.section	.text._ZN2at6native12_GLOBAL__N_125multi_tensor_apply_kernelINS1_18TensorListMetadataILi2EEENS1_11CopyFunctorIN3c107complexIfEEhLi2ELi1ELi1EEEJNS0_4CopyIS8_hEEEEEvT_T0_DpT1_,"axG",@progbits,_ZN2at6native12_GLOBAL__N_125multi_tensor_apply_kernelINS1_18TensorListMetadataILi2EEENS1_11CopyFunctorIN3c107complexIfEEhLi2ELi1ELi1EEEJNS0_4CopyIS8_hEEEEEvT_T0_DpT1_,comdat
.Lfunc_end284:
	.size	_ZN2at6native12_GLOBAL__N_125multi_tensor_apply_kernelINS1_18TensorListMetadataILi2EEENS1_11CopyFunctorIN3c107complexIfEEhLi2ELi1ELi1EEEJNS0_4CopyIS8_hEEEEEvT_T0_DpT1_, .Lfunc_end284-_ZN2at6native12_GLOBAL__N_125multi_tensor_apply_kernelINS1_18TensorListMetadataILi2EEENS1_11CopyFunctorIN3c107complexIfEEhLi2ELi1ELi1EEEJNS0_4CopyIS8_hEEEEEvT_T0_DpT1_
                                        ; -- End function
	.section	.AMDGPU.csdata,"",@progbits
; Kernel info:
; codeLenInByte = 1428
; NumSgprs: 24
; NumVgprs: 36
; ScratchSize: 0
; MemoryBound: 0
; FloatMode: 240
; IeeeMode: 1
; LDSByteSize: 0 bytes/workgroup (compile time only)
; SGPRBlocks: 2
; VGPRBlocks: 4
; NumSGPRsForWavesPerEU: 24
; NumVGPRsForWavesPerEU: 36
; Occupancy: 16
; WaveLimiterHint : 0
; COMPUTE_PGM_RSRC2:SCRATCH_EN: 0
; COMPUTE_PGM_RSRC2:USER_SGPR: 15
; COMPUTE_PGM_RSRC2:TRAP_HANDLER: 0
; COMPUTE_PGM_RSRC2:TGID_X_EN: 1
; COMPUTE_PGM_RSRC2:TGID_Y_EN: 0
; COMPUTE_PGM_RSRC2:TGID_Z_EN: 0
; COMPUTE_PGM_RSRC2:TIDIG_COMP_CNT: 0
	.section	.text._ZN2at6native12_GLOBAL__N_125multi_tensor_apply_kernelINS1_18TensorListMetadataILi2EEENS1_11CopyFunctorIN3c107complexIfEEaLi2ELi1ELi1EEEJNS0_4CopyIS8_aEEEEEvT_T0_DpT1_,"axG",@progbits,_ZN2at6native12_GLOBAL__N_125multi_tensor_apply_kernelINS1_18TensorListMetadataILi2EEENS1_11CopyFunctorIN3c107complexIfEEaLi2ELi1ELi1EEEJNS0_4CopyIS8_aEEEEEvT_T0_DpT1_,comdat
	.globl	_ZN2at6native12_GLOBAL__N_125multi_tensor_apply_kernelINS1_18TensorListMetadataILi2EEENS1_11CopyFunctorIN3c107complexIfEEaLi2ELi1ELi1EEEJNS0_4CopyIS8_aEEEEEvT_T0_DpT1_ ; -- Begin function _ZN2at6native12_GLOBAL__N_125multi_tensor_apply_kernelINS1_18TensorListMetadataILi2EEENS1_11CopyFunctorIN3c107complexIfEEaLi2ELi1ELi1EEEJNS0_4CopyIS8_aEEEEEvT_T0_DpT1_
	.p2align	8
	.type	_ZN2at6native12_GLOBAL__N_125multi_tensor_apply_kernelINS1_18TensorListMetadataILi2EEENS1_11CopyFunctorIN3c107complexIfEEaLi2ELi1ELi1EEEJNS0_4CopyIS8_aEEEEEvT_T0_DpT1_,@function
_ZN2at6native12_GLOBAL__N_125multi_tensor_apply_kernelINS1_18TensorListMetadataILi2EEENS1_11CopyFunctorIN3c107complexIfEEaLi2ELi1ELi1EEEJNS0_4CopyIS8_aEEEEEvT_T0_DpT1_: ; @_ZN2at6native12_GLOBAL__N_125multi_tensor_apply_kernelINS1_18TensorListMetadataILi2EEENS1_11CopyFunctorIN3c107complexIfEEaLi2ELi1ELi1EEEJNS0_4CopyIS8_aEEEEEvT_T0_DpT1_
; %bb.0:
	v_mov_b32_e32 v1, s15
	s_add_u32 s2, s0, s15
	s_mul_hi_u32 s3, s15, 3
	s_mul_i32 s15, s15, 3
	s_addc_u32 s4, s1, 0
	global_load_u8 v1, v1, s[0:1] offset:1536
	s_add_u32 s2, s2, s15
	s_addc_u32 s3, s4, s3
	s_mov_b32 s19, 0
	s_load_b32 s4, s[2:3], 0x740
	s_mov_b32 s21, s19
	s_waitcnt vmcnt(0)
	v_readfirstlane_b32 s5, v1
	s_delay_alu instid0(VALU_DEP_1)
	s_lshl_b32 s5, s5, 3
	s_clause 0x2
	s_load_b64 s[6:7], s[0:1], s5 offset:0x0
	s_load_b64 s[2:3], s[0:1], s5 offset:0x200
	s_load_b64 s[16:17], s[0:1], s5 offset:0x400
	s_waitcnt lgkmcnt(0)
	s_ashr_i32 s5, s4, 31
	s_delay_alu instid0(SALU_CYCLE_1) | instskip(NEXT) | instid1(SALU_CYCLE_1)
	s_lshl_b64 s[8:9], s[4:5], 16
	s_add_u32 s14, s6, s8
	s_addc_u32 s15, s7, s9
	s_lshl_b64 s[10:11], s[4:5], 19
	s_mov_b32 s5, s19
	s_add_u32 s12, s2, s10
	s_addc_u32 s13, s3, s11
	s_and_b32 s20, s16, 3
	s_and_b32 s4, s12, 31
	;; [unrolled: 1-line block ×3, first 2 shown]
	s_or_b64 s[4:5], s[4:5], s[20:21]
	s_delay_alu instid0(SALU_CYCLE_1)
	s_or_b64 s[18:19], s[18:19], s[4:5]
	s_sub_u32 s4, s16, s8
	s_subb_u32 s5, s17, s9
	s_cmp_eq_u64 s[18:19], 0
	s_mov_b32 s16, -1
	s_cbranch_scc0 .LBB285_5
; %bb.1:
	v_dual_mov_b32 v2, 0 :: v_dual_lshlrev_b32 v1, 2, v0
	s_mov_b32 s16, exec_lo
	s_delay_alu instid0(VALU_DEP_1)
	v_cmpx_gt_i64_e64 s[4:5], v[1:2]
	s_cbranch_execz .LBB285_4
; %bb.2:
	s_load_b32 s17, s[0:1], 0xc5c
	v_dual_mov_b32 v8, v2 :: v_dual_lshlrev_b32 v3, 5, v0
	v_mov_b32_e32 v7, v1
	s_waitcnt lgkmcnt(0)
	s_and_b32 s18, s17, 0xffff
	s_delay_alu instid0(SALU_CYCLE_1) | instskip(SKIP_3) | instid1(VALU_DEP_1)
	s_lshl_b32 s17, s18, 2
	s_add_u32 s2, s2, s10
	s_addc_u32 s3, s3, s11
	v_add_co_u32 v5, s2, s2, v3
	v_add_co_ci_u32_e64 v6, null, s3, 0, s2
	s_mov_b32 s3, 0
	s_lshl_b32 s10, s18, 5
.LBB285_3:                              ; =>This Inner Loop Header: Depth=1
	v_add_co_u32 v3, vcc_lo, s14, v7
	v_add_co_ci_u32_e32 v4, vcc_lo, s15, v8, vcc_lo
	v_add_co_u32 v7, vcc_lo, s17, v7
	v_add_co_ci_u32_e32 v8, vcc_lo, 0, v8, vcc_lo
	global_load_b32 v1, v[3:4], off
	v_mov_b32_e32 v4, v2
	v_mov_b32_e32 v10, v2
	v_cmp_le_i64_e32 vcc_lo, s[4:5], v[7:8]
	v_cmp_lt_u64_e64 s2, 0xffff, v[7:8]
	v_mov_b32_e32 v12, v2
	s_delay_alu instid0(VALU_DEP_2) | instskip(NEXT) | instid1(SALU_CYCLE_1)
	s_or_b32 s2, vcc_lo, s2
	s_and_b32 s2, exec_lo, s2
	s_delay_alu instid0(SALU_CYCLE_1)
	s_or_b32 s3, s2, s3
	s_waitcnt vmcnt(0)
	v_lshrrev_b32_e32 v3, 8, v1
	v_lshrrev_b32_e32 v9, 16, v1
	;; [unrolled: 1-line block ×3, first 2 shown]
	v_bfe_i32 v1, v1, 0, 8
	s_delay_alu instid0(VALU_DEP_4) | instskip(NEXT) | instid1(VALU_DEP_4)
	v_bfe_i32 v3, v3, 0, 8
	v_bfe_i32 v9, v9, 0, 8
	s_delay_alu instid0(VALU_DEP_4) | instskip(NEXT) | instid1(VALU_DEP_4)
	v_bfe_i32 v11, v11, 0, 8
	;; [unrolled: 3-line block ×4, first 2 shown]
	v_cvt_f32_i32_e32 v1, v1
	s_delay_alu instid0(VALU_DEP_4) | instskip(NEXT) | instid1(VALU_DEP_4)
	v_cvt_f32_i32_e32 v3, v3
	v_cvt_f32_i32_e32 v9, v9
	s_delay_alu instid0(VALU_DEP_4)
	v_cvt_f32_i32_e32 v11, v11
	s_clause 0x1
	global_store_b128 v[5:6], v[1:4], off
	global_store_b128 v[5:6], v[9:12], off offset:16
	v_add_co_u32 v5, vcc_lo, v5, s10
	v_add_co_ci_u32_e32 v6, vcc_lo, 0, v6, vcc_lo
	s_and_not1_b32 exec_lo, exec_lo, s3
	s_cbranch_execnz .LBB285_3
.LBB285_4:
	s_or_b32 exec_lo, exec_lo, s16
	s_mov_b32 s16, 0
.LBB285_5:
	s_delay_alu instid0(SALU_CYCLE_1)
	s_and_not1_b32 vcc_lo, exec_lo, s16
	s_cbranch_vccnz .LBB285_25
; %bb.6:
	v_cmp_lt_i64_e64 s2, s[4:5], 1
	s_delay_alu instid0(VALU_DEP_1)
	s_and_b32 vcc_lo, exec_lo, s2
	s_cbranch_vccnz .LBB285_25
; %bb.7:
	s_load_b32 s0, s[0:1], 0xc5c
	v_cmp_gt_u64_e64 s1, 0x10000, s[4:5]
	v_add_co_u32 v1, s2, s8, v0
	s_delay_alu instid0(VALU_DEP_1) | instskip(SKIP_1) | instid1(VALU_DEP_3)
	v_add_co_ci_u32_e64 v7, null, s9, 0, s2
	v_dual_mov_b32 v2, 0 :: v_dual_lshlrev_b32 v3, 3, v0
	v_add_co_u32 v15, vcc_lo, s6, v1
	s_delay_alu instid0(VALU_DEP_3) | instskip(NEXT) | instid1(VALU_DEP_3)
	v_add_co_ci_u32_e32 v16, vcc_lo, s7, v7, vcc_lo
	v_mov_b32_e32 v4, v2
                                        ; implicit-def: $vgpr31
                                        ; implicit-def: $vgpr32
                                        ; implicit-def: $vgpr33
                                        ; implicit-def: $vgpr34
	s_waitcnt lgkmcnt(0)
	s_and_b32 s0, s0, 0xffff
	s_and_b32 s1, s1, exec_lo
	s_mul_i32 s14, s0, 3
	s_cselect_b32 s3, s5, 0
	s_cselect_b32 s2, s4, 0x10000
	s_lshl_b32 s11, s0, 1
	s_lshl_b32 s1, s0, 2
	;; [unrolled: 1-line block ×3, first 2 shown]
	s_add_u32 s15, s8, s14
	s_addc_u32 s16, s9, 0
	s_add_u32 s15, s6, s15
	s_addc_u32 s16, s7, s16
	;; [unrolled: 2-line block ×4, first 2 shown]
	v_add_co_u32 v20, s8, s8, v0
	s_delay_alu instid0(VALU_DEP_1)
	v_add_co_ci_u32_e64 v21, null, s9, 0, s8
	s_lshl_b32 s8, s0, 4
	v_mad_u64_u32 v[5:6], null, s0, 24, v[3:4]
	s_add_u32 s6, s6, s0
	v_add_co_u32 v26, s0, v0, s0
	v_add_co_u32 v22, s8, s8, v3
	;; [unrolled: 1-line block ×4, first 2 shown]
	v_add_co_ci_u32_e64 v23, null, 0, 0, s8
	v_add_co_u32 v24, s8, s11, v0
	s_addc_u32 s7, s7, 0
	v_add_co_u32 v27, vcc_lo, s6, v1
	v_add_co_ci_u32_e64 v18, null, s16, 0, s15
	v_add_co_ci_u32_e64 v19, null, 0, 0, s14
	;; [unrolled: 1-line block ×3, first 2 shown]
	v_add_co_ci_u32_e32 v28, vcc_lo, s7, v7, vcc_lo
	v_add_co_ci_u32_e64 v29, null, 0, 0, s0
	v_lshlrev_b32_e32 v30, 3, v26
	s_mov_b64 s[6:7], 0
	s_branch .LBB285_9
.LBB285_8:                              ;   in Loop: Header=BB285_9 Depth=1
	s_or_b32 exec_lo, exec_lo, s0
	s_add_u32 s6, s6, s1
	s_addc_u32 s7, s7, 0
	s_delay_alu instid0(SALU_CYCLE_1) | instskip(SKIP_1) | instid1(VALU_DEP_1)
	v_cmp_ge_i64_e64 s0, s[6:7], s[4:5]
	v_cmp_lt_u64_e64 s8, 0xffff, s[6:7]
	s_or_b32 s0, s0, s8
	s_add_u32 s12, s12, s10
	s_addc_u32 s13, s13, 0
	s_and_b32 vcc_lo, exec_lo, s0
	s_cbranch_vccnz .LBB285_25
.LBB285_9:                              ; =>This Inner Loop Header: Depth=1
	v_add_co_u32 v7, s0, v0, s6
	s_delay_alu instid0(VALU_DEP_1) | instskip(NEXT) | instid1(VALU_DEP_1)
	v_add_co_ci_u32_e64 v8, null, 0, s7, s0
	v_cmp_gt_i64_e32 vcc_lo, s[4:5], v[7:8]
	v_cmp_gt_u64_e64 s0, 0x10000, v[7:8]
	s_delay_alu instid0(VALU_DEP_1) | instskip(NEXT) | instid1(SALU_CYCLE_1)
	s_and_b32 s8, vcc_lo, s0
	s_and_saveexec_b32 s0, s8
	s_cbranch_execz .LBB285_11
; %bb.10:                               ;   in Loop: Header=BB285_9 Depth=1
	v_add_co_u32 v9, vcc_lo, v15, s6
	v_add_co_ci_u32_e32 v10, vcc_lo, s7, v16, vcc_lo
	global_load_u8 v31, v[9:10], off
.LBB285_11:                             ;   in Loop: Header=BB285_9 Depth=1
	s_or_b32 exec_lo, exec_lo, s0
	v_add_co_u32 v9, vcc_lo, v26, s6
	v_add_co_ci_u32_e32 v10, vcc_lo, s7, v29, vcc_lo
	s_delay_alu instid0(VALU_DEP_1) | instskip(SKIP_1) | instid1(VALU_DEP_1)
	v_cmp_gt_i64_e32 vcc_lo, s[4:5], v[9:10]
	v_cmp_gt_u64_e64 s0, 0x10000, v[9:10]
	s_and_b32 s8, vcc_lo, s0
	s_delay_alu instid0(SALU_CYCLE_1)
	s_and_saveexec_b32 s0, s8
	s_cbranch_execz .LBB285_13
; %bb.12:                               ;   in Loop: Header=BB285_9 Depth=1
	v_add_co_u32 v11, vcc_lo, v27, s6
	v_add_co_ci_u32_e32 v12, vcc_lo, s7, v28, vcc_lo
	global_load_u8 v32, v[11:12], off
.LBB285_13:                             ;   in Loop: Header=BB285_9 Depth=1
	s_or_b32 exec_lo, exec_lo, s0
	v_add_co_u32 v11, vcc_lo, v24, s6
	v_add_co_ci_u32_e32 v12, vcc_lo, s7, v25, vcc_lo
	s_delay_alu instid0(VALU_DEP_1) | instskip(SKIP_1) | instid1(VALU_DEP_1)
	v_cmp_gt_i64_e32 vcc_lo, s[4:5], v[11:12]
	v_cmp_gt_u64_e64 s0, 0x10000, v[11:12]
	s_and_b32 s8, vcc_lo, s0
	s_delay_alu instid0(SALU_CYCLE_1)
	;; [unrolled: 15-line block ×3, first 2 shown]
	s_and_saveexec_b32 s0, s8
	s_cbranch_execnz .LBB285_20
; %bb.16:                               ;   in Loop: Header=BB285_9 Depth=1
	s_or_b32 exec_lo, exec_lo, s0
	s_delay_alu instid0(SALU_CYCLE_1)
	s_mov_b32 s0, exec_lo
	v_cmpx_gt_u64_e64 s[2:3], v[7:8]
	s_cbranch_execnz .LBB285_21
.LBB285_17:                             ;   in Loop: Header=BB285_9 Depth=1
	s_or_b32 exec_lo, exec_lo, s0
	s_delay_alu instid0(SALU_CYCLE_1)
	s_mov_b32 s0, exec_lo
	v_cmpx_gt_u64_e64 s[2:3], v[9:10]
	s_cbranch_execnz .LBB285_22
.LBB285_18:                             ;   in Loop: Header=BB285_9 Depth=1
	s_or_b32 exec_lo, exec_lo, s0
	s_delay_alu instid0(SALU_CYCLE_1)
	s_mov_b32 s0, exec_lo
	v_cmpx_gt_u64_e64 s[2:3], v[11:12]
	s_cbranch_execnz .LBB285_23
.LBB285_19:                             ;   in Loop: Header=BB285_9 Depth=1
	s_or_b32 exec_lo, exec_lo, s0
	s_delay_alu instid0(SALU_CYCLE_1)
	s_mov_b32 s0, exec_lo
	v_cmpx_gt_u64_e64 s[2:3], v[13:14]
	s_cbranch_execz .LBB285_8
	s_branch .LBB285_24
.LBB285_20:                             ;   in Loop: Header=BB285_9 Depth=1
	s_waitcnt vmcnt(0)
	v_add_co_u32 v34, vcc_lo, v17, s6
	v_add_co_ci_u32_e32 v35, vcc_lo, s7, v18, vcc_lo
	global_load_u8 v34, v[34:35], off
	s_or_b32 exec_lo, exec_lo, s0
	s_delay_alu instid0(SALU_CYCLE_1)
	s_mov_b32 s0, exec_lo
	v_cmpx_gt_u64_e64 s[2:3], v[7:8]
	s_cbranch_execz .LBB285_17
.LBB285_21:                             ;   in Loop: Header=BB285_9 Depth=1
	s_waitcnt vmcnt(0)
	v_bfe_i32 v1, v31, 0, 8
	v_add_co_u32 v7, s8, s12, v3
	s_delay_alu instid0(VALU_DEP_1) | instskip(NEXT) | instid1(VALU_DEP_3)
	v_add_co_ci_u32_e64 v8, null, s13, 0, s8
	v_bfe_i32 v1, v1, 0, 16
	s_delay_alu instid0(VALU_DEP_1) | instskip(SKIP_2) | instid1(SALU_CYCLE_1)
	v_cvt_f32_i32_e32 v1, v1
	global_store_b64 v[7:8], v[1:2], off
	s_or_b32 exec_lo, exec_lo, s0
	s_mov_b32 s0, exec_lo
	v_cmpx_gt_u64_e64 s[2:3], v[9:10]
	s_cbranch_execz .LBB285_18
.LBB285_22:                             ;   in Loop: Header=BB285_9 Depth=1
	s_waitcnt vmcnt(0)
	v_bfe_i32 v1, v32, 0, 8
	v_add_co_u32 v7, s8, s12, v30
	s_delay_alu instid0(VALU_DEP_1) | instskip(NEXT) | instid1(VALU_DEP_3)
	v_add_co_ci_u32_e64 v8, null, s13, 0, s8
	v_bfe_i32 v1, v1, 0, 16
	s_delay_alu instid0(VALU_DEP_1) | instskip(SKIP_2) | instid1(SALU_CYCLE_1)
	v_cvt_f32_i32_e32 v1, v1
	global_store_b64 v[7:8], v[1:2], off
	s_or_b32 exec_lo, exec_lo, s0
	s_mov_b32 s0, exec_lo
	v_cmpx_gt_u64_e64 s[2:3], v[11:12]
	s_cbranch_execz .LBB285_19
.LBB285_23:                             ;   in Loop: Header=BB285_9 Depth=1
	s_waitcnt vmcnt(0)
	v_bfe_i32 v1, v33, 0, 8
	v_add_co_u32 v7, vcc_lo, s12, v22
	v_add_co_ci_u32_e32 v8, vcc_lo, s13, v23, vcc_lo
	s_delay_alu instid0(VALU_DEP_3) | instskip(NEXT) | instid1(VALU_DEP_1)
	v_bfe_i32 v1, v1, 0, 16
	v_cvt_f32_i32_e32 v1, v1
	global_store_b64 v[7:8], v[1:2], off
	s_or_b32 exec_lo, exec_lo, s0
	s_delay_alu instid0(SALU_CYCLE_1)
	s_mov_b32 s0, exec_lo
	v_cmpx_gt_u64_e64 s[2:3], v[13:14]
	s_cbranch_execz .LBB285_8
.LBB285_24:                             ;   in Loop: Header=BB285_9 Depth=1
	s_waitcnt vmcnt(0)
	v_bfe_i32 v1, v34, 0, 8
	v_add_co_u32 v7, vcc_lo, s12, v5
	v_add_co_ci_u32_e32 v8, vcc_lo, s13, v6, vcc_lo
	s_delay_alu instid0(VALU_DEP_3) | instskip(NEXT) | instid1(VALU_DEP_1)
	v_bfe_i32 v1, v1, 0, 16
	v_cvt_f32_i32_e32 v1, v1
	global_store_b64 v[7:8], v[1:2], off
	s_branch .LBB285_8
.LBB285_25:
	s_nop 0
	s_sendmsg sendmsg(MSG_DEALLOC_VGPRS)
	s_endpgm
	.section	.rodata,"a",@progbits
	.p2align	6, 0x0
	.amdhsa_kernel _ZN2at6native12_GLOBAL__N_125multi_tensor_apply_kernelINS1_18TensorListMetadataILi2EEENS1_11CopyFunctorIN3c107complexIfEEaLi2ELi1ELi1EEEJNS0_4CopyIS8_aEEEEEvT_T0_DpT1_
		.amdhsa_group_segment_fixed_size 0
		.amdhsa_private_segment_fixed_size 0
		.amdhsa_kernarg_size 3408
		.amdhsa_user_sgpr_count 15
		.amdhsa_user_sgpr_dispatch_ptr 0
		.amdhsa_user_sgpr_queue_ptr 0
		.amdhsa_user_sgpr_kernarg_segment_ptr 1
		.amdhsa_user_sgpr_dispatch_id 0
		.amdhsa_user_sgpr_private_segment_size 0
		.amdhsa_wavefront_size32 1
		.amdhsa_uses_dynamic_stack 0
		.amdhsa_enable_private_segment 0
		.amdhsa_system_sgpr_workgroup_id_x 1
		.amdhsa_system_sgpr_workgroup_id_y 0
		.amdhsa_system_sgpr_workgroup_id_z 0
		.amdhsa_system_sgpr_workgroup_info 0
		.amdhsa_system_vgpr_workitem_id 0
		.amdhsa_next_free_vgpr 36
		.amdhsa_next_free_sgpr 22
		.amdhsa_reserve_vcc 1
		.amdhsa_float_round_mode_32 0
		.amdhsa_float_round_mode_16_64 0
		.amdhsa_float_denorm_mode_32 3
		.amdhsa_float_denorm_mode_16_64 3
		.amdhsa_dx10_clamp 1
		.amdhsa_ieee_mode 1
		.amdhsa_fp16_overflow 0
		.amdhsa_workgroup_processor_mode 1
		.amdhsa_memory_ordered 1
		.amdhsa_forward_progress 0
		.amdhsa_shared_vgpr_count 0
		.amdhsa_exception_fp_ieee_invalid_op 0
		.amdhsa_exception_fp_denorm_src 0
		.amdhsa_exception_fp_ieee_div_zero 0
		.amdhsa_exception_fp_ieee_overflow 0
		.amdhsa_exception_fp_ieee_underflow 0
		.amdhsa_exception_fp_ieee_inexact 0
		.amdhsa_exception_int_div_zero 0
	.end_amdhsa_kernel
	.section	.text._ZN2at6native12_GLOBAL__N_125multi_tensor_apply_kernelINS1_18TensorListMetadataILi2EEENS1_11CopyFunctorIN3c107complexIfEEaLi2ELi1ELi1EEEJNS0_4CopyIS8_aEEEEEvT_T0_DpT1_,"axG",@progbits,_ZN2at6native12_GLOBAL__N_125multi_tensor_apply_kernelINS1_18TensorListMetadataILi2EEENS1_11CopyFunctorIN3c107complexIfEEaLi2ELi1ELi1EEEJNS0_4CopyIS8_aEEEEEvT_T0_DpT1_,comdat
.Lfunc_end285:
	.size	_ZN2at6native12_GLOBAL__N_125multi_tensor_apply_kernelINS1_18TensorListMetadataILi2EEENS1_11CopyFunctorIN3c107complexIfEEaLi2ELi1ELi1EEEJNS0_4CopyIS8_aEEEEEvT_T0_DpT1_, .Lfunc_end285-_ZN2at6native12_GLOBAL__N_125multi_tensor_apply_kernelINS1_18TensorListMetadataILi2EEENS1_11CopyFunctorIN3c107complexIfEEaLi2ELi1ELi1EEEJNS0_4CopyIS8_aEEEEEvT_T0_DpT1_
                                        ; -- End function
	.section	.AMDGPU.csdata,"",@progbits
; Kernel info:
; codeLenInByte = 1608
; NumSgprs: 24
; NumVgprs: 36
; ScratchSize: 0
; MemoryBound: 0
; FloatMode: 240
; IeeeMode: 1
; LDSByteSize: 0 bytes/workgroup (compile time only)
; SGPRBlocks: 2
; VGPRBlocks: 4
; NumSGPRsForWavesPerEU: 24
; NumVGPRsForWavesPerEU: 36
; Occupancy: 16
; WaveLimiterHint : 0
; COMPUTE_PGM_RSRC2:SCRATCH_EN: 0
; COMPUTE_PGM_RSRC2:USER_SGPR: 15
; COMPUTE_PGM_RSRC2:TRAP_HANDLER: 0
; COMPUTE_PGM_RSRC2:TGID_X_EN: 1
; COMPUTE_PGM_RSRC2:TGID_Y_EN: 0
; COMPUTE_PGM_RSRC2:TGID_Z_EN: 0
; COMPUTE_PGM_RSRC2:TIDIG_COMP_CNT: 0
	.section	.text._ZN2at6native12_GLOBAL__N_125multi_tensor_apply_kernelINS1_18TensorListMetadataILi2EEENS1_11CopyFunctorIN3c107complexIfEElLi2ELi1ELi1EEEJNS0_4CopyIS8_lEEEEEvT_T0_DpT1_,"axG",@progbits,_ZN2at6native12_GLOBAL__N_125multi_tensor_apply_kernelINS1_18TensorListMetadataILi2EEENS1_11CopyFunctorIN3c107complexIfEElLi2ELi1ELi1EEEJNS0_4CopyIS8_lEEEEEvT_T0_DpT1_,comdat
	.globl	_ZN2at6native12_GLOBAL__N_125multi_tensor_apply_kernelINS1_18TensorListMetadataILi2EEENS1_11CopyFunctorIN3c107complexIfEElLi2ELi1ELi1EEEJNS0_4CopyIS8_lEEEEEvT_T0_DpT1_ ; -- Begin function _ZN2at6native12_GLOBAL__N_125multi_tensor_apply_kernelINS1_18TensorListMetadataILi2EEENS1_11CopyFunctorIN3c107complexIfEElLi2ELi1ELi1EEEJNS0_4CopyIS8_lEEEEEvT_T0_DpT1_
	.p2align	8
	.type	_ZN2at6native12_GLOBAL__N_125multi_tensor_apply_kernelINS1_18TensorListMetadataILi2EEENS1_11CopyFunctorIN3c107complexIfEElLi2ELi1ELi1EEEJNS0_4CopyIS8_lEEEEEvT_T0_DpT1_,@function
_ZN2at6native12_GLOBAL__N_125multi_tensor_apply_kernelINS1_18TensorListMetadataILi2EEENS1_11CopyFunctorIN3c107complexIfEElLi2ELi1ELi1EEEJNS0_4CopyIS8_lEEEEEvT_T0_DpT1_: ; @_ZN2at6native12_GLOBAL__N_125multi_tensor_apply_kernelINS1_18TensorListMetadataILi2EEENS1_11CopyFunctorIN3c107complexIfEElLi2ELi1ELi1EEEJNS0_4CopyIS8_lEEEEEvT_T0_DpT1_
; %bb.0:
	v_mov_b32_e32 v1, s15
	s_add_u32 s2, s0, s15
	s_mul_hi_u32 s3, s15, 3
	s_mul_i32 s15, s15, 3
	s_addc_u32 s4, s1, 0
	global_load_u8 v1, v1, s[0:1] offset:1536
	s_add_u32 s2, s2, s15
	s_addc_u32 s3, s4, s3
	s_mov_b32 s17, 0
	s_load_b32 s2, s[2:3], 0x740
	s_mov_b32 s19, s17
	s_mov_b32 s21, s17
	s_waitcnt vmcnt(0)
	v_readfirstlane_b32 s5, v1
	s_delay_alu instid0(VALU_DEP_1)
	s_lshl_b32 s3, s5, 3
	s_clause 0x2
	s_load_b64 s[10:11], s[0:1], s3 offset:0x0
	s_load_b64 s[12:13], s[0:1], s3 offset:0x200
	;; [unrolled: 1-line block ×3, first 2 shown]
	s_waitcnt lgkmcnt(0)
	s_ashr_i32 s3, s2, 31
	s_delay_alu instid0(SALU_CYCLE_1)
	s_lshl_b64 s[4:5], s[2:3], 19
	s_lshl_b64 s[2:3], s[2:3], 16
	s_add_u32 s8, s10, s4
	s_addc_u32 s9, s11, s5
	s_add_u32 s14, s12, s4
	s_addc_u32 s15, s13, s5
	s_and_b32 s20, s6, 3
	s_and_b32 s18, s14, 31
	;; [unrolled: 1-line block ×3, first 2 shown]
	s_or_b64 s[18:19], s[18:19], s[20:21]
	s_delay_alu instid0(SALU_CYCLE_1)
	s_or_b64 s[16:17], s[16:17], s[18:19]
	s_sub_u32 s6, s6, s2
	s_subb_u32 s7, s7, s3
	s_cmp_eq_u64 s[16:17], 0
	s_mov_b32 s2, -1
	s_cbranch_scc0 .LBB286_5
; %bb.1:
	v_dual_mov_b32 v2, 0 :: v_dual_lshlrev_b32 v1, 2, v0
	s_mov_b32 s16, exec_lo
	s_delay_alu instid0(VALU_DEP_1)
	v_cmpx_gt_i64_e64 s[6:7], v[1:2]
	s_cbranch_execz .LBB286_4
; %bb.2:
	s_load_b32 s2, s[0:1], 0xc5c
	s_mov_b32 s17, 0
	s_waitcnt lgkmcnt(0)
	s_and_b32 s2, s2, 0xffff
	s_delay_alu instid0(SALU_CYCLE_1) | instskip(SKIP_3) | instid1(VALU_DEP_2)
	v_add_lshl_u32 v1, v0, s2, 2
	v_dual_mov_b32 v6, v2 :: v_dual_lshlrev_b32 v7, 5, v0
	s_lshl_b32 s18, s2, 2
	s_lshl_b32 s19, s2, 5
	v_mov_b32_e32 v5, v1
.LBB286_3:                              ; =>This Inner Loop Header: Depth=1
	s_delay_alu instid0(VALU_DEP_2) | instskip(NEXT) | instid1(VALU_DEP_1)
	v_add_co_u32 v3, s2, s8, v7
	v_add_co_ci_u32_e64 v4, null, s9, 0, s2
	v_add_co_u32 v19, s2, s14, v7
	s_delay_alu instid0(VALU_DEP_1)
	v_add_co_ci_u32_e64 v20, null, s15, 0, s2
	s_clause 0x1
	global_load_b128 v[8:11], v[3:4], off
	global_load_b128 v[12:15], v[3:4], off offset:16
	v_cmp_le_i64_e32 vcc_lo, s[6:7], v[5:6]
	v_cmp_lt_u64_e64 s2, 0xffff, v[5:6]
	v_add_co_u32 v5, s3, v5, s18
	s_delay_alu instid0(VALU_DEP_1) | instskip(NEXT) | instid1(VALU_DEP_3)
	v_add_co_ci_u32_e64 v6, s3, 0, v6, s3
	s_or_b32 s2, vcc_lo, s2
	s_add_u32 s8, s8, s19
	s_addc_u32 s9, s9, 0
	s_add_u32 s14, s14, s19
	s_addc_u32 s15, s15, 0
	s_and_b32 s2, exec_lo, s2
	s_delay_alu instid0(SALU_CYCLE_1)
	s_or_b32 s17, s2, s17
	s_waitcnt vmcnt(1)
	v_xor_b32_e32 v1, v8, v9
	v_xor_b32_e32 v17, v10, v11
	s_waitcnt vmcnt(0)
	v_xor_b32_e32 v22, v12, v13
	v_xor_b32_e32 v24, v14, v15
	v_cls_i32_e32 v3, v9
	v_cls_i32_e32 v21, v11
	v_ashrrev_i32_e32 v1, 31, v1
	v_ashrrev_i32_e32 v17, 31, v17
	v_cls_i32_e32 v23, v13
	v_cls_i32_e32 v25, v15
	v_ashrrev_i32_e32 v22, 31, v22
	v_ashrrev_i32_e32 v24, 31, v24
	v_dual_mov_b32 v4, v2 :: v_dual_add_nc_u32 v3, -1, v3
	v_dual_mov_b32 v16, v2 :: v_dual_add_nc_u32 v21, -1, v21
	v_add_nc_u32_e32 v1, 32, v1
	v_dual_mov_b32 v18, v2 :: v_dual_add_nc_u32 v17, 32, v17
	v_add_nc_u32_e32 v23, -1, v23
	v_add_nc_u32_e32 v25, -1, v25
	v_add_nc_u32_e32 v22, 32, v22
	v_add_nc_u32_e32 v24, 32, v24
	v_min_u32_e32 v1, v3, v1
	v_min_u32_e32 v3, v21, v17
	s_delay_alu instid0(VALU_DEP_4) | instskip(NEXT) | instid1(VALU_DEP_4)
	v_min_u32_e32 v17, v23, v22
	v_min_u32_e32 v21, v25, v24
	s_delay_alu instid0(VALU_DEP_4) | instskip(NEXT) | instid1(VALU_DEP_4)
	v_lshlrev_b64 v[8:9], v1, v[8:9]
	v_lshlrev_b64 v[10:11], v3, v[10:11]
	v_sub_nc_u32_e32 v1, 32, v1
	v_lshlrev_b64 v[12:13], v17, v[12:13]
	v_lshlrev_b64 v[14:15], v21, v[14:15]
	v_sub_nc_u32_e32 v3, 32, v3
	v_min_u32_e32 v8, 1, v8
	v_min_u32_e32 v10, 1, v10
	v_sub_nc_u32_e32 v17, 32, v17
	v_min_u32_e32 v12, 1, v12
	v_min_u32_e32 v14, 1, v14
	v_or_b32_e32 v8, v9, v8
	v_or_b32_e32 v9, v11, v10
	s_delay_alu instid0(VALU_DEP_4) | instskip(NEXT) | instid1(VALU_DEP_4)
	v_or_b32_e32 v10, v13, v12
	v_or_b32_e32 v11, v15, v14
	s_delay_alu instid0(VALU_DEP_4) | instskip(NEXT) | instid1(VALU_DEP_4)
	v_cvt_f32_i32_e32 v8, v8
	v_cvt_f32_i32_e32 v9, v9
	v_sub_nc_u32_e32 v12, 32, v21
	v_cvt_f32_i32_e32 v10, v10
	v_cvt_f32_i32_e32 v11, v11
	v_ldexp_f32 v1, v8, v1
	v_ldexp_f32 v3, v9, v3
	s_delay_alu instid0(VALU_DEP_4) | instskip(NEXT) | instid1(VALU_DEP_4)
	v_ldexp_f32 v15, v10, v17
	v_ldexp_f32 v17, v11, v12
	s_clause 0x1
	global_store_b128 v[19:20], v[1:4], off
	global_store_b128 v[19:20], v[15:18], off offset:16
	s_and_not1_b32 exec_lo, exec_lo, s17
	s_cbranch_execnz .LBB286_3
.LBB286_4:
	s_or_b32 exec_lo, exec_lo, s16
	s_mov_b32 s2, 0
.LBB286_5:
	s_delay_alu instid0(SALU_CYCLE_1)
	s_and_not1_b32 vcc_lo, exec_lo, s2
	s_cbranch_vccnz .LBB286_25
; %bb.6:
	v_cmp_lt_i64_e64 s2, s[6:7], 1
	s_delay_alu instid0(VALU_DEP_1)
	s_and_b32 vcc_lo, exec_lo, s2
	s_cbranch_vccnz .LBB286_25
; %bb.7:
	s_load_b32 s0, s[0:1], 0xc5c
	v_dual_mov_b32 v1, 0 :: v_dual_lshlrev_b32 v2, 3, v0
	v_cmp_gt_u64_e64 s2, 0x10000, s[6:7]
	s_mov_b32 s3, 0
                                        ; implicit-def: $vgpr6_vgpr7
                                        ; implicit-def: $vgpr8_vgpr9
                                        ; implicit-def: $vgpr10_vgpr11
	s_delay_alu instid0(VALU_DEP_2) | instskip(NEXT) | instid1(VALU_DEP_3)
	v_mov_b32_e32 v3, v1
	v_add_co_u32 v18, s1, s10, v2
	s_delay_alu instid0(VALU_DEP_1) | instskip(SKIP_1) | instid1(VALU_DEP_1)
	v_add_co_ci_u32_e64 v19, null, s11, 0, s1
	v_add_co_u32 v20, s1, s12, v2
	v_add_co_ci_u32_e64 v21, null, s13, 0, s1
	s_waitcnt lgkmcnt(0)
	s_and_b32 s1, s0, 0xffff
	s_and_b32 s0, s2, exec_lo
	v_mad_u64_u32 v[4:5], null, s1, 24, v[2:3]
	s_cselect_b32 s9, s7, 0
	s_cselect_b32 s8, s6, 0x10000
	s_lshl_b32 s0, s1, 4
	s_lshl_b32 s2, s1, 2
	v_add_co_u32 v2, s0, s0, v2
	s_delay_alu instid0(VALU_DEP_2) | instskip(NEXT) | instid1(VALU_DEP_3)
	v_add_co_u32 v22, vcc_lo, s10, v4
	v_add_co_ci_u32_e32 v23, vcc_lo, s11, v5, vcc_lo
	v_add_co_ci_u32_e64 v3, null, 0, 0, s0
	v_add_co_u32 v24, vcc_lo, s12, v4
	v_add_lshl_u32 v4, v0, s1, 3
	v_add_co_ci_u32_e32 v25, vcc_lo, s13, v5, vcc_lo
	v_add_co_u32 v26, vcc_lo, s10, v2
	v_add_co_ci_u32_e32 v27, vcc_lo, s11, v3, vcc_lo
	s_delay_alu instid0(VALU_DEP_4)
	v_add_co_u32 v30, s0, s10, v4
	v_add_co_u32 v28, vcc_lo, s12, v2
	v_add_co_ci_u32_e64 v31, null, s11, 0, s0
	v_add_co_u32 v32, s0, s12, v4
	v_add_co_ci_u32_e32 v29, vcc_lo, s13, v3, vcc_lo
	v_dual_mov_b32 v3, v1 :: v_dual_mov_b32 v2, v0
	v_add_co_ci_u32_e64 v33, null, s13, 0, s0
	s_lshl_b32 s14, s1, 1
	s_mul_i32 s15, s1, 3
	s_lshl_b32 s12, s1, 5
	s_mov_b64 s[10:11], s[2:3]
                                        ; implicit-def: $vgpr4_vgpr5
	s_branch .LBB286_9
.LBB286_8:                              ;   in Loop: Header=BB286_9 Depth=1
	s_or_b32 exec_lo, exec_lo, s0
	v_add_co_u32 v18, vcc_lo, v18, s12
	v_add_co_ci_u32_e32 v19, vcc_lo, 0, v19, vcc_lo
	v_add_co_u32 v20, vcc_lo, v20, s12
	v_add_co_ci_u32_e32 v21, vcc_lo, 0, v21, vcc_lo
	;; [unrolled: 2-line block ×7, first 2 shown]
	v_cmp_ge_i64_e64 s0, s[10:11], s[6:7]
	v_cmp_lt_u64_e64 s3, 0xffff, s[10:11]
	v_add_co_u32 v30, vcc_lo, v30, s12
	v_add_co_ci_u32_e32 v31, vcc_lo, 0, v31, vcc_lo
	v_add_co_u32 v32, vcc_lo, v32, s12
	v_add_co_ci_u32_e32 v33, vcc_lo, 0, v33, vcc_lo
	s_or_b32 s0, s0, s3
	s_add_u32 s10, s10, s2
	s_addc_u32 s11, s11, 0
	s_and_b32 vcc_lo, exec_lo, s0
	s_cbranch_vccnz .LBB286_25
.LBB286_9:                              ; =>This Inner Loop Header: Depth=1
	v_cmp_gt_i64_e32 vcc_lo, s[6:7], v[2:3]
	v_cmp_gt_u64_e64 s0, 0x10000, v[2:3]
	s_delay_alu instid0(VALU_DEP_1) | instskip(NEXT) | instid1(SALU_CYCLE_1)
	s_and_b32 s3, vcc_lo, s0
	s_and_saveexec_b32 s0, s3
	s_cbranch_execz .LBB286_11
; %bb.10:                               ;   in Loop: Header=BB286_9 Depth=1
	s_waitcnt vmcnt(0)
	v_add_co_u32 v10, vcc_lo, v18, s4
	v_add_co_ci_u32_e32 v11, vcc_lo, s5, v19, vcc_lo
	global_load_b64 v[10:11], v[10:11], off
.LBB286_11:                             ;   in Loop: Header=BB286_9 Depth=1
	s_or_b32 exec_lo, exec_lo, s0
	v_add_co_u32 v16, vcc_lo, s1, v2
	v_add_co_ci_u32_e32 v17, vcc_lo, 0, v3, vcc_lo
	s_delay_alu instid0(VALU_DEP_1) | instskip(SKIP_1) | instid1(VALU_DEP_1)
	v_cmp_gt_i64_e32 vcc_lo, s[6:7], v[16:17]
	v_cmp_gt_u64_e64 s0, 0x10000, v[16:17]
	s_and_b32 s3, vcc_lo, s0
	s_delay_alu instid0(SALU_CYCLE_1)
	s_and_saveexec_b32 s0, s3
	s_cbranch_execz .LBB286_13
; %bb.12:                               ;   in Loop: Header=BB286_9 Depth=1
	s_waitcnt vmcnt(0)
	v_add_co_u32 v8, vcc_lo, v30, s4
	v_add_co_ci_u32_e32 v9, vcc_lo, s5, v31, vcc_lo
	global_load_b64 v[8:9], v[8:9], off
.LBB286_13:                             ;   in Loop: Header=BB286_9 Depth=1
	s_or_b32 exec_lo, exec_lo, s0
	v_add_co_u32 v14, vcc_lo, s14, v2
	v_add_co_ci_u32_e32 v15, vcc_lo, 0, v3, vcc_lo
	s_delay_alu instid0(VALU_DEP_1) | instskip(SKIP_1) | instid1(VALU_DEP_1)
	v_cmp_gt_i64_e32 vcc_lo, s[6:7], v[14:15]
	v_cmp_gt_u64_e64 s0, 0x10000, v[14:15]
	s_and_b32 s3, vcc_lo, s0
	s_delay_alu instid0(SALU_CYCLE_1)
	;; [unrolled: 16-line block ×3, first 2 shown]
	s_and_saveexec_b32 s0, s3
	s_cbranch_execnz .LBB286_20
; %bb.16:                               ;   in Loop: Header=BB286_9 Depth=1
	s_or_b32 exec_lo, exec_lo, s0
	s_delay_alu instid0(SALU_CYCLE_1)
	s_mov_b32 s0, exec_lo
	v_cmpx_gt_u64_e64 s[8:9], v[2:3]
	s_cbranch_execnz .LBB286_21
.LBB286_17:                             ;   in Loop: Header=BB286_9 Depth=1
	s_or_b32 exec_lo, exec_lo, s0
	s_delay_alu instid0(SALU_CYCLE_1)
	s_mov_b32 s0, exec_lo
	v_cmpx_gt_u64_e64 s[8:9], v[16:17]
	s_cbranch_execnz .LBB286_22
.LBB286_18:                             ;   in Loop: Header=BB286_9 Depth=1
	s_or_b32 exec_lo, exec_lo, s0
	s_delay_alu instid0(SALU_CYCLE_1)
	s_mov_b32 s0, exec_lo
	v_cmpx_gt_u64_e64 s[8:9], v[14:15]
	s_cbranch_execnz .LBB286_23
.LBB286_19:                             ;   in Loop: Header=BB286_9 Depth=1
	s_or_b32 exec_lo, exec_lo, s0
	s_delay_alu instid0(SALU_CYCLE_1)
	s_mov_b32 s0, exec_lo
	v_cmpx_gt_u64_e64 s[8:9], v[12:13]
	s_cbranch_execz .LBB286_8
	s_branch .LBB286_24
.LBB286_20:                             ;   in Loop: Header=BB286_9 Depth=1
	s_waitcnt vmcnt(0)
	v_add_co_u32 v4, vcc_lo, v22, s4
	v_add_co_ci_u32_e32 v5, vcc_lo, s5, v23, vcc_lo
	global_load_b64 v[4:5], v[4:5], off
	s_or_b32 exec_lo, exec_lo, s0
	s_delay_alu instid0(SALU_CYCLE_1)
	s_mov_b32 s0, exec_lo
	v_cmpx_gt_u64_e64 s[8:9], v[2:3]
	s_cbranch_execz .LBB286_17
.LBB286_21:                             ;   in Loop: Header=BB286_9 Depth=1
	s_waitcnt vmcnt(0)
	v_xor_b32_e32 v0, v10, v11
	v_cls_i32_e32 v34, v11
	s_delay_alu instid0(VALU_DEP_2) | instskip(NEXT) | instid1(VALU_DEP_2)
	v_ashrrev_i32_e32 v0, 31, v0
	v_add_nc_u32_e32 v34, -1, v34
	s_delay_alu instid0(VALU_DEP_2) | instskip(NEXT) | instid1(VALU_DEP_1)
	v_add_nc_u32_e32 v0, 32, v0
	v_min_u32_e32 v0, v34, v0
	s_delay_alu instid0(VALU_DEP_1) | instskip(SKIP_1) | instid1(VALU_DEP_2)
	v_lshlrev_b64 v[34:35], v0, v[10:11]
	v_sub_nc_u32_e32 v0, 32, v0
	v_min_u32_e32 v34, 1, v34
	s_delay_alu instid0(VALU_DEP_1) | instskip(NEXT) | instid1(VALU_DEP_1)
	v_or_b32_e32 v34, v35, v34
	v_cvt_f32_i32_e32 v36, v34
	v_add_co_u32 v34, vcc_lo, v20, s4
	v_add_co_ci_u32_e32 v35, vcc_lo, s5, v21, vcc_lo
	s_delay_alu instid0(VALU_DEP_3) | instskip(SKIP_2) | instid1(SALU_CYCLE_1)
	v_ldexp_f32 v0, v36, v0
	global_store_b64 v[34:35], v[0:1], off
	s_or_b32 exec_lo, exec_lo, s0
	s_mov_b32 s0, exec_lo
	v_cmpx_gt_u64_e64 s[8:9], v[16:17]
	s_cbranch_execz .LBB286_18
.LBB286_22:                             ;   in Loop: Header=BB286_9 Depth=1
	s_waitcnt vmcnt(0)
	v_xor_b32_e32 v0, v8, v9
	v_cls_i32_e32 v16, v9
	s_delay_alu instid0(VALU_DEP_2) | instskip(NEXT) | instid1(VALU_DEP_2)
	v_ashrrev_i32_e32 v0, 31, v0
	v_add_nc_u32_e32 v16, -1, v16
	s_delay_alu instid0(VALU_DEP_2) | instskip(NEXT) | instid1(VALU_DEP_1)
	v_add_nc_u32_e32 v0, 32, v0
	v_min_u32_e32 v0, v16, v0
	s_delay_alu instid0(VALU_DEP_1) | instskip(SKIP_1) | instid1(VALU_DEP_2)
	v_lshlrev_b64 v[16:17], v0, v[8:9]
	v_sub_nc_u32_e32 v0, 32, v0
	v_min_u32_e32 v16, 1, v16
	s_delay_alu instid0(VALU_DEP_1) | instskip(NEXT) | instid1(VALU_DEP_1)
	v_or_b32_e32 v16, v17, v16
	v_cvt_f32_i32_e32 v16, v16
	s_delay_alu instid0(VALU_DEP_1) | instskip(SKIP_4) | instid1(SALU_CYCLE_1)
	v_ldexp_f32 v0, v16, v0
	v_add_co_u32 v16, vcc_lo, v32, s4
	v_add_co_ci_u32_e32 v17, vcc_lo, s5, v33, vcc_lo
	global_store_b64 v[16:17], v[0:1], off
	s_or_b32 exec_lo, exec_lo, s0
	s_mov_b32 s0, exec_lo
	v_cmpx_gt_u64_e64 s[8:9], v[14:15]
	s_cbranch_execz .LBB286_19
.LBB286_23:                             ;   in Loop: Header=BB286_9 Depth=1
	s_waitcnt vmcnt(0)
	v_xor_b32_e32 v0, v6, v7
	v_cls_i32_e32 v14, v7
	s_delay_alu instid0(VALU_DEP_2) | instskip(NEXT) | instid1(VALU_DEP_2)
	v_ashrrev_i32_e32 v0, 31, v0
	v_add_nc_u32_e32 v14, -1, v14
	s_delay_alu instid0(VALU_DEP_2) | instskip(NEXT) | instid1(VALU_DEP_1)
	v_add_nc_u32_e32 v0, 32, v0
	v_min_u32_e32 v0, v14, v0
	s_delay_alu instid0(VALU_DEP_1) | instskip(SKIP_1) | instid1(VALU_DEP_2)
	v_lshlrev_b64 v[14:15], v0, v[6:7]
	v_sub_nc_u32_e32 v0, 32, v0
	v_min_u32_e32 v14, 1, v14
	s_delay_alu instid0(VALU_DEP_1) | instskip(NEXT) | instid1(VALU_DEP_1)
	v_or_b32_e32 v14, v15, v14
	v_cvt_f32_i32_e32 v14, v14
	s_delay_alu instid0(VALU_DEP_1) | instskip(SKIP_4) | instid1(SALU_CYCLE_1)
	v_ldexp_f32 v0, v14, v0
	v_add_co_u32 v14, vcc_lo, v28, s4
	v_add_co_ci_u32_e32 v15, vcc_lo, s5, v29, vcc_lo
	global_store_b64 v[14:15], v[0:1], off
	s_or_b32 exec_lo, exec_lo, s0
	s_mov_b32 s0, exec_lo
	v_cmpx_gt_u64_e64 s[8:9], v[12:13]
	s_cbranch_execz .LBB286_8
.LBB286_24:                             ;   in Loop: Header=BB286_9 Depth=1
	s_waitcnt vmcnt(0)
	v_xor_b32_e32 v0, v4, v5
	v_cls_i32_e32 v12, v5
	s_delay_alu instid0(VALU_DEP_2) | instskip(NEXT) | instid1(VALU_DEP_2)
	v_ashrrev_i32_e32 v0, 31, v0
	v_add_nc_u32_e32 v12, -1, v12
	s_delay_alu instid0(VALU_DEP_2) | instskip(NEXT) | instid1(VALU_DEP_1)
	v_add_nc_u32_e32 v0, 32, v0
	v_min_u32_e32 v0, v12, v0
	s_delay_alu instid0(VALU_DEP_1) | instskip(SKIP_1) | instid1(VALU_DEP_2)
	v_lshlrev_b64 v[12:13], v0, v[4:5]
	v_sub_nc_u32_e32 v0, 32, v0
	v_min_u32_e32 v12, 1, v12
	s_delay_alu instid0(VALU_DEP_1) | instskip(NEXT) | instid1(VALU_DEP_1)
	v_or_b32_e32 v12, v13, v12
	v_cvt_f32_i32_e32 v12, v12
	s_delay_alu instid0(VALU_DEP_1)
	v_ldexp_f32 v0, v12, v0
	v_add_co_u32 v12, vcc_lo, v24, s4
	v_add_co_ci_u32_e32 v13, vcc_lo, s5, v25, vcc_lo
	global_store_b64 v[12:13], v[0:1], off
	s_branch .LBB286_8
.LBB286_25:
	s_nop 0
	s_sendmsg sendmsg(MSG_DEALLOC_VGPRS)
	s_endpgm
	.section	.rodata,"a",@progbits
	.p2align	6, 0x0
	.amdhsa_kernel _ZN2at6native12_GLOBAL__N_125multi_tensor_apply_kernelINS1_18TensorListMetadataILi2EEENS1_11CopyFunctorIN3c107complexIfEElLi2ELi1ELi1EEEJNS0_4CopyIS8_lEEEEEvT_T0_DpT1_
		.amdhsa_group_segment_fixed_size 0
		.amdhsa_private_segment_fixed_size 0
		.amdhsa_kernarg_size 3408
		.amdhsa_user_sgpr_count 15
		.amdhsa_user_sgpr_dispatch_ptr 0
		.amdhsa_user_sgpr_queue_ptr 0
		.amdhsa_user_sgpr_kernarg_segment_ptr 1
		.amdhsa_user_sgpr_dispatch_id 0
		.amdhsa_user_sgpr_private_segment_size 0
		.amdhsa_wavefront_size32 1
		.amdhsa_uses_dynamic_stack 0
		.amdhsa_enable_private_segment 0
		.amdhsa_system_sgpr_workgroup_id_x 1
		.amdhsa_system_sgpr_workgroup_id_y 0
		.amdhsa_system_sgpr_workgroup_id_z 0
		.amdhsa_system_sgpr_workgroup_info 0
		.amdhsa_system_vgpr_workitem_id 0
		.amdhsa_next_free_vgpr 37
		.amdhsa_next_free_sgpr 22
		.amdhsa_reserve_vcc 1
		.amdhsa_float_round_mode_32 0
		.amdhsa_float_round_mode_16_64 0
		.amdhsa_float_denorm_mode_32 3
		.amdhsa_float_denorm_mode_16_64 3
		.amdhsa_dx10_clamp 1
		.amdhsa_ieee_mode 1
		.amdhsa_fp16_overflow 0
		.amdhsa_workgroup_processor_mode 1
		.amdhsa_memory_ordered 1
		.amdhsa_forward_progress 0
		.amdhsa_shared_vgpr_count 0
		.amdhsa_exception_fp_ieee_invalid_op 0
		.amdhsa_exception_fp_denorm_src 0
		.amdhsa_exception_fp_ieee_div_zero 0
		.amdhsa_exception_fp_ieee_overflow 0
		.amdhsa_exception_fp_ieee_underflow 0
		.amdhsa_exception_fp_ieee_inexact 0
		.amdhsa_exception_int_div_zero 0
	.end_amdhsa_kernel
	.section	.text._ZN2at6native12_GLOBAL__N_125multi_tensor_apply_kernelINS1_18TensorListMetadataILi2EEENS1_11CopyFunctorIN3c107complexIfEElLi2ELi1ELi1EEEJNS0_4CopyIS8_lEEEEEvT_T0_DpT1_,"axG",@progbits,_ZN2at6native12_GLOBAL__N_125multi_tensor_apply_kernelINS1_18TensorListMetadataILi2EEENS1_11CopyFunctorIN3c107complexIfEElLi2ELi1ELi1EEEJNS0_4CopyIS8_lEEEEEvT_T0_DpT1_,comdat
.Lfunc_end286:
	.size	_ZN2at6native12_GLOBAL__N_125multi_tensor_apply_kernelINS1_18TensorListMetadataILi2EEENS1_11CopyFunctorIN3c107complexIfEElLi2ELi1ELi1EEEJNS0_4CopyIS8_lEEEEEvT_T0_DpT1_, .Lfunc_end286-_ZN2at6native12_GLOBAL__N_125multi_tensor_apply_kernelINS1_18TensorListMetadataILi2EEENS1_11CopyFunctorIN3c107complexIfEElLi2ELi1ELi1EEEJNS0_4CopyIS8_lEEEEEvT_T0_DpT1_
                                        ; -- End function
	.section	.AMDGPU.csdata,"",@progbits
; Kernel info:
; codeLenInByte = 2020
; NumSgprs: 24
; NumVgprs: 37
; ScratchSize: 0
; MemoryBound: 0
; FloatMode: 240
; IeeeMode: 1
; LDSByteSize: 0 bytes/workgroup (compile time only)
; SGPRBlocks: 2
; VGPRBlocks: 4
; NumSGPRsForWavesPerEU: 24
; NumVGPRsForWavesPerEU: 37
; Occupancy: 16
; WaveLimiterHint : 0
; COMPUTE_PGM_RSRC2:SCRATCH_EN: 0
; COMPUTE_PGM_RSRC2:USER_SGPR: 15
; COMPUTE_PGM_RSRC2:TRAP_HANDLER: 0
; COMPUTE_PGM_RSRC2:TGID_X_EN: 1
; COMPUTE_PGM_RSRC2:TGID_Y_EN: 0
; COMPUTE_PGM_RSRC2:TGID_Z_EN: 0
; COMPUTE_PGM_RSRC2:TIDIG_COMP_CNT: 0
	.section	.text._ZN2at6native12_GLOBAL__N_125multi_tensor_apply_kernelINS1_18TensorListMetadataILi2EEENS1_11CopyFunctorIN3c107complexIfEEsLi2ELi1ELi1EEEJNS0_4CopyIS8_sEEEEEvT_T0_DpT1_,"axG",@progbits,_ZN2at6native12_GLOBAL__N_125multi_tensor_apply_kernelINS1_18TensorListMetadataILi2EEENS1_11CopyFunctorIN3c107complexIfEEsLi2ELi1ELi1EEEJNS0_4CopyIS8_sEEEEEvT_T0_DpT1_,comdat
	.globl	_ZN2at6native12_GLOBAL__N_125multi_tensor_apply_kernelINS1_18TensorListMetadataILi2EEENS1_11CopyFunctorIN3c107complexIfEEsLi2ELi1ELi1EEEJNS0_4CopyIS8_sEEEEEvT_T0_DpT1_ ; -- Begin function _ZN2at6native12_GLOBAL__N_125multi_tensor_apply_kernelINS1_18TensorListMetadataILi2EEENS1_11CopyFunctorIN3c107complexIfEEsLi2ELi1ELi1EEEJNS0_4CopyIS8_sEEEEEvT_T0_DpT1_
	.p2align	8
	.type	_ZN2at6native12_GLOBAL__N_125multi_tensor_apply_kernelINS1_18TensorListMetadataILi2EEENS1_11CopyFunctorIN3c107complexIfEEsLi2ELi1ELi1EEEJNS0_4CopyIS8_sEEEEEvT_T0_DpT1_,@function
_ZN2at6native12_GLOBAL__N_125multi_tensor_apply_kernelINS1_18TensorListMetadataILi2EEENS1_11CopyFunctorIN3c107complexIfEEsLi2ELi1ELi1EEEJNS0_4CopyIS8_sEEEEEvT_T0_DpT1_: ; @_ZN2at6native12_GLOBAL__N_125multi_tensor_apply_kernelINS1_18TensorListMetadataILi2EEENS1_11CopyFunctorIN3c107complexIfEEsLi2ELi1ELi1EEEJNS0_4CopyIS8_sEEEEEvT_T0_DpT1_
; %bb.0:
	v_mov_b32_e32 v1, s15
	s_add_u32 s2, s0, s15
	s_mul_hi_u32 s3, s15, 3
	s_mul_i32 s15, s15, 3
	s_addc_u32 s4, s1, 0
	global_load_u8 v1, v1, s[0:1] offset:1536
	s_add_u32 s2, s2, s15
	s_addc_u32 s3, s4, s3
	s_mov_b32 s15, 0
	s_load_b32 s8, s[2:3], 0x740
	s_mov_b32 s19, s15
	s_waitcnt lgkmcnt(0)
	s_ashr_i32 s9, s8, 31
	s_delay_alu instid0(SALU_CYCLE_1) | instskip(SKIP_3) | instid1(VALU_DEP_1)
	s_lshl_b64 s[10:11], s[8:9], 19
	s_lshl_b64 s[16:17], s[8:9], 16
	s_waitcnt vmcnt(0)
	v_readfirstlane_b32 s5, v1
	s_lshl_b32 s6, s5, 3
	s_clause 0x2
	s_load_b64 s[2:3], s[0:1], s6 offset:0x200
	s_load_b64 s[4:5], s[0:1], s6 offset:0x400
	;; [unrolled: 1-line block ×3, first 2 shown]
	s_waitcnt lgkmcnt(0)
	s_add_u32 s12, s2, s10
	s_addc_u32 s13, s3, s11
	s_and_b32 s18, s4, 3
	s_and_b32 s14, s12, 31
	;; [unrolled: 1-line block ×3, first 2 shown]
	s_or_b64 s[14:15], s[14:15], s[18:19]
	s_delay_alu instid0(SALU_CYCLE_1)
	s_or_b32 s14, s14, s20
	s_sub_u32 s4, s4, s16
	s_subb_u32 s5, s5, s17
	s_cmp_eq_u64 s[14:15], 0
	s_mov_b32 s14, -1
	s_cbranch_scc0 .LBB287_5
; %bb.1:
	v_dual_mov_b32 v2, 0 :: v_dual_lshlrev_b32 v1, 2, v0
	s_mov_b32 s14, exec_lo
	s_delay_alu instid0(VALU_DEP_1)
	v_cmpx_gt_i64_e64 s[4:5], v[1:2]
	s_cbranch_execz .LBB287_4
; %bb.2:
	s_load_b32 s15, s[0:1], 0xc5c
	s_lshl_b64 s[16:17], s[8:9], 17
	s_waitcnt lgkmcnt(0)
	s_and_b32 s18, s15, 0xffff
	s_add_u32 s19, s6, s16
	v_add_lshl_u32 v1, v0, s18, 2
	v_dual_mov_b32 v10, v2 :: v_dual_lshlrev_b32 v3, 3, v0
	v_lshlrev_b32_e32 v4, 5, v0
	s_addc_u32 s17, s7, s17
	s_delay_alu instid0(VALU_DEP_3)
	v_mov_b32_e32 v9, v1
	s_lshl_b32 s15, s18, 3
	s_lshl_b32 s16, s18, 2
	s_add_u32 s2, s2, s10
	v_add_co_u32 v5, s10, s19, v3
	s_addc_u32 s3, s3, s11
	v_add_co_u32 v7, s2, s2, v4
	v_add_co_ci_u32_e64 v6, null, s17, 0, s10
	v_add_co_ci_u32_e64 v8, null, s3, 0, s2
	s_mov_b32 s10, 0
	s_lshl_b32 s11, s18, 5
	s_set_inst_prefetch_distance 0x1
	.p2align	6
.LBB287_3:                              ; =>This Inner Loop Header: Depth=1
	global_load_b64 v[15:16], v[5:6], off
	v_cmp_le_i64_e32 vcc_lo, s[4:5], v[9:10]
	v_cmp_lt_u64_e64 s2, 0xffff, v[9:10]
	v_mov_b32_e32 v4, v2
	v_mov_b32_e32 v12, v2
	v_mov_b32_e32 v14, v2
	v_add_co_u32 v5, s3, v5, s15
	s_delay_alu instid0(VALU_DEP_1) | instskip(SKIP_4) | instid1(SALU_CYCLE_1)
	v_add_co_ci_u32_e64 v6, s3, 0, v6, s3
	v_add_co_u32 v9, s3, v9, s16
	s_or_b32 s2, vcc_lo, s2
	v_add_co_ci_u32_e64 v10, s3, 0, v10, s3
	s_and_b32 s2, exec_lo, s2
	s_or_b32 s10, s2, s10
	s_waitcnt vmcnt(0)
	v_bfe_i32 v1, v15, 0, 16
	v_ashrrev_i32_e32 v3, 16, v15
	v_bfe_i32 v11, v16, 0, 16
	v_ashrrev_i32_e32 v13, 16, v16
	s_delay_alu instid0(VALU_DEP_4) | instskip(NEXT) | instid1(VALU_DEP_4)
	v_cvt_f32_i32_e32 v1, v1
	v_cvt_f32_i32_e32 v3, v3
	s_delay_alu instid0(VALU_DEP_4) | instskip(NEXT) | instid1(VALU_DEP_4)
	v_cvt_f32_i32_e32 v11, v11
	v_cvt_f32_i32_e32 v13, v13
	s_clause 0x1
	global_store_b128 v[7:8], v[1:4], off
	global_store_b128 v[7:8], v[11:14], off offset:16
	v_add_co_u32 v7, vcc_lo, v7, s11
	v_add_co_ci_u32_e32 v8, vcc_lo, 0, v8, vcc_lo
	s_and_not1_b32 exec_lo, exec_lo, s10
	s_cbranch_execnz .LBB287_3
.LBB287_4:
	s_set_inst_prefetch_distance 0x2
	s_or_b32 exec_lo, exec_lo, s14
	s_mov_b32 s14, 0
.LBB287_5:
	s_delay_alu instid0(SALU_CYCLE_1)
	s_and_not1_b32 vcc_lo, exec_lo, s14
	s_cbranch_vccnz .LBB287_25
; %bb.6:
	v_cmp_lt_i64_e64 s2, s[4:5], 1
	s_delay_alu instid0(VALU_DEP_1)
	s_and_b32 vcc_lo, exec_lo, s2
	s_cbranch_vccnz .LBB287_25
; %bb.7:
	s_load_b32 s0, s[0:1], 0xc5c
	v_cmp_gt_u64_e64 s1, 0x10000, s[4:5]
	v_dual_mov_b32 v2, 0 :: v_dual_lshlrev_b32 v1, 1, v0
	v_lshlrev_b32_e32 v3, 3, v0
                                        ; implicit-def: $vgpr11_vgpr12
	s_delay_alu instid0(VALU_DEP_2)
	v_mov_b32_e32 v4, v2
	s_waitcnt lgkmcnt(0)
	s_and_b32 s0, s0, 0xffff
	s_and_b32 s1, s1, exec_lo
	s_cselect_b32 s3, s5, 0
	s_cselect_b32 s2, s4, 0x10000
	s_lshl_b64 s[8:9], s[8:9], 17
	s_lshl_b32 s10, s0, 1
	s_lshl_b32 s1, s0, 2
	s_mul_i32 s11, s0, 3
	s_add_u32 s6, s6, s8
	v_mad_u64_u32 v[5:6], null, s0, 24, v[3:4]
	v_add_co_u32 v4, s8, s11, v0
	s_addc_u32 s7, s7, s9
	v_add_co_u32 v7, s11, s6, v1
	s_delay_alu instid0(VALU_DEP_1) | instskip(SKIP_3) | instid1(VALU_DEP_2)
	v_add_co_ci_u32_e64 v8, null, s7, 0, s11
	v_add_co_u32 v22, s11, v0, s0
	s_lshl_b32 s9, s0, 4
	v_add_co_ci_u32_e64 v21, null, 0, 0, s8
	v_lshlrev_b32_e32 v1, 1, v22
	v_add_co_u32 v23, s9, s9, v3
	s_delay_alu instid0(VALU_DEP_1) | instskip(SKIP_1) | instid1(VALU_DEP_4)
	v_add_co_ci_u32_e64 v24, null, 0, 0, s9
	v_add_co_u32 v26, s9, s10, v0
	v_add_co_u32 v9, s6, s6, v1
	v_add_co_ci_u32_e64 v25, null, 0, 0, s11
	v_add_co_ci_u32_e64 v27, null, 0, 0, s9
	;; [unrolled: 1-line block ×3, first 2 shown]
	v_lshlrev_b32_e32 v28, 3, v22
	s_lshl_b32 s8, s0, 3
	s_lshl_b32 s9, s0, 5
	s_mul_i32 s10, s0, 6
	s_mov_b64 s[6:7], 0
	s_branch .LBB287_9
.LBB287_8:                              ;   in Loop: Header=BB287_9 Depth=1
	s_or_b32 exec_lo, exec_lo, s0
	s_add_u32 s6, s6, s1
	s_addc_u32 s7, s7, 0
	v_add_co_u32 v7, vcc_lo, v7, s8
	v_cmp_ge_i64_e64 s0, s[6:7], s[4:5]
	v_cmp_lt_u64_e64 s11, 0xffff, s[6:7]
	v_add_co_ci_u32_e32 v8, vcc_lo, 0, v8, vcc_lo
	v_add_co_u32 v9, vcc_lo, v9, s8
	v_add_co_ci_u32_e32 v10, vcc_lo, 0, v10, vcc_lo
	s_delay_alu instid0(VALU_DEP_4)
	s_or_b32 s0, s0, s11
	s_add_u32 s12, s12, s9
	s_addc_u32 s13, s13, 0
	s_and_b32 vcc_lo, exec_lo, s0
	s_cbranch_vccnz .LBB287_25
.LBB287_9:                              ; =>This Inner Loop Header: Depth=1
	v_add_co_u32 v13, s0, v0, s6
	s_delay_alu instid0(VALU_DEP_1) | instskip(NEXT) | instid1(VALU_DEP_1)
	v_add_co_ci_u32_e64 v14, null, 0, s7, s0
	v_cmp_gt_i64_e32 vcc_lo, s[4:5], v[13:14]
	v_cmp_gt_u64_e64 s0, 0x10000, v[13:14]
	s_delay_alu instid0(VALU_DEP_1) | instskip(NEXT) | instid1(SALU_CYCLE_1)
	s_and_b32 s11, vcc_lo, s0
	s_and_saveexec_b32 s0, s11
	s_cbranch_execz .LBB287_11
; %bb.10:                               ;   in Loop: Header=BB287_9 Depth=1
	global_load_d16_b16 v11, v[7:8], off
.LBB287_11:                             ;   in Loop: Header=BB287_9 Depth=1
	s_or_b32 exec_lo, exec_lo, s0
	v_add_co_u32 v15, vcc_lo, v22, s6
	v_add_co_ci_u32_e32 v16, vcc_lo, s7, v25, vcc_lo
	s_delay_alu instid0(VALU_DEP_1) | instskip(SKIP_1) | instid1(VALU_DEP_1)
	v_cmp_gt_i64_e32 vcc_lo, s[4:5], v[15:16]
	v_cmp_gt_u64_e64 s0, 0x10000, v[15:16]
	s_and_b32 s11, vcc_lo, s0
	s_delay_alu instid0(SALU_CYCLE_1)
	s_and_saveexec_b32 s0, s11
	s_cbranch_execz .LBB287_13
; %bb.12:                               ;   in Loop: Header=BB287_9 Depth=1
	global_load_d16_hi_b16 v11, v[9:10], off
.LBB287_13:                             ;   in Loop: Header=BB287_9 Depth=1
	s_or_b32 exec_lo, exec_lo, s0
	v_add_co_u32 v17, vcc_lo, v26, s6
	v_add_co_ci_u32_e32 v18, vcc_lo, s7, v27, vcc_lo
	s_delay_alu instid0(VALU_DEP_1) | instskip(SKIP_1) | instid1(VALU_DEP_1)
	v_cmp_gt_i64_e32 vcc_lo, s[4:5], v[17:18]
	v_cmp_gt_u64_e64 s0, 0x10000, v[17:18]
	s_and_b32 s11, vcc_lo, s0
	s_delay_alu instid0(SALU_CYCLE_1)
	s_and_saveexec_b32 s0, s11
	s_cbranch_execz .LBB287_15
; %bb.14:                               ;   in Loop: Header=BB287_9 Depth=1
	v_add_co_u32 v19, vcc_lo, v7, s1
	v_add_co_ci_u32_e32 v20, vcc_lo, 0, v8, vcc_lo
	global_load_d16_b16 v12, v[19:20], off
.LBB287_15:                             ;   in Loop: Header=BB287_9 Depth=1
	s_or_b32 exec_lo, exec_lo, s0
	v_add_co_u32 v19, vcc_lo, v4, s6
	v_add_co_ci_u32_e32 v20, vcc_lo, s7, v21, vcc_lo
	s_delay_alu instid0(VALU_DEP_1) | instskip(SKIP_1) | instid1(VALU_DEP_1)
	v_cmp_gt_i64_e32 vcc_lo, s[4:5], v[19:20]
	v_cmp_gt_u64_e64 s0, 0x10000, v[19:20]
	s_and_b32 s11, vcc_lo, s0
	s_delay_alu instid0(SALU_CYCLE_1)
	s_and_saveexec_b32 s0, s11
	s_cbranch_execnz .LBB287_20
; %bb.16:                               ;   in Loop: Header=BB287_9 Depth=1
	s_or_b32 exec_lo, exec_lo, s0
	s_delay_alu instid0(SALU_CYCLE_1)
	s_mov_b32 s0, exec_lo
	v_cmpx_gt_u64_e64 s[2:3], v[13:14]
	s_cbranch_execnz .LBB287_21
.LBB287_17:                             ;   in Loop: Header=BB287_9 Depth=1
	s_or_b32 exec_lo, exec_lo, s0
	s_delay_alu instid0(SALU_CYCLE_1)
	s_mov_b32 s0, exec_lo
	v_cmpx_gt_u64_e64 s[2:3], v[15:16]
	s_cbranch_execnz .LBB287_22
.LBB287_18:                             ;   in Loop: Header=BB287_9 Depth=1
	s_or_b32 exec_lo, exec_lo, s0
	s_delay_alu instid0(SALU_CYCLE_1)
	s_mov_b32 s0, exec_lo
	v_cmpx_gt_u64_e64 s[2:3], v[17:18]
	s_cbranch_execnz .LBB287_23
.LBB287_19:                             ;   in Loop: Header=BB287_9 Depth=1
	s_or_b32 exec_lo, exec_lo, s0
	s_delay_alu instid0(SALU_CYCLE_1)
	s_mov_b32 s0, exec_lo
	v_cmpx_gt_u64_e64 s[2:3], v[19:20]
	s_cbranch_execz .LBB287_8
	s_branch .LBB287_24
.LBB287_20:                             ;   in Loop: Header=BB287_9 Depth=1
	v_add_co_u32 v29, vcc_lo, v7, s10
	v_add_co_ci_u32_e32 v30, vcc_lo, 0, v8, vcc_lo
	global_load_d16_hi_b16 v12, v[29:30], off
	s_or_b32 exec_lo, exec_lo, s0
	s_delay_alu instid0(SALU_CYCLE_1)
	s_mov_b32 s0, exec_lo
	v_cmpx_gt_u64_e64 s[2:3], v[13:14]
	s_cbranch_execz .LBB287_17
.LBB287_21:                             ;   in Loop: Header=BB287_9 Depth=1
	s_waitcnt vmcnt(0)
	v_bfe_i32 v1, v11, 0, 16
	v_add_co_u32 v13, s11, s12, v3
	s_delay_alu instid0(VALU_DEP_1) | instskip(NEXT) | instid1(VALU_DEP_3)
	v_add_co_ci_u32_e64 v14, null, s13, 0, s11
	v_cvt_f32_i32_e32 v1, v1
	global_store_b64 v[13:14], v[1:2], off
	s_or_b32 exec_lo, exec_lo, s0
	s_delay_alu instid0(SALU_CYCLE_1)
	s_mov_b32 s0, exec_lo
	v_cmpx_gt_u64_e64 s[2:3], v[15:16]
	s_cbranch_execz .LBB287_18
.LBB287_22:                             ;   in Loop: Header=BB287_9 Depth=1
	s_waitcnt vmcnt(0)
	v_ashrrev_i32_e32 v1, 16, v11
	v_add_co_u32 v13, s11, s12, v28
	s_delay_alu instid0(VALU_DEP_1) | instskip(NEXT) | instid1(VALU_DEP_3)
	v_add_co_ci_u32_e64 v14, null, s13, 0, s11
	v_cvt_f32_i32_e32 v1, v1
	global_store_b64 v[13:14], v[1:2], off
	s_or_b32 exec_lo, exec_lo, s0
	s_delay_alu instid0(SALU_CYCLE_1)
	s_mov_b32 s0, exec_lo
	v_cmpx_gt_u64_e64 s[2:3], v[17:18]
	s_cbranch_execz .LBB287_19
.LBB287_23:                             ;   in Loop: Header=BB287_9 Depth=1
	s_waitcnt vmcnt(0)
	v_bfe_i32 v1, v12, 0, 16
	v_add_co_u32 v13, vcc_lo, s12, v23
	v_add_co_ci_u32_e32 v14, vcc_lo, s13, v24, vcc_lo
	s_delay_alu instid0(VALU_DEP_3) | instskip(SKIP_2) | instid1(SALU_CYCLE_1)
	v_cvt_f32_i32_e32 v1, v1
	global_store_b64 v[13:14], v[1:2], off
	s_or_b32 exec_lo, exec_lo, s0
	s_mov_b32 s0, exec_lo
	v_cmpx_gt_u64_e64 s[2:3], v[19:20]
	s_cbranch_execz .LBB287_8
.LBB287_24:                             ;   in Loop: Header=BB287_9 Depth=1
	s_waitcnt vmcnt(0)
	v_ashrrev_i32_e32 v1, 16, v12
	v_add_co_u32 v13, vcc_lo, s12, v5
	v_add_co_ci_u32_e32 v14, vcc_lo, s13, v6, vcc_lo
	s_delay_alu instid0(VALU_DEP_3)
	v_cvt_f32_i32_e32 v1, v1
	global_store_b64 v[13:14], v[1:2], off
	s_branch .LBB287_8
.LBB287_25:
	s_nop 0
	s_sendmsg sendmsg(MSG_DEALLOC_VGPRS)
	s_endpgm
	.section	.rodata,"a",@progbits
	.p2align	6, 0x0
	.amdhsa_kernel _ZN2at6native12_GLOBAL__N_125multi_tensor_apply_kernelINS1_18TensorListMetadataILi2EEENS1_11CopyFunctorIN3c107complexIfEEsLi2ELi1ELi1EEEJNS0_4CopyIS8_sEEEEEvT_T0_DpT1_
		.amdhsa_group_segment_fixed_size 0
		.amdhsa_private_segment_fixed_size 0
		.amdhsa_kernarg_size 3408
		.amdhsa_user_sgpr_count 15
		.amdhsa_user_sgpr_dispatch_ptr 0
		.amdhsa_user_sgpr_queue_ptr 0
		.amdhsa_user_sgpr_kernarg_segment_ptr 1
		.amdhsa_user_sgpr_dispatch_id 0
		.amdhsa_user_sgpr_private_segment_size 0
		.amdhsa_wavefront_size32 1
		.amdhsa_uses_dynamic_stack 0
		.amdhsa_enable_private_segment 0
		.amdhsa_system_sgpr_workgroup_id_x 1
		.amdhsa_system_sgpr_workgroup_id_y 0
		.amdhsa_system_sgpr_workgroup_id_z 0
		.amdhsa_system_sgpr_workgroup_info 0
		.amdhsa_system_vgpr_workitem_id 0
		.amdhsa_next_free_vgpr 31
		.amdhsa_next_free_sgpr 21
		.amdhsa_reserve_vcc 1
		.amdhsa_float_round_mode_32 0
		.amdhsa_float_round_mode_16_64 0
		.amdhsa_float_denorm_mode_32 3
		.amdhsa_float_denorm_mode_16_64 3
		.amdhsa_dx10_clamp 1
		.amdhsa_ieee_mode 1
		.amdhsa_fp16_overflow 0
		.amdhsa_workgroup_processor_mode 1
		.amdhsa_memory_ordered 1
		.amdhsa_forward_progress 0
		.amdhsa_shared_vgpr_count 0
		.amdhsa_exception_fp_ieee_invalid_op 0
		.amdhsa_exception_fp_denorm_src 0
		.amdhsa_exception_fp_ieee_div_zero 0
		.amdhsa_exception_fp_ieee_overflow 0
		.amdhsa_exception_fp_ieee_underflow 0
		.amdhsa_exception_fp_ieee_inexact 0
		.amdhsa_exception_int_div_zero 0
	.end_amdhsa_kernel
	.section	.text._ZN2at6native12_GLOBAL__N_125multi_tensor_apply_kernelINS1_18TensorListMetadataILi2EEENS1_11CopyFunctorIN3c107complexIfEEsLi2ELi1ELi1EEEJNS0_4CopyIS8_sEEEEEvT_T0_DpT1_,"axG",@progbits,_ZN2at6native12_GLOBAL__N_125multi_tensor_apply_kernelINS1_18TensorListMetadataILi2EEENS1_11CopyFunctorIN3c107complexIfEEsLi2ELi1ELi1EEEJNS0_4CopyIS8_sEEEEEvT_T0_DpT1_,comdat
.Lfunc_end287:
	.size	_ZN2at6native12_GLOBAL__N_125multi_tensor_apply_kernelINS1_18TensorListMetadataILi2EEENS1_11CopyFunctorIN3c107complexIfEEsLi2ELi1ELi1EEEJNS0_4CopyIS8_sEEEEEvT_T0_DpT1_, .Lfunc_end287-_ZN2at6native12_GLOBAL__N_125multi_tensor_apply_kernelINS1_18TensorListMetadataILi2EEENS1_11CopyFunctorIN3c107complexIfEEsLi2ELi1ELi1EEEJNS0_4CopyIS8_sEEEEEvT_T0_DpT1_
                                        ; -- End function
	.section	.AMDGPU.csdata,"",@progbits
; Kernel info:
; codeLenInByte = 1484
; NumSgprs: 23
; NumVgprs: 31
; ScratchSize: 0
; MemoryBound: 0
; FloatMode: 240
; IeeeMode: 1
; LDSByteSize: 0 bytes/workgroup (compile time only)
; SGPRBlocks: 2
; VGPRBlocks: 3
; NumSGPRsForWavesPerEU: 23
; NumVGPRsForWavesPerEU: 31
; Occupancy: 16
; WaveLimiterHint : 0
; COMPUTE_PGM_RSRC2:SCRATCH_EN: 0
; COMPUTE_PGM_RSRC2:USER_SGPR: 15
; COMPUTE_PGM_RSRC2:TRAP_HANDLER: 0
; COMPUTE_PGM_RSRC2:TGID_X_EN: 1
; COMPUTE_PGM_RSRC2:TGID_Y_EN: 0
; COMPUTE_PGM_RSRC2:TGID_Z_EN: 0
; COMPUTE_PGM_RSRC2:TIDIG_COMP_CNT: 0
	.section	.text._ZN2at6native12_GLOBAL__N_125multi_tensor_apply_kernelINS1_18TensorListMetadataILi2EEENS1_11CopyFunctorIN3c107complexIfEEiLi2ELi1ELi1EEEJNS0_4CopyIS8_iEEEEEvT_T0_DpT1_,"axG",@progbits,_ZN2at6native12_GLOBAL__N_125multi_tensor_apply_kernelINS1_18TensorListMetadataILi2EEENS1_11CopyFunctorIN3c107complexIfEEiLi2ELi1ELi1EEEJNS0_4CopyIS8_iEEEEEvT_T0_DpT1_,comdat
	.globl	_ZN2at6native12_GLOBAL__N_125multi_tensor_apply_kernelINS1_18TensorListMetadataILi2EEENS1_11CopyFunctorIN3c107complexIfEEiLi2ELi1ELi1EEEJNS0_4CopyIS8_iEEEEEvT_T0_DpT1_ ; -- Begin function _ZN2at6native12_GLOBAL__N_125multi_tensor_apply_kernelINS1_18TensorListMetadataILi2EEENS1_11CopyFunctorIN3c107complexIfEEiLi2ELi1ELi1EEEJNS0_4CopyIS8_iEEEEEvT_T0_DpT1_
	.p2align	8
	.type	_ZN2at6native12_GLOBAL__N_125multi_tensor_apply_kernelINS1_18TensorListMetadataILi2EEENS1_11CopyFunctorIN3c107complexIfEEiLi2ELi1ELi1EEEJNS0_4CopyIS8_iEEEEEvT_T0_DpT1_,@function
_ZN2at6native12_GLOBAL__N_125multi_tensor_apply_kernelINS1_18TensorListMetadataILi2EEENS1_11CopyFunctorIN3c107complexIfEEiLi2ELi1ELi1EEEJNS0_4CopyIS8_iEEEEEvT_T0_DpT1_: ; @_ZN2at6native12_GLOBAL__N_125multi_tensor_apply_kernelINS1_18TensorListMetadataILi2EEENS1_11CopyFunctorIN3c107complexIfEEiLi2ELi1ELi1EEEJNS0_4CopyIS8_iEEEEEvT_T0_DpT1_
; %bb.0:
	v_mov_b32_e32 v1, s15
	s_add_u32 s2, s0, s15
	s_mul_hi_u32 s3, s15, 3
	s_mul_i32 s15, s15, 3
	s_addc_u32 s4, s1, 0
	global_load_u8 v1, v1, s[0:1] offset:1536
	s_add_u32 s2, s2, s15
	s_addc_u32 s3, s4, s3
	s_mov_b32 s15, 0
	s_load_b32 s8, s[2:3], 0x740
	s_mov_b32 s19, s15
	s_waitcnt lgkmcnt(0)
	s_ashr_i32 s9, s8, 31
	s_delay_alu instid0(SALU_CYCLE_1) | instskip(SKIP_3) | instid1(VALU_DEP_1)
	s_lshl_b64 s[10:11], s[8:9], 19
	s_lshl_b64 s[16:17], s[8:9], 16
	s_waitcnt vmcnt(0)
	v_readfirstlane_b32 s5, v1
	s_lshl_b32 s6, s5, 3
	s_clause 0x2
	s_load_b64 s[2:3], s[0:1], s6 offset:0x200
	s_load_b64 s[4:5], s[0:1], s6 offset:0x400
	;; [unrolled: 1-line block ×3, first 2 shown]
	s_waitcnt lgkmcnt(0)
	s_add_u32 s12, s2, s10
	s_addc_u32 s13, s3, s11
	s_and_b32 s18, s4, 3
	s_and_b32 s14, s12, 31
	;; [unrolled: 1-line block ×3, first 2 shown]
	s_or_b64 s[14:15], s[14:15], s[18:19]
	s_delay_alu instid0(SALU_CYCLE_1)
	s_or_b32 s14, s14, s20
	s_sub_u32 s4, s4, s16
	s_subb_u32 s5, s5, s17
	s_cmp_eq_u64 s[14:15], 0
	s_mov_b32 s14, -1
	s_cbranch_scc0 .LBB288_5
; %bb.1:
	v_dual_mov_b32 v2, 0 :: v_dual_lshlrev_b32 v1, 2, v0
	s_mov_b32 s14, exec_lo
	s_delay_alu instid0(VALU_DEP_1)
	v_cmpx_gt_i64_e64 s[4:5], v[1:2]
	s_cbranch_execz .LBB288_4
; %bb.2:
	s_load_b32 s15, s[0:1], 0xc5c
	s_lshl_b64 s[16:17], s[8:9], 18
	s_waitcnt lgkmcnt(0)
	s_and_b32 s18, s15, 0xffff
	s_delay_alu instid0(SALU_CYCLE_1)
	v_add_lshl_u32 v1, v0, s18, 2
	v_dual_mov_b32 v10, v2 :: v_dual_lshlrev_b32 v3, 4, v0
	s_lshl_b32 s15, s18, 2
	s_add_u32 s19, s6, s16
	s_addc_u32 s17, s7, s17
	s_lshl_b32 s16, s18, 4
	v_dual_mov_b32 v9, v1 :: v_dual_lshlrev_b32 v4, 5, v0
	s_add_u32 s2, s2, s10
	v_add_co_u32 v3, s10, s19, v3
	s_delay_alu instid0(VALU_DEP_1) | instskip(SKIP_2) | instid1(VALU_DEP_3)
	v_add_co_ci_u32_e64 v8, null, s17, 0, s10
	s_addc_u32 s3, s3, s11
	v_add_co_u32 v5, s2, s2, v4
	v_add_co_u32 v7, vcc_lo, v3, 8
	v_add_co_ci_u32_e64 v6, null, s3, 0, s2
	v_add_co_ci_u32_e32 v8, vcc_lo, 0, v8, vcc_lo
	s_mov_b32 s10, 0
	s_lshl_b32 s11, s18, 5
	s_set_inst_prefetch_distance 0x1
	.p2align	6
.LBB288_3:                              ; =>This Inner Loop Header: Depth=1
	global_load_b128 v[11:14], v[7:8], off offset:-8
	v_cmp_le_i64_e32 vcc_lo, s[4:5], v[9:10]
	v_cmp_lt_u64_e64 s2, 0xffff, v[9:10]
	v_mov_b32_e32 v4, v2
	v_mov_b32_e32 v16, v2
	;; [unrolled: 1-line block ×3, first 2 shown]
	v_add_co_u32 v9, s3, v9, s15
	s_delay_alu instid0(VALU_DEP_1) | instskip(SKIP_4) | instid1(SALU_CYCLE_1)
	v_add_co_ci_u32_e64 v10, s3, 0, v10, s3
	v_add_co_u32 v7, s3, v7, s16
	s_or_b32 s2, vcc_lo, s2
	v_add_co_ci_u32_e64 v8, s3, 0, v8, s3
	s_and_b32 s2, exec_lo, s2
	s_or_b32 s10, s2, s10
	s_waitcnt vmcnt(0)
	v_cvt_f32_i32_e32 v1, v11
	v_cvt_f32_i32_e32 v3, v12
	;; [unrolled: 1-line block ×4, first 2 shown]
	s_clause 0x1
	global_store_b128 v[5:6], v[1:4], off
	global_store_b128 v[5:6], v[15:18], off offset:16
	v_add_co_u32 v5, vcc_lo, v5, s11
	v_add_co_ci_u32_e32 v6, vcc_lo, 0, v6, vcc_lo
	s_and_not1_b32 exec_lo, exec_lo, s10
	s_cbranch_execnz .LBB288_3
.LBB288_4:
	s_set_inst_prefetch_distance 0x2
	s_or_b32 exec_lo, exec_lo, s14
	s_mov_b32 s14, 0
.LBB288_5:
	s_delay_alu instid0(SALU_CYCLE_1)
	s_and_not1_b32 vcc_lo, exec_lo, s14
	s_cbranch_vccnz .LBB288_25
; %bb.6:
	v_cmp_lt_i64_e64 s2, s[4:5], 1
	s_delay_alu instid0(VALU_DEP_1)
	s_and_b32 vcc_lo, exec_lo, s2
	s_cbranch_vccnz .LBB288_25
; %bb.7:
	s_load_b32 s0, s[0:1], 0xc5c
	v_cmp_gt_u64_e64 s1, 0x10000, s[4:5]
	v_dual_mov_b32 v2, 0 :: v_dual_lshlrev_b32 v1, 2, v0
	v_lshlrev_b32_e32 v3, 3, v0
                                        ; implicit-def: $vgpr29
                                        ; implicit-def: $vgpr30
                                        ; implicit-def: $vgpr27
                                        ; implicit-def: $vgpr28
	s_delay_alu instid0(VALU_DEP_2)
	v_mov_b32_e32 v4, v2
	s_waitcnt lgkmcnt(0)
	s_and_b32 s0, s0, 0xffff
	s_and_b32 s1, s1, exec_lo
	s_cselect_b32 s3, s5, 0
	s_cselect_b32 s2, s4, 0x10000
	s_lshl_b64 s[8:9], s[8:9], 18
	s_lshl_b32 s10, s0, 1
	s_lshl_b32 s1, s0, 2
	s_mul_i32 s11, s0, 3
	s_add_u32 s6, s6, s8
	v_mad_u64_u32 v[5:6], null, s0, 24, v[3:4]
	v_add_co_u32 v4, s8, s11, v0
	s_addc_u32 s7, s7, s9
	v_add_co_u32 v7, s11, s6, v1
	s_delay_alu instid0(VALU_DEP_1) | instskip(SKIP_3) | instid1(VALU_DEP_2)
	v_add_co_ci_u32_e64 v8, null, s7, 0, s11
	v_add_co_u32 v20, s11, v0, s0
	v_add_co_ci_u32_e64 v19, null, 0, 0, s8
	s_lshl_b32 s8, s0, 4
	v_lshlrev_b32_e32 v1, 2, v20
	v_add_co_u32 v21, s14, s8, v3
	v_add_co_u32 v24, s10, s10, v0
	s_delay_alu instid0(VALU_DEP_3)
	v_add_co_u32 v9, s6, s6, v1
	v_add_co_ci_u32_e64 v22, null, 0, 0, s14
	v_add_co_ci_u32_e64 v23, null, 0, 0, s11
	;; [unrolled: 1-line block ×4, first 2 shown]
	v_lshlrev_b32_e32 v26, 3, v20
	s_lshl_b32 s9, s0, 5
	s_mul_i32 s10, s0, 12
	s_lshl_b32 s11, s0, 3
	s_mov_b64 s[6:7], 0
	s_branch .LBB288_9
.LBB288_8:                              ;   in Loop: Header=BB288_9 Depth=1
	s_or_b32 exec_lo, exec_lo, s0
	s_add_u32 s6, s6, s1
	s_addc_u32 s7, s7, 0
	v_add_co_u32 v7, vcc_lo, v7, s8
	v_cmp_ge_i64_e64 s0, s[6:7], s[4:5]
	v_cmp_lt_u64_e64 s14, 0xffff, s[6:7]
	v_add_co_ci_u32_e32 v8, vcc_lo, 0, v8, vcc_lo
	v_add_co_u32 v9, vcc_lo, v9, s8
	v_add_co_ci_u32_e32 v10, vcc_lo, 0, v10, vcc_lo
	s_delay_alu instid0(VALU_DEP_4)
	s_or_b32 s0, s0, s14
	s_add_u32 s12, s12, s9
	s_addc_u32 s13, s13, 0
	s_and_b32 vcc_lo, exec_lo, s0
	s_cbranch_vccnz .LBB288_25
.LBB288_9:                              ; =>This Inner Loop Header: Depth=1
	v_add_co_u32 v11, s0, v0, s6
	s_delay_alu instid0(VALU_DEP_1) | instskip(NEXT) | instid1(VALU_DEP_1)
	v_add_co_ci_u32_e64 v12, null, 0, s7, s0
	v_cmp_gt_i64_e32 vcc_lo, s[4:5], v[11:12]
	v_cmp_gt_u64_e64 s0, 0x10000, v[11:12]
	s_delay_alu instid0(VALU_DEP_1) | instskip(NEXT) | instid1(SALU_CYCLE_1)
	s_and_b32 s14, vcc_lo, s0
	s_and_saveexec_b32 s0, s14
	s_cbranch_execz .LBB288_11
; %bb.10:                               ;   in Loop: Header=BB288_9 Depth=1
	global_load_b32 v28, v[7:8], off
.LBB288_11:                             ;   in Loop: Header=BB288_9 Depth=1
	s_or_b32 exec_lo, exec_lo, s0
	v_add_co_u32 v13, vcc_lo, v20, s6
	v_add_co_ci_u32_e32 v14, vcc_lo, s7, v23, vcc_lo
	s_delay_alu instid0(VALU_DEP_1) | instskip(SKIP_1) | instid1(VALU_DEP_1)
	v_cmp_gt_i64_e32 vcc_lo, s[4:5], v[13:14]
	v_cmp_gt_u64_e64 s0, 0x10000, v[13:14]
	s_and_b32 s14, vcc_lo, s0
	s_delay_alu instid0(SALU_CYCLE_1)
	s_and_saveexec_b32 s0, s14
	s_cbranch_execz .LBB288_13
; %bb.12:                               ;   in Loop: Header=BB288_9 Depth=1
	global_load_b32 v27, v[9:10], off
.LBB288_13:                             ;   in Loop: Header=BB288_9 Depth=1
	s_or_b32 exec_lo, exec_lo, s0
	v_add_co_u32 v15, vcc_lo, v24, s6
	v_add_co_ci_u32_e32 v16, vcc_lo, s7, v25, vcc_lo
	s_delay_alu instid0(VALU_DEP_1) | instskip(SKIP_1) | instid1(VALU_DEP_1)
	v_cmp_gt_i64_e32 vcc_lo, s[4:5], v[15:16]
	v_cmp_gt_u64_e64 s0, 0x10000, v[15:16]
	s_and_b32 s14, vcc_lo, s0
	s_delay_alu instid0(SALU_CYCLE_1)
	s_and_saveexec_b32 s0, s14
	s_cbranch_execz .LBB288_15
; %bb.14:                               ;   in Loop: Header=BB288_9 Depth=1
	v_add_co_u32 v17, vcc_lo, v7, s11
	v_add_co_ci_u32_e32 v18, vcc_lo, 0, v8, vcc_lo
	global_load_b32 v30, v[17:18], off
.LBB288_15:                             ;   in Loop: Header=BB288_9 Depth=1
	s_or_b32 exec_lo, exec_lo, s0
	v_add_co_u32 v17, vcc_lo, v4, s6
	v_add_co_ci_u32_e32 v18, vcc_lo, s7, v19, vcc_lo
	s_delay_alu instid0(VALU_DEP_1) | instskip(SKIP_1) | instid1(VALU_DEP_1)
	v_cmp_gt_i64_e32 vcc_lo, s[4:5], v[17:18]
	v_cmp_gt_u64_e64 s0, 0x10000, v[17:18]
	s_and_b32 s14, vcc_lo, s0
	s_delay_alu instid0(SALU_CYCLE_1)
	s_and_saveexec_b32 s0, s14
	s_cbranch_execnz .LBB288_20
; %bb.16:                               ;   in Loop: Header=BB288_9 Depth=1
	s_or_b32 exec_lo, exec_lo, s0
	s_delay_alu instid0(SALU_CYCLE_1)
	s_mov_b32 s0, exec_lo
	v_cmpx_gt_u64_e64 s[2:3], v[11:12]
	s_cbranch_execnz .LBB288_21
.LBB288_17:                             ;   in Loop: Header=BB288_9 Depth=1
	s_or_b32 exec_lo, exec_lo, s0
	s_delay_alu instid0(SALU_CYCLE_1)
	s_mov_b32 s0, exec_lo
	v_cmpx_gt_u64_e64 s[2:3], v[13:14]
	s_cbranch_execnz .LBB288_22
.LBB288_18:                             ;   in Loop: Header=BB288_9 Depth=1
	s_or_b32 exec_lo, exec_lo, s0
	s_delay_alu instid0(SALU_CYCLE_1)
	s_mov_b32 s0, exec_lo
	v_cmpx_gt_u64_e64 s[2:3], v[15:16]
	s_cbranch_execnz .LBB288_23
.LBB288_19:                             ;   in Loop: Header=BB288_9 Depth=1
	s_or_b32 exec_lo, exec_lo, s0
	s_delay_alu instid0(SALU_CYCLE_1)
	s_mov_b32 s0, exec_lo
	v_cmpx_gt_u64_e64 s[2:3], v[17:18]
	s_cbranch_execz .LBB288_8
	s_branch .LBB288_24
.LBB288_20:                             ;   in Loop: Header=BB288_9 Depth=1
	v_add_co_u32 v31, vcc_lo, v7, s10
	v_add_co_ci_u32_e32 v32, vcc_lo, 0, v8, vcc_lo
	global_load_b32 v29, v[31:32], off
	s_or_b32 exec_lo, exec_lo, s0
	s_delay_alu instid0(SALU_CYCLE_1)
	s_mov_b32 s0, exec_lo
	v_cmpx_gt_u64_e64 s[2:3], v[11:12]
	s_cbranch_execz .LBB288_17
.LBB288_21:                             ;   in Loop: Header=BB288_9 Depth=1
	v_add_co_u32 v11, s14, s12, v3
	s_delay_alu instid0(VALU_DEP_1) | instskip(SKIP_4) | instid1(SALU_CYCLE_1)
	v_add_co_ci_u32_e64 v12, null, s13, 0, s14
	s_waitcnt vmcnt(0)
	v_cvt_f32_i32_e32 v1, v28
	global_store_b64 v[11:12], v[1:2], off
	s_or_b32 exec_lo, exec_lo, s0
	s_mov_b32 s0, exec_lo
	v_cmpx_gt_u64_e64 s[2:3], v[13:14]
	s_cbranch_execz .LBB288_18
.LBB288_22:                             ;   in Loop: Header=BB288_9 Depth=1
	v_add_co_u32 v11, s14, s12, v26
	s_waitcnt vmcnt(0)
	v_cvt_f32_i32_e32 v1, v27
	v_add_co_ci_u32_e64 v12, null, s13, 0, s14
	global_store_b64 v[11:12], v[1:2], off
	s_or_b32 exec_lo, exec_lo, s0
	s_delay_alu instid0(SALU_CYCLE_1)
	s_mov_b32 s0, exec_lo
	v_cmpx_gt_u64_e64 s[2:3], v[15:16]
	s_cbranch_execz .LBB288_19
.LBB288_23:                             ;   in Loop: Header=BB288_9 Depth=1
	v_add_co_u32 v11, vcc_lo, s12, v21
	s_waitcnt vmcnt(0)
	v_cvt_f32_i32_e32 v1, v30
	v_add_co_ci_u32_e32 v12, vcc_lo, s13, v22, vcc_lo
	global_store_b64 v[11:12], v[1:2], off
	s_or_b32 exec_lo, exec_lo, s0
	s_delay_alu instid0(SALU_CYCLE_1)
	s_mov_b32 s0, exec_lo
	v_cmpx_gt_u64_e64 s[2:3], v[17:18]
	s_cbranch_execz .LBB288_8
.LBB288_24:                             ;   in Loop: Header=BB288_9 Depth=1
	v_add_co_u32 v11, vcc_lo, s12, v5
	s_waitcnt vmcnt(0)
	v_cvt_f32_i32_e32 v1, v29
	v_add_co_ci_u32_e32 v12, vcc_lo, s13, v6, vcc_lo
	global_store_b64 v[11:12], v[1:2], off
	s_branch .LBB288_8
.LBB288_25:
	s_nop 0
	s_sendmsg sendmsg(MSG_DEALLOC_VGPRS)
	s_endpgm
	.section	.rodata,"a",@progbits
	.p2align	6, 0x0
	.amdhsa_kernel _ZN2at6native12_GLOBAL__N_125multi_tensor_apply_kernelINS1_18TensorListMetadataILi2EEENS1_11CopyFunctorIN3c107complexIfEEiLi2ELi1ELi1EEEJNS0_4CopyIS8_iEEEEEvT_T0_DpT1_
		.amdhsa_group_segment_fixed_size 0
		.amdhsa_private_segment_fixed_size 0
		.amdhsa_kernarg_size 3408
		.amdhsa_user_sgpr_count 15
		.amdhsa_user_sgpr_dispatch_ptr 0
		.amdhsa_user_sgpr_queue_ptr 0
		.amdhsa_user_sgpr_kernarg_segment_ptr 1
		.amdhsa_user_sgpr_dispatch_id 0
		.amdhsa_user_sgpr_private_segment_size 0
		.amdhsa_wavefront_size32 1
		.amdhsa_uses_dynamic_stack 0
		.amdhsa_enable_private_segment 0
		.amdhsa_system_sgpr_workgroup_id_x 1
		.amdhsa_system_sgpr_workgroup_id_y 0
		.amdhsa_system_sgpr_workgroup_id_z 0
		.amdhsa_system_sgpr_workgroup_info 0
		.amdhsa_system_vgpr_workitem_id 0
		.amdhsa_next_free_vgpr 33
		.amdhsa_next_free_sgpr 21
		.amdhsa_reserve_vcc 1
		.amdhsa_float_round_mode_32 0
		.amdhsa_float_round_mode_16_64 0
		.amdhsa_float_denorm_mode_32 3
		.amdhsa_float_denorm_mode_16_64 3
		.amdhsa_dx10_clamp 1
		.amdhsa_ieee_mode 1
		.amdhsa_fp16_overflow 0
		.amdhsa_workgroup_processor_mode 1
		.amdhsa_memory_ordered 1
		.amdhsa_forward_progress 0
		.amdhsa_shared_vgpr_count 0
		.amdhsa_exception_fp_ieee_invalid_op 0
		.amdhsa_exception_fp_denorm_src 0
		.amdhsa_exception_fp_ieee_div_zero 0
		.amdhsa_exception_fp_ieee_overflow 0
		.amdhsa_exception_fp_ieee_underflow 0
		.amdhsa_exception_fp_ieee_inexact 0
		.amdhsa_exception_int_div_zero 0
	.end_amdhsa_kernel
	.section	.text._ZN2at6native12_GLOBAL__N_125multi_tensor_apply_kernelINS1_18TensorListMetadataILi2EEENS1_11CopyFunctorIN3c107complexIfEEiLi2ELi1ELi1EEEJNS0_4CopyIS8_iEEEEEvT_T0_DpT1_,"axG",@progbits,_ZN2at6native12_GLOBAL__N_125multi_tensor_apply_kernelINS1_18TensorListMetadataILi2EEENS1_11CopyFunctorIN3c107complexIfEEiLi2ELi1ELi1EEEJNS0_4CopyIS8_iEEEEEvT_T0_DpT1_,comdat
.Lfunc_end288:
	.size	_ZN2at6native12_GLOBAL__N_125multi_tensor_apply_kernelINS1_18TensorListMetadataILi2EEENS1_11CopyFunctorIN3c107complexIfEEiLi2ELi1ELi1EEEJNS0_4CopyIS8_iEEEEEvT_T0_DpT1_, .Lfunc_end288-_ZN2at6native12_GLOBAL__N_125multi_tensor_apply_kernelINS1_18TensorListMetadataILi2EEENS1_11CopyFunctorIN3c107complexIfEEiLi2ELi1ELi1EEEJNS0_4CopyIS8_iEEEEEvT_T0_DpT1_
                                        ; -- End function
	.section	.AMDGPU.csdata,"",@progbits
; Kernel info:
; codeLenInByte = 1432
; NumSgprs: 23
; NumVgprs: 33
; ScratchSize: 0
; MemoryBound: 0
; FloatMode: 240
; IeeeMode: 1
; LDSByteSize: 0 bytes/workgroup (compile time only)
; SGPRBlocks: 2
; VGPRBlocks: 4
; NumSGPRsForWavesPerEU: 23
; NumVGPRsForWavesPerEU: 33
; Occupancy: 16
; WaveLimiterHint : 0
; COMPUTE_PGM_RSRC2:SCRATCH_EN: 0
; COMPUTE_PGM_RSRC2:USER_SGPR: 15
; COMPUTE_PGM_RSRC2:TRAP_HANDLER: 0
; COMPUTE_PGM_RSRC2:TGID_X_EN: 1
; COMPUTE_PGM_RSRC2:TGID_Y_EN: 0
; COMPUTE_PGM_RSRC2:TGID_Z_EN: 0
; COMPUTE_PGM_RSRC2:TIDIG_COMP_CNT: 0
	.section	.text._ZN2at6native12_GLOBAL__N_125multi_tensor_apply_kernelINS1_18TensorListMetadataILi2EEENS1_11CopyFunctorIN3c107complexIfEEdLi2ELi1ELi1EEEJNS0_4CopyIS8_dEEEEEvT_T0_DpT1_,"axG",@progbits,_ZN2at6native12_GLOBAL__N_125multi_tensor_apply_kernelINS1_18TensorListMetadataILi2EEENS1_11CopyFunctorIN3c107complexIfEEdLi2ELi1ELi1EEEJNS0_4CopyIS8_dEEEEEvT_T0_DpT1_,comdat
	.globl	_ZN2at6native12_GLOBAL__N_125multi_tensor_apply_kernelINS1_18TensorListMetadataILi2EEENS1_11CopyFunctorIN3c107complexIfEEdLi2ELi1ELi1EEEJNS0_4CopyIS8_dEEEEEvT_T0_DpT1_ ; -- Begin function _ZN2at6native12_GLOBAL__N_125multi_tensor_apply_kernelINS1_18TensorListMetadataILi2EEENS1_11CopyFunctorIN3c107complexIfEEdLi2ELi1ELi1EEEJNS0_4CopyIS8_dEEEEEvT_T0_DpT1_
	.p2align	8
	.type	_ZN2at6native12_GLOBAL__N_125multi_tensor_apply_kernelINS1_18TensorListMetadataILi2EEENS1_11CopyFunctorIN3c107complexIfEEdLi2ELi1ELi1EEEJNS0_4CopyIS8_dEEEEEvT_T0_DpT1_,@function
_ZN2at6native12_GLOBAL__N_125multi_tensor_apply_kernelINS1_18TensorListMetadataILi2EEENS1_11CopyFunctorIN3c107complexIfEEdLi2ELi1ELi1EEEJNS0_4CopyIS8_dEEEEEvT_T0_DpT1_: ; @_ZN2at6native12_GLOBAL__N_125multi_tensor_apply_kernelINS1_18TensorListMetadataILi2EEENS1_11CopyFunctorIN3c107complexIfEEdLi2ELi1ELi1EEEJNS0_4CopyIS8_dEEEEEvT_T0_DpT1_
; %bb.0:
	v_mov_b32_e32 v1, s15
	s_add_u32 s2, s0, s15
	s_mul_hi_u32 s3, s15, 3
	s_mul_i32 s15, s15, 3
	s_addc_u32 s4, s1, 0
	global_load_u8 v1, v1, s[0:1] offset:1536
	s_add_u32 s2, s2, s15
	s_addc_u32 s3, s4, s3
	s_mov_b32 s17, 0
	s_load_b32 s2, s[2:3], 0x740
	s_mov_b32 s19, s17
	s_mov_b32 s21, s17
	s_waitcnt vmcnt(0)
	v_readfirstlane_b32 s5, v1
	s_delay_alu instid0(VALU_DEP_1)
	s_lshl_b32 s3, s5, 3
	s_clause 0x2
	s_load_b64 s[10:11], s[0:1], s3 offset:0x0
	s_load_b64 s[12:13], s[0:1], s3 offset:0x200
	s_load_b64 s[6:7], s[0:1], s3 offset:0x400
	s_waitcnt lgkmcnt(0)
	s_ashr_i32 s3, s2, 31
	s_delay_alu instid0(SALU_CYCLE_1)
	s_lshl_b64 s[4:5], s[2:3], 19
	s_lshl_b64 s[2:3], s[2:3], 16
	s_add_u32 s8, s10, s4
	s_addc_u32 s9, s11, s5
	s_add_u32 s14, s12, s4
	s_addc_u32 s15, s13, s5
	s_and_b32 s20, s6, 3
	s_and_b32 s18, s14, 31
	;; [unrolled: 1-line block ×3, first 2 shown]
	s_or_b64 s[18:19], s[18:19], s[20:21]
	s_delay_alu instid0(SALU_CYCLE_1)
	s_or_b64 s[16:17], s[16:17], s[18:19]
	s_sub_u32 s6, s6, s2
	s_subb_u32 s7, s7, s3
	s_cmp_eq_u64 s[16:17], 0
	s_mov_b32 s2, -1
	s_cbranch_scc0 .LBB289_5
; %bb.1:
	v_dual_mov_b32 v2, 0 :: v_dual_lshlrev_b32 v1, 2, v0
	s_mov_b32 s16, exec_lo
	s_delay_alu instid0(VALU_DEP_1)
	v_cmpx_gt_i64_e64 s[6:7], v[1:2]
	s_cbranch_execz .LBB289_4
; %bb.2:
	s_load_b32 s2, s[0:1], 0xc5c
	s_mov_b32 s17, 0
	s_waitcnt lgkmcnt(0)
	s_and_b32 s2, s2, 0xffff
	s_delay_alu instid0(SALU_CYCLE_1) | instskip(SKIP_3) | instid1(VALU_DEP_2)
	v_add_lshl_u32 v1, v0, s2, 2
	v_dual_mov_b32 v6, v2 :: v_dual_lshlrev_b32 v7, 5, v0
	s_lshl_b32 s18, s2, 2
	s_lshl_b32 s19, s2, 5
	v_mov_b32_e32 v5, v1
	s_set_inst_prefetch_distance 0x1
	.p2align	6
.LBB289_3:                              ; =>This Inner Loop Header: Depth=1
	v_add_co_u32 v3, s2, s8, v7
	s_delay_alu instid0(VALU_DEP_1) | instskip(NEXT) | instid1(VALU_DEP_3)
	v_add_co_ci_u32_e64 v4, null, s9, 0, s2
	v_cmp_le_i64_e32 vcc_lo, s[6:7], v[5:6]
	s_clause 0x1
	global_load_b128 v[8:11], v[3:4], off
	global_load_b128 v[12:15], v[3:4], off offset:16
	v_mov_b32_e32 v4, v2
	s_waitcnt vmcnt(1)
	v_cvt_f32_f64_e32 v1, v[8:9]
	v_cvt_f32_f64_e32 v3, v[10:11]
	s_waitcnt vmcnt(0)
	v_cvt_f32_f64_e32 v8, v[12:13]
	v_cvt_f32_f64_e32 v10, v[14:15]
	v_add_co_u32 v12, s2, s14, v7
	s_delay_alu instid0(VALU_DEP_1) | instskip(SKIP_2) | instid1(VALU_DEP_1)
	v_add_co_ci_u32_e64 v13, null, s15, 0, s2
	v_cmp_lt_u64_e64 s2, 0xffff, v[5:6]
	v_add_co_u32 v5, s3, v5, s18
	v_add_co_ci_u32_e64 v6, s3, 0, v6, s3
	v_mov_b32_e32 v9, v2
	s_delay_alu instid0(VALU_DEP_4)
	s_or_b32 s2, vcc_lo, s2
	s_add_u32 s8, s8, s19
	s_addc_u32 s9, s9, 0
	s_add_u32 s14, s14, s19
	s_addc_u32 s15, s15, 0
	v_mov_b32_e32 v11, v2
	s_and_b32 s2, exec_lo, s2
	s_clause 0x1
	global_store_b128 v[12:13], v[1:4], off
	global_store_b128 v[12:13], v[8:11], off offset:16
	s_or_b32 s17, s2, s17
	s_delay_alu instid0(SALU_CYCLE_1)
	s_and_not1_b32 exec_lo, exec_lo, s17
	s_cbranch_execnz .LBB289_3
.LBB289_4:
	s_set_inst_prefetch_distance 0x2
	s_or_b32 exec_lo, exec_lo, s16
	s_mov_b32 s2, 0
.LBB289_5:
	s_delay_alu instid0(SALU_CYCLE_1)
	s_and_not1_b32 vcc_lo, exec_lo, s2
	s_cbranch_vccnz .LBB289_25
; %bb.6:
	v_cmp_lt_i64_e64 s2, s[6:7], 1
	s_delay_alu instid0(VALU_DEP_1)
	s_and_b32 vcc_lo, exec_lo, s2
	s_cbranch_vccnz .LBB289_25
; %bb.7:
	s_load_b32 s0, s[0:1], 0xc5c
	v_dual_mov_b32 v1, 0 :: v_dual_lshlrev_b32 v2, 3, v0
	v_cmp_gt_u64_e64 s2, 0x10000, s[6:7]
	s_mov_b32 s3, 0
                                        ; implicit-def: $vgpr6_vgpr7
                                        ; implicit-def: $vgpr8_vgpr9
                                        ; implicit-def: $vgpr10_vgpr11
	s_delay_alu instid0(VALU_DEP_2) | instskip(NEXT) | instid1(VALU_DEP_3)
	v_mov_b32_e32 v3, v1
	v_add_co_u32 v18, s1, s10, v2
	s_delay_alu instid0(VALU_DEP_1) | instskip(SKIP_1) | instid1(VALU_DEP_1)
	v_add_co_ci_u32_e64 v19, null, s11, 0, s1
	v_add_co_u32 v20, s1, s12, v2
	v_add_co_ci_u32_e64 v21, null, s13, 0, s1
	s_waitcnt lgkmcnt(0)
	s_and_b32 s1, s0, 0xffff
	s_and_b32 s0, s2, exec_lo
	v_mad_u64_u32 v[4:5], null, s1, 24, v[2:3]
	s_cselect_b32 s9, s7, 0
	s_cselect_b32 s8, s6, 0x10000
	s_lshl_b32 s0, s1, 4
	s_lshl_b32 s2, s1, 2
	v_add_co_u32 v2, s0, s0, v2
	s_delay_alu instid0(VALU_DEP_2) | instskip(NEXT) | instid1(VALU_DEP_3)
	v_add_co_u32 v22, vcc_lo, s10, v4
	v_add_co_ci_u32_e32 v23, vcc_lo, s11, v5, vcc_lo
	v_add_co_ci_u32_e64 v3, null, 0, 0, s0
	v_add_co_u32 v24, vcc_lo, s12, v4
	v_add_lshl_u32 v4, v0, s1, 3
	v_add_co_ci_u32_e32 v25, vcc_lo, s13, v5, vcc_lo
	v_add_co_u32 v26, vcc_lo, s10, v2
	v_add_co_ci_u32_e32 v27, vcc_lo, s11, v3, vcc_lo
	s_delay_alu instid0(VALU_DEP_4)
	v_add_co_u32 v30, s0, s10, v4
	v_add_co_u32 v28, vcc_lo, s12, v2
	v_add_co_ci_u32_e64 v31, null, s11, 0, s0
	v_add_co_u32 v32, s0, s12, v4
	v_add_co_ci_u32_e32 v29, vcc_lo, s13, v3, vcc_lo
	v_dual_mov_b32 v3, v1 :: v_dual_mov_b32 v2, v0
	v_add_co_ci_u32_e64 v33, null, s13, 0, s0
	s_lshl_b32 s14, s1, 1
	s_mul_i32 s15, s1, 3
	s_lshl_b32 s12, s1, 5
	s_mov_b64 s[10:11], s[2:3]
                                        ; implicit-def: $vgpr4_vgpr5
	s_branch .LBB289_9
.LBB289_8:                              ;   in Loop: Header=BB289_9 Depth=1
	s_or_b32 exec_lo, exec_lo, s0
	v_add_co_u32 v18, vcc_lo, v18, s12
	v_add_co_ci_u32_e32 v19, vcc_lo, 0, v19, vcc_lo
	v_add_co_u32 v20, vcc_lo, v20, s12
	v_add_co_ci_u32_e32 v21, vcc_lo, 0, v21, vcc_lo
	v_add_co_u32 v2, vcc_lo, v2, s2
	v_add_co_ci_u32_e32 v3, vcc_lo, 0, v3, vcc_lo
	v_add_co_u32 v22, vcc_lo, v22, s12
	v_add_co_ci_u32_e32 v23, vcc_lo, 0, v23, vcc_lo
	v_add_co_u32 v24, vcc_lo, v24, s12
	v_add_co_ci_u32_e32 v25, vcc_lo, 0, v25, vcc_lo
	v_add_co_u32 v26, vcc_lo, v26, s12
	v_add_co_ci_u32_e32 v27, vcc_lo, 0, v27, vcc_lo
	v_add_co_u32 v28, vcc_lo, v28, s12
	v_add_co_ci_u32_e32 v29, vcc_lo, 0, v29, vcc_lo
	v_cmp_ge_i64_e64 s0, s[10:11], s[6:7]
	v_cmp_lt_u64_e64 s3, 0xffff, s[10:11]
	v_add_co_u32 v30, vcc_lo, v30, s12
	v_add_co_ci_u32_e32 v31, vcc_lo, 0, v31, vcc_lo
	v_add_co_u32 v32, vcc_lo, v32, s12
	v_add_co_ci_u32_e32 v33, vcc_lo, 0, v33, vcc_lo
	s_or_b32 s0, s0, s3
	s_add_u32 s10, s10, s2
	s_addc_u32 s11, s11, 0
	s_and_b32 vcc_lo, exec_lo, s0
	s_cbranch_vccnz .LBB289_25
.LBB289_9:                              ; =>This Inner Loop Header: Depth=1
	v_cmp_gt_i64_e32 vcc_lo, s[6:7], v[2:3]
	v_cmp_gt_u64_e64 s0, 0x10000, v[2:3]
	s_delay_alu instid0(VALU_DEP_1) | instskip(NEXT) | instid1(SALU_CYCLE_1)
	s_and_b32 s3, vcc_lo, s0
	s_and_saveexec_b32 s0, s3
	s_cbranch_execz .LBB289_11
; %bb.10:                               ;   in Loop: Header=BB289_9 Depth=1
	s_waitcnt vmcnt(0)
	v_add_co_u32 v10, vcc_lo, v18, s4
	v_add_co_ci_u32_e32 v11, vcc_lo, s5, v19, vcc_lo
	global_load_b64 v[10:11], v[10:11], off
.LBB289_11:                             ;   in Loop: Header=BB289_9 Depth=1
	s_or_b32 exec_lo, exec_lo, s0
	v_add_co_u32 v12, vcc_lo, s1, v2
	v_add_co_ci_u32_e32 v13, vcc_lo, 0, v3, vcc_lo
	s_delay_alu instid0(VALU_DEP_1) | instskip(SKIP_1) | instid1(VALU_DEP_1)
	v_cmp_gt_i64_e32 vcc_lo, s[6:7], v[12:13]
	v_cmp_gt_u64_e64 s0, 0x10000, v[12:13]
	s_and_b32 s3, vcc_lo, s0
	s_delay_alu instid0(SALU_CYCLE_1)
	s_and_saveexec_b32 s0, s3
	s_cbranch_execz .LBB289_13
; %bb.12:                               ;   in Loop: Header=BB289_9 Depth=1
	s_waitcnt vmcnt(0)
	v_add_co_u32 v8, vcc_lo, v30, s4
	v_add_co_ci_u32_e32 v9, vcc_lo, s5, v31, vcc_lo
	global_load_b64 v[8:9], v[8:9], off
.LBB289_13:                             ;   in Loop: Header=BB289_9 Depth=1
	s_or_b32 exec_lo, exec_lo, s0
	v_add_co_u32 v14, vcc_lo, s14, v2
	v_add_co_ci_u32_e32 v15, vcc_lo, 0, v3, vcc_lo
	s_delay_alu instid0(VALU_DEP_1) | instskip(SKIP_1) | instid1(VALU_DEP_1)
	v_cmp_gt_i64_e32 vcc_lo, s[6:7], v[14:15]
	v_cmp_gt_u64_e64 s0, 0x10000, v[14:15]
	s_and_b32 s3, vcc_lo, s0
	s_delay_alu instid0(SALU_CYCLE_1)
	;; [unrolled: 16-line block ×3, first 2 shown]
	s_and_saveexec_b32 s0, s3
	s_cbranch_execnz .LBB289_20
; %bb.16:                               ;   in Loop: Header=BB289_9 Depth=1
	s_or_b32 exec_lo, exec_lo, s0
	s_delay_alu instid0(SALU_CYCLE_1)
	s_mov_b32 s0, exec_lo
	v_cmpx_gt_u64_e64 s[8:9], v[2:3]
	s_cbranch_execnz .LBB289_21
.LBB289_17:                             ;   in Loop: Header=BB289_9 Depth=1
	s_or_b32 exec_lo, exec_lo, s0
	s_delay_alu instid0(SALU_CYCLE_1)
	s_mov_b32 s0, exec_lo
	v_cmpx_gt_u64_e64 s[8:9], v[12:13]
	s_cbranch_execnz .LBB289_22
.LBB289_18:                             ;   in Loop: Header=BB289_9 Depth=1
	s_or_b32 exec_lo, exec_lo, s0
	s_delay_alu instid0(SALU_CYCLE_1)
	s_mov_b32 s0, exec_lo
	v_cmpx_gt_u64_e64 s[8:9], v[14:15]
	s_cbranch_execnz .LBB289_23
.LBB289_19:                             ;   in Loop: Header=BB289_9 Depth=1
	s_or_b32 exec_lo, exec_lo, s0
	s_delay_alu instid0(SALU_CYCLE_1)
	s_mov_b32 s0, exec_lo
	v_cmpx_gt_u64_e64 s[8:9], v[16:17]
	s_cbranch_execz .LBB289_8
	s_branch .LBB289_24
.LBB289_20:                             ;   in Loop: Header=BB289_9 Depth=1
	s_waitcnt vmcnt(0)
	v_add_co_u32 v4, vcc_lo, v22, s4
	v_add_co_ci_u32_e32 v5, vcc_lo, s5, v23, vcc_lo
	global_load_b64 v[4:5], v[4:5], off
	s_or_b32 exec_lo, exec_lo, s0
	s_delay_alu instid0(SALU_CYCLE_1)
	s_mov_b32 s0, exec_lo
	v_cmpx_gt_u64_e64 s[8:9], v[2:3]
	s_cbranch_execz .LBB289_17
.LBB289_21:                             ;   in Loop: Header=BB289_9 Depth=1
	s_waitcnt vmcnt(0)
	v_cvt_f32_f64_e32 v0, v[10:11]
	v_add_co_u32 v34, vcc_lo, v20, s4
	v_add_co_ci_u32_e32 v35, vcc_lo, s5, v21, vcc_lo
	global_store_b64 v[34:35], v[0:1], off
	s_or_b32 exec_lo, exec_lo, s0
	s_delay_alu instid0(SALU_CYCLE_1)
	s_mov_b32 s0, exec_lo
	v_cmpx_gt_u64_e64 s[8:9], v[12:13]
	s_cbranch_execz .LBB289_18
.LBB289_22:                             ;   in Loop: Header=BB289_9 Depth=1
	s_waitcnt vmcnt(0)
	v_cvt_f32_f64_e32 v0, v[8:9]
	v_add_co_u32 v12, vcc_lo, v32, s4
	v_add_co_ci_u32_e32 v13, vcc_lo, s5, v33, vcc_lo
	global_store_b64 v[12:13], v[0:1], off
	s_or_b32 exec_lo, exec_lo, s0
	s_delay_alu instid0(SALU_CYCLE_1)
	s_mov_b32 s0, exec_lo
	v_cmpx_gt_u64_e64 s[8:9], v[14:15]
	s_cbranch_execz .LBB289_19
.LBB289_23:                             ;   in Loop: Header=BB289_9 Depth=1
	s_waitcnt vmcnt(0)
	v_cvt_f32_f64_e32 v0, v[6:7]
	v_add_co_u32 v12, vcc_lo, v28, s4
	v_add_co_ci_u32_e32 v13, vcc_lo, s5, v29, vcc_lo
	global_store_b64 v[12:13], v[0:1], off
	s_or_b32 exec_lo, exec_lo, s0
	s_delay_alu instid0(SALU_CYCLE_1)
	s_mov_b32 s0, exec_lo
	v_cmpx_gt_u64_e64 s[8:9], v[16:17]
	s_cbranch_execz .LBB289_8
.LBB289_24:                             ;   in Loop: Header=BB289_9 Depth=1
	s_waitcnt vmcnt(0)
	v_cvt_f32_f64_e32 v0, v[4:5]
	v_add_co_u32 v12, vcc_lo, v24, s4
	v_add_co_ci_u32_e32 v13, vcc_lo, s5, v25, vcc_lo
	global_store_b64 v[12:13], v[0:1], off
	s_branch .LBB289_8
.LBB289_25:
	s_nop 0
	s_sendmsg sendmsg(MSG_DEALLOC_VGPRS)
	s_endpgm
	.section	.rodata,"a",@progbits
	.p2align	6, 0x0
	.amdhsa_kernel _ZN2at6native12_GLOBAL__N_125multi_tensor_apply_kernelINS1_18TensorListMetadataILi2EEENS1_11CopyFunctorIN3c107complexIfEEdLi2ELi1ELi1EEEJNS0_4CopyIS8_dEEEEEvT_T0_DpT1_
		.amdhsa_group_segment_fixed_size 0
		.amdhsa_private_segment_fixed_size 0
		.amdhsa_kernarg_size 3408
		.amdhsa_user_sgpr_count 15
		.amdhsa_user_sgpr_dispatch_ptr 0
		.amdhsa_user_sgpr_queue_ptr 0
		.amdhsa_user_sgpr_kernarg_segment_ptr 1
		.amdhsa_user_sgpr_dispatch_id 0
		.amdhsa_user_sgpr_private_segment_size 0
		.amdhsa_wavefront_size32 1
		.amdhsa_uses_dynamic_stack 0
		.amdhsa_enable_private_segment 0
		.amdhsa_system_sgpr_workgroup_id_x 1
		.amdhsa_system_sgpr_workgroup_id_y 0
		.amdhsa_system_sgpr_workgroup_id_z 0
		.amdhsa_system_sgpr_workgroup_info 0
		.amdhsa_system_vgpr_workitem_id 0
		.amdhsa_next_free_vgpr 36
		.amdhsa_next_free_sgpr 22
		.amdhsa_reserve_vcc 1
		.amdhsa_float_round_mode_32 0
		.amdhsa_float_round_mode_16_64 0
		.amdhsa_float_denorm_mode_32 3
		.amdhsa_float_denorm_mode_16_64 3
		.amdhsa_dx10_clamp 1
		.amdhsa_ieee_mode 1
		.amdhsa_fp16_overflow 0
		.amdhsa_workgroup_processor_mode 1
		.amdhsa_memory_ordered 1
		.amdhsa_forward_progress 0
		.amdhsa_shared_vgpr_count 0
		.amdhsa_exception_fp_ieee_invalid_op 0
		.amdhsa_exception_fp_denorm_src 0
		.amdhsa_exception_fp_ieee_div_zero 0
		.amdhsa_exception_fp_ieee_overflow 0
		.amdhsa_exception_fp_ieee_underflow 0
		.amdhsa_exception_fp_ieee_inexact 0
		.amdhsa_exception_int_div_zero 0
	.end_amdhsa_kernel
	.section	.text._ZN2at6native12_GLOBAL__N_125multi_tensor_apply_kernelINS1_18TensorListMetadataILi2EEENS1_11CopyFunctorIN3c107complexIfEEdLi2ELi1ELi1EEEJNS0_4CopyIS8_dEEEEEvT_T0_DpT1_,"axG",@progbits,_ZN2at6native12_GLOBAL__N_125multi_tensor_apply_kernelINS1_18TensorListMetadataILi2EEENS1_11CopyFunctorIN3c107complexIfEEdLi2ELi1ELi1EEEJNS0_4CopyIS8_dEEEEEvT_T0_DpT1_,comdat
.Lfunc_end289:
	.size	_ZN2at6native12_GLOBAL__N_125multi_tensor_apply_kernelINS1_18TensorListMetadataILi2EEENS1_11CopyFunctorIN3c107complexIfEEdLi2ELi1ELi1EEEJNS0_4CopyIS8_dEEEEEvT_T0_DpT1_, .Lfunc_end289-_ZN2at6native12_GLOBAL__N_125multi_tensor_apply_kernelINS1_18TensorListMetadataILi2EEENS1_11CopyFunctorIN3c107complexIfEEdLi2ELi1ELi1EEEJNS0_4CopyIS8_dEEEEEvT_T0_DpT1_
                                        ; -- End function
	.section	.AMDGPU.csdata,"",@progbits
; Kernel info:
; codeLenInByte = 1524
; NumSgprs: 24
; NumVgprs: 36
; ScratchSize: 0
; MemoryBound: 0
; FloatMode: 240
; IeeeMode: 1
; LDSByteSize: 0 bytes/workgroup (compile time only)
; SGPRBlocks: 2
; VGPRBlocks: 4
; NumSGPRsForWavesPerEU: 24
; NumVGPRsForWavesPerEU: 36
; Occupancy: 16
; WaveLimiterHint : 0
; COMPUTE_PGM_RSRC2:SCRATCH_EN: 0
; COMPUTE_PGM_RSRC2:USER_SGPR: 15
; COMPUTE_PGM_RSRC2:TRAP_HANDLER: 0
; COMPUTE_PGM_RSRC2:TGID_X_EN: 1
; COMPUTE_PGM_RSRC2:TGID_Y_EN: 0
; COMPUTE_PGM_RSRC2:TGID_Z_EN: 0
; COMPUTE_PGM_RSRC2:TIDIG_COMP_CNT: 0
	.section	.text._ZN2at6native12_GLOBAL__N_125multi_tensor_apply_kernelINS1_18TensorListMetadataILi2EEENS1_11CopyFunctorIN3c107complexIfEEfLi2ELi1ELi1EEEJNS0_4CopyIS8_fEEEEEvT_T0_DpT1_,"axG",@progbits,_ZN2at6native12_GLOBAL__N_125multi_tensor_apply_kernelINS1_18TensorListMetadataILi2EEENS1_11CopyFunctorIN3c107complexIfEEfLi2ELi1ELi1EEEJNS0_4CopyIS8_fEEEEEvT_T0_DpT1_,comdat
	.globl	_ZN2at6native12_GLOBAL__N_125multi_tensor_apply_kernelINS1_18TensorListMetadataILi2EEENS1_11CopyFunctorIN3c107complexIfEEfLi2ELi1ELi1EEEJNS0_4CopyIS8_fEEEEEvT_T0_DpT1_ ; -- Begin function _ZN2at6native12_GLOBAL__N_125multi_tensor_apply_kernelINS1_18TensorListMetadataILi2EEENS1_11CopyFunctorIN3c107complexIfEEfLi2ELi1ELi1EEEJNS0_4CopyIS8_fEEEEEvT_T0_DpT1_
	.p2align	8
	.type	_ZN2at6native12_GLOBAL__N_125multi_tensor_apply_kernelINS1_18TensorListMetadataILi2EEENS1_11CopyFunctorIN3c107complexIfEEfLi2ELi1ELi1EEEJNS0_4CopyIS8_fEEEEEvT_T0_DpT1_,@function
_ZN2at6native12_GLOBAL__N_125multi_tensor_apply_kernelINS1_18TensorListMetadataILi2EEENS1_11CopyFunctorIN3c107complexIfEEfLi2ELi1ELi1EEEJNS0_4CopyIS8_fEEEEEvT_T0_DpT1_: ; @_ZN2at6native12_GLOBAL__N_125multi_tensor_apply_kernelINS1_18TensorListMetadataILi2EEENS1_11CopyFunctorIN3c107complexIfEEfLi2ELi1ELi1EEEJNS0_4CopyIS8_fEEEEEvT_T0_DpT1_
; %bb.0:
	v_mov_b32_e32 v1, s15
	s_add_u32 s2, s0, s15
	s_mul_hi_u32 s3, s15, 3
	s_mul_i32 s15, s15, 3
	s_addc_u32 s4, s1, 0
	global_load_u8 v1, v1, s[0:1] offset:1536
	s_add_u32 s2, s2, s15
	s_addc_u32 s3, s4, s3
	s_mov_b32 s15, 0
	s_load_b32 s8, s[2:3], 0x740
	s_mov_b32 s19, s15
	s_waitcnt lgkmcnt(0)
	s_ashr_i32 s9, s8, 31
	s_delay_alu instid0(SALU_CYCLE_1) | instskip(SKIP_3) | instid1(VALU_DEP_1)
	s_lshl_b64 s[10:11], s[8:9], 19
	s_lshl_b64 s[16:17], s[8:9], 16
	s_waitcnt vmcnt(0)
	v_readfirstlane_b32 s5, v1
	s_lshl_b32 s6, s5, 3
	s_clause 0x2
	s_load_b64 s[2:3], s[0:1], s6 offset:0x200
	s_load_b64 s[4:5], s[0:1], s6 offset:0x400
	;; [unrolled: 1-line block ×3, first 2 shown]
	s_waitcnt lgkmcnt(0)
	s_add_u32 s12, s2, s10
	s_addc_u32 s13, s3, s11
	s_and_b32 s18, s4, 3
	s_and_b32 s14, s12, 31
	;; [unrolled: 1-line block ×3, first 2 shown]
	s_or_b64 s[14:15], s[14:15], s[18:19]
	s_delay_alu instid0(SALU_CYCLE_1)
	s_or_b32 s14, s14, s20
	s_sub_u32 s4, s4, s16
	s_subb_u32 s5, s5, s17
	s_cmp_eq_u64 s[14:15], 0
	s_mov_b32 s14, -1
	s_cbranch_scc0 .LBB290_5
; %bb.1:
	v_dual_mov_b32 v2, 0 :: v_dual_lshlrev_b32 v1, 2, v0
	s_mov_b32 s14, exec_lo
	s_delay_alu instid0(VALU_DEP_1)
	v_cmpx_gt_i64_e64 s[4:5], v[1:2]
	s_cbranch_execz .LBB290_4
; %bb.2:
	s_load_b32 s15, s[0:1], 0xc5c
	s_lshl_b64 s[16:17], s[8:9], 18
	s_waitcnt lgkmcnt(0)
	s_and_b32 s18, s15, 0xffff
	s_delay_alu instid0(SALU_CYCLE_1)
	v_add_lshl_u32 v1, v0, s18, 2
	v_dual_mov_b32 v10, v2 :: v_dual_lshlrev_b32 v3, 4, v0
	s_lshl_b32 s15, s18, 2
	s_add_u32 s19, s6, s16
	s_addc_u32 s17, s7, s17
	s_lshl_b32 s16, s18, 4
	v_dual_mov_b32 v9, v1 :: v_dual_lshlrev_b32 v4, 5, v0
	s_add_u32 s2, s2, s10
	v_add_co_u32 v3, s10, s19, v3
	s_delay_alu instid0(VALU_DEP_1) | instskip(SKIP_2) | instid1(VALU_DEP_3)
	v_add_co_ci_u32_e64 v8, null, s17, 0, s10
	s_addc_u32 s3, s3, s11
	v_add_co_u32 v5, s2, s2, v4
	v_add_co_u32 v7, vcc_lo, v3, 8
	v_add_co_ci_u32_e64 v6, null, s3, 0, s2
	v_add_co_ci_u32_e32 v8, vcc_lo, 0, v8, vcc_lo
	s_mov_b32 s10, 0
	s_lshl_b32 s11, s18, 5
	.p2align	6
.LBB290_3:                              ; =>This Inner Loop Header: Depth=1
	global_load_b128 v[11:14], v[7:8], off offset:-8
	v_mov_b32_e32 v4, v2
	v_cmp_le_i64_e32 vcc_lo, s[4:5], v[9:10]
	v_cmp_lt_u64_e64 s2, 0xffff, v[9:10]
	v_add_co_u32 v9, s3, v9, s15
	s_delay_alu instid0(VALU_DEP_1) | instskip(SKIP_1) | instid1(VALU_DEP_4)
	v_add_co_ci_u32_e64 v10, s3, 0, v10, s3
	v_add_co_u32 v7, s3, v7, s16
	s_or_b32 s2, vcc_lo, s2
	v_add_co_ci_u32_e64 v8, s3, 0, v8, s3
	s_and_b32 s2, exec_lo, s2
	s_delay_alu instid0(SALU_CYCLE_1)
	s_or_b32 s10, s2, s10
	s_waitcnt vmcnt(0)
	v_mov_b32_e32 v1, v11
	v_mov_b32_e32 v3, v12
	global_store_b128 v[5:6], v[1:4], off
	v_mov_b32_e32 v1, v13
	v_mov_b32_e32 v3, v14
	global_store_b128 v[5:6], v[1:4], off offset:16
	v_add_co_u32 v5, vcc_lo, v5, s11
	v_add_co_ci_u32_e32 v6, vcc_lo, 0, v6, vcc_lo
	s_and_not1_b32 exec_lo, exec_lo, s10
	s_cbranch_execnz .LBB290_3
.LBB290_4:
	s_or_b32 exec_lo, exec_lo, s14
	s_mov_b32 s14, 0
.LBB290_5:
	s_delay_alu instid0(SALU_CYCLE_1)
	s_and_not1_b32 vcc_lo, exec_lo, s14
	s_cbranch_vccnz .LBB290_25
; %bb.6:
	v_cmp_lt_i64_e64 s2, s[4:5], 1
	s_delay_alu instid0(VALU_DEP_1)
	s_and_b32 vcc_lo, exec_lo, s2
	s_cbranch_vccnz .LBB290_25
; %bb.7:
	s_load_b32 s0, s[0:1], 0xc5c
	v_cmp_gt_u64_e64 s1, 0x10000, s[4:5]
	v_dual_mov_b32 v2, 0 :: v_dual_lshlrev_b32 v1, 2, v0
	v_lshlrev_b32_e32 v3, 3, v0
                                        ; implicit-def: $vgpr13
                                        ; implicit-def: $vgpr15
                                        ; implicit-def: $vgpr11
	s_delay_alu instid0(VALU_DEP_2)
	v_mov_b32_e32 v4, v2
	s_waitcnt lgkmcnt(0)
	s_and_b32 s0, s0, 0xffff
	s_and_b32 s1, s1, exec_lo
	s_cselect_b32 s3, s5, 0
	s_cselect_b32 s2, s4, 0x10000
	s_lshl_b64 s[8:9], s[8:9], 18
	s_lshl_b32 s10, s0, 1
	s_lshl_b32 s1, s0, 2
	s_mul_i32 s11, s0, 3
	s_add_u32 s6, s6, s8
	v_mad_u64_u32 v[5:6], null, s0, 24, v[3:4]
	v_add_co_u32 v4, s8, s11, v0
	s_addc_u32 s7, s7, s9
	v_add_co_u32 v7, s11, s6, v1
	s_delay_alu instid0(VALU_DEP_1) | instskip(SKIP_3) | instid1(VALU_DEP_2)
	v_add_co_ci_u32_e64 v8, null, s7, 0, s11
	v_add_co_u32 v25, s11, v0, s0
	v_add_co_ci_u32_e64 v24, null, 0, 0, s8
	s_lshl_b32 s8, s0, 4
	v_lshlrev_b32_e32 v1, 2, v25
	v_add_co_u32 v26, s14, s8, v3
	v_add_co_u32 v29, s10, s10, v0
	s_delay_alu instid0(VALU_DEP_3)
	v_add_co_u32 v9, s6, s6, v1
	v_add_co_ci_u32_e64 v27, null, 0, 0, s14
	v_add_co_ci_u32_e64 v28, null, 0, 0, s11
	;; [unrolled: 1-line block ×4, first 2 shown]
	v_lshlrev_b32_e32 v31, 3, v25
	s_lshl_b32 s9, s0, 5
	s_mul_i32 s10, s0, 12
	s_lshl_b32 s11, s0, 3
	s_mov_b64 s[6:7], 0
	s_branch .LBB290_9
.LBB290_8:                              ;   in Loop: Header=BB290_9 Depth=1
	s_or_b32 exec_lo, exec_lo, s0
	s_add_u32 s6, s6, s1
	s_addc_u32 s7, s7, 0
	v_add_co_u32 v7, vcc_lo, v7, s8
	v_cmp_ge_i64_e64 s0, s[6:7], s[4:5]
	v_cmp_lt_u64_e64 s14, 0xffff, s[6:7]
	v_add_co_ci_u32_e32 v8, vcc_lo, 0, v8, vcc_lo
	v_add_co_u32 v9, vcc_lo, v9, s8
	v_add_co_ci_u32_e32 v10, vcc_lo, 0, v10, vcc_lo
	s_delay_alu instid0(VALU_DEP_4)
	s_or_b32 s0, s0, s14
	s_add_u32 s12, s12, s9
	s_addc_u32 s13, s13, 0
	s_and_b32 vcc_lo, exec_lo, s0
	s_cbranch_vccnz .LBB290_25
.LBB290_9:                              ; =>This Inner Loop Header: Depth=1
	v_add_co_u32 v16, s0, v0, s6
	s_delay_alu instid0(VALU_DEP_1) | instskip(NEXT) | instid1(VALU_DEP_1)
	v_add_co_ci_u32_e64 v17, null, 0, s7, s0
	v_cmp_gt_i64_e32 vcc_lo, s[4:5], v[16:17]
	v_cmp_gt_u64_e64 s0, 0x10000, v[16:17]
	s_delay_alu instid0(VALU_DEP_1) | instskip(NEXT) | instid1(SALU_CYCLE_1)
	s_and_b32 s14, vcc_lo, s0
	s_and_saveexec_b32 s0, s14
	s_cbranch_execz .LBB290_11
; %bb.10:                               ;   in Loop: Header=BB290_9 Depth=1
	global_load_b32 v1, v[7:8], off
.LBB290_11:                             ;   in Loop: Header=BB290_9 Depth=1
	s_or_b32 exec_lo, exec_lo, s0
	v_add_co_u32 v18, vcc_lo, v25, s6
	v_add_co_ci_u32_e32 v19, vcc_lo, s7, v28, vcc_lo
	s_delay_alu instid0(VALU_DEP_1) | instskip(SKIP_1) | instid1(VALU_DEP_1)
	v_cmp_gt_i64_e32 vcc_lo, s[4:5], v[18:19]
	v_cmp_gt_u64_e64 s0, 0x10000, v[18:19]
	s_and_b32 s14, vcc_lo, s0
	s_delay_alu instid0(SALU_CYCLE_1)
	s_and_saveexec_b32 s0, s14
	s_cbranch_execz .LBB290_13
; %bb.12:                               ;   in Loop: Header=BB290_9 Depth=1
	global_load_b32 v11, v[9:10], off
.LBB290_13:                             ;   in Loop: Header=BB290_9 Depth=1
	s_or_b32 exec_lo, exec_lo, s0
	v_add_co_u32 v20, vcc_lo, v29, s6
	v_add_co_ci_u32_e32 v21, vcc_lo, s7, v30, vcc_lo
	s_delay_alu instid0(VALU_DEP_1) | instskip(SKIP_1) | instid1(VALU_DEP_1)
	v_cmp_gt_i64_e32 vcc_lo, s[4:5], v[20:21]
	v_cmp_gt_u64_e64 s0, 0x10000, v[20:21]
	s_and_b32 s14, vcc_lo, s0
	s_delay_alu instid0(SALU_CYCLE_1)
	s_and_saveexec_b32 s0, s14
	s_cbranch_execz .LBB290_15
; %bb.14:                               ;   in Loop: Header=BB290_9 Depth=1
	v_add_co_u32 v14, vcc_lo, v7, s11
	s_waitcnt vmcnt(0)
	v_add_co_ci_u32_e32 v15, vcc_lo, 0, v8, vcc_lo
	global_load_b32 v15, v[14:15], off
.LBB290_15:                             ;   in Loop: Header=BB290_9 Depth=1
	s_or_b32 exec_lo, exec_lo, s0
	v_add_co_u32 v22, vcc_lo, v4, s6
	v_add_co_ci_u32_e32 v23, vcc_lo, s7, v24, vcc_lo
	s_delay_alu instid0(VALU_DEP_1) | instskip(SKIP_1) | instid1(VALU_DEP_1)
	v_cmp_gt_i64_e32 vcc_lo, s[4:5], v[22:23]
	v_cmp_gt_u64_e64 s0, 0x10000, v[22:23]
	s_and_b32 s14, vcc_lo, s0
	s_delay_alu instid0(SALU_CYCLE_1)
	s_and_saveexec_b32 s0, s14
	s_cbranch_execnz .LBB290_20
; %bb.16:                               ;   in Loop: Header=BB290_9 Depth=1
	s_or_b32 exec_lo, exec_lo, s0
	s_delay_alu instid0(SALU_CYCLE_1)
	s_mov_b32 s0, exec_lo
	v_cmpx_gt_u64_e64 s[2:3], v[16:17]
	s_cbranch_execnz .LBB290_21
.LBB290_17:                             ;   in Loop: Header=BB290_9 Depth=1
	s_or_b32 exec_lo, exec_lo, s0
	s_delay_alu instid0(SALU_CYCLE_1)
	s_mov_b32 s0, exec_lo
	v_cmpx_gt_u64_e64 s[2:3], v[18:19]
	s_cbranch_execnz .LBB290_22
.LBB290_18:                             ;   in Loop: Header=BB290_9 Depth=1
	s_or_b32 exec_lo, exec_lo, s0
	s_delay_alu instid0(SALU_CYCLE_1)
	s_mov_b32 s0, exec_lo
	v_cmpx_gt_u64_e64 s[2:3], v[20:21]
	s_cbranch_execnz .LBB290_23
.LBB290_19:                             ;   in Loop: Header=BB290_9 Depth=1
	s_or_b32 exec_lo, exec_lo, s0
	s_delay_alu instid0(SALU_CYCLE_1)
	s_mov_b32 s0, exec_lo
	v_cmpx_gt_u64_e64 s[2:3], v[22:23]
	s_cbranch_execz .LBB290_8
	s_branch .LBB290_24
.LBB290_20:                             ;   in Loop: Header=BB290_9 Depth=1
	v_add_co_u32 v12, vcc_lo, v7, s10
	s_waitcnt vmcnt(0)
	v_add_co_ci_u32_e32 v13, vcc_lo, 0, v8, vcc_lo
	global_load_b32 v13, v[12:13], off
	s_or_b32 exec_lo, exec_lo, s0
	s_delay_alu instid0(SALU_CYCLE_1)
	s_mov_b32 s0, exec_lo
	v_cmpx_gt_u64_e64 s[2:3], v[16:17]
	s_cbranch_execz .LBB290_17
.LBB290_21:                             ;   in Loop: Header=BB290_9 Depth=1
	v_add_co_u32 v16, s14, s12, v3
	s_delay_alu instid0(VALU_DEP_1) | instskip(SKIP_3) | instid1(SALU_CYCLE_1)
	v_add_co_ci_u32_e64 v17, null, s13, 0, s14
	s_waitcnt vmcnt(0)
	global_store_b64 v[16:17], v[1:2], off
	s_or_b32 exec_lo, exec_lo, s0
	s_mov_b32 s0, exec_lo
	v_cmpx_gt_u64_e64 s[2:3], v[18:19]
	s_cbranch_execz .LBB290_18
.LBB290_22:                             ;   in Loop: Header=BB290_9 Depth=1
	v_add_co_u32 v16, s14, s12, v31
	s_delay_alu instid0(VALU_DEP_1) | instskip(SKIP_4) | instid1(SALU_CYCLE_1)
	v_add_co_ci_u32_e64 v17, null, s13, 0, s14
	v_mov_b32_e32 v12, v2
	s_waitcnt vmcnt(0)
	global_store_b64 v[16:17], v[11:12], off
	s_or_b32 exec_lo, exec_lo, s0
	s_mov_b32 s0, exec_lo
	v_cmpx_gt_u64_e64 s[2:3], v[20:21]
	s_cbranch_execz .LBB290_19
.LBB290_23:                             ;   in Loop: Header=BB290_9 Depth=1
	v_add_co_u32 v17, vcc_lo, s12, v26
	v_add_co_ci_u32_e32 v18, vcc_lo, s13, v27, vcc_lo
	v_mov_b32_e32 v16, v2
	s_waitcnt vmcnt(0)
	global_store_b64 v[17:18], v[15:16], off
	s_or_b32 exec_lo, exec_lo, s0
	s_delay_alu instid0(SALU_CYCLE_1)
	s_mov_b32 s0, exec_lo
	v_cmpx_gt_u64_e64 s[2:3], v[22:23]
	s_cbranch_execz .LBB290_8
.LBB290_24:                             ;   in Loop: Header=BB290_9 Depth=1
	v_add_co_u32 v16, vcc_lo, s12, v5
	v_add_co_ci_u32_e32 v17, vcc_lo, s13, v6, vcc_lo
	v_mov_b32_e32 v14, v2
	s_waitcnt vmcnt(0)
	global_store_b64 v[16:17], v[13:14], off
	s_branch .LBB290_8
.LBB290_25:
	s_nop 0
	s_sendmsg sendmsg(MSG_DEALLOC_VGPRS)
	s_endpgm
	.section	.rodata,"a",@progbits
	.p2align	6, 0x0
	.amdhsa_kernel _ZN2at6native12_GLOBAL__N_125multi_tensor_apply_kernelINS1_18TensorListMetadataILi2EEENS1_11CopyFunctorIN3c107complexIfEEfLi2ELi1ELi1EEEJNS0_4CopyIS8_fEEEEEvT_T0_DpT1_
		.amdhsa_group_segment_fixed_size 0
		.amdhsa_private_segment_fixed_size 0
		.amdhsa_kernarg_size 3408
		.amdhsa_user_sgpr_count 15
		.amdhsa_user_sgpr_dispatch_ptr 0
		.amdhsa_user_sgpr_queue_ptr 0
		.amdhsa_user_sgpr_kernarg_segment_ptr 1
		.amdhsa_user_sgpr_dispatch_id 0
		.amdhsa_user_sgpr_private_segment_size 0
		.amdhsa_wavefront_size32 1
		.amdhsa_uses_dynamic_stack 0
		.amdhsa_enable_private_segment 0
		.amdhsa_system_sgpr_workgroup_id_x 1
		.amdhsa_system_sgpr_workgroup_id_y 0
		.amdhsa_system_sgpr_workgroup_id_z 0
		.amdhsa_system_sgpr_workgroup_info 0
		.amdhsa_system_vgpr_workitem_id 0
		.amdhsa_next_free_vgpr 32
		.amdhsa_next_free_sgpr 21
		.amdhsa_reserve_vcc 1
		.amdhsa_float_round_mode_32 0
		.amdhsa_float_round_mode_16_64 0
		.amdhsa_float_denorm_mode_32 3
		.amdhsa_float_denorm_mode_16_64 3
		.amdhsa_dx10_clamp 1
		.amdhsa_ieee_mode 1
		.amdhsa_fp16_overflow 0
		.amdhsa_workgroup_processor_mode 1
		.amdhsa_memory_ordered 1
		.amdhsa_forward_progress 0
		.amdhsa_shared_vgpr_count 0
		.amdhsa_exception_fp_ieee_invalid_op 0
		.amdhsa_exception_fp_denorm_src 0
		.amdhsa_exception_fp_ieee_div_zero 0
		.amdhsa_exception_fp_ieee_overflow 0
		.amdhsa_exception_fp_ieee_underflow 0
		.amdhsa_exception_fp_ieee_inexact 0
		.amdhsa_exception_int_div_zero 0
	.end_amdhsa_kernel
	.section	.text._ZN2at6native12_GLOBAL__N_125multi_tensor_apply_kernelINS1_18TensorListMetadataILi2EEENS1_11CopyFunctorIN3c107complexIfEEfLi2ELi1ELi1EEEJNS0_4CopyIS8_fEEEEEvT_T0_DpT1_,"axG",@progbits,_ZN2at6native12_GLOBAL__N_125multi_tensor_apply_kernelINS1_18TensorListMetadataILi2EEENS1_11CopyFunctorIN3c107complexIfEEfLi2ELi1ELi1EEEJNS0_4CopyIS8_fEEEEEvT_T0_DpT1_,comdat
.Lfunc_end290:
	.size	_ZN2at6native12_GLOBAL__N_125multi_tensor_apply_kernelINS1_18TensorListMetadataILi2EEENS1_11CopyFunctorIN3c107complexIfEEfLi2ELi1ELi1EEEJNS0_4CopyIS8_fEEEEEvT_T0_DpT1_, .Lfunc_end290-_ZN2at6native12_GLOBAL__N_125multi_tensor_apply_kernelINS1_18TensorListMetadataILi2EEENS1_11CopyFunctorIN3c107complexIfEEfLi2ELi1ELi1EEEJNS0_4CopyIS8_fEEEEEvT_T0_DpT1_
                                        ; -- End function
	.section	.AMDGPU.csdata,"",@progbits
; Kernel info:
; codeLenInByte = 1420
; NumSgprs: 23
; NumVgprs: 32
; ScratchSize: 0
; MemoryBound: 0
; FloatMode: 240
; IeeeMode: 1
; LDSByteSize: 0 bytes/workgroup (compile time only)
; SGPRBlocks: 2
; VGPRBlocks: 3
; NumSGPRsForWavesPerEU: 23
; NumVGPRsForWavesPerEU: 32
; Occupancy: 16
; WaveLimiterHint : 0
; COMPUTE_PGM_RSRC2:SCRATCH_EN: 0
; COMPUTE_PGM_RSRC2:USER_SGPR: 15
; COMPUTE_PGM_RSRC2:TRAP_HANDLER: 0
; COMPUTE_PGM_RSRC2:TGID_X_EN: 1
; COMPUTE_PGM_RSRC2:TGID_Y_EN: 0
; COMPUTE_PGM_RSRC2:TGID_Z_EN: 0
; COMPUTE_PGM_RSRC2:TIDIG_COMP_CNT: 0
	.section	.text._ZN2at6native12_GLOBAL__N_125multi_tensor_apply_kernelINS1_18TensorListMetadataILi2EEENS1_11CopyFunctorIN3c107complexIfEENS7_IdEELi2ELi1ELi1EEEJNS0_4CopyIS8_S9_EEEEEvT_T0_DpT1_,"axG",@progbits,_ZN2at6native12_GLOBAL__N_125multi_tensor_apply_kernelINS1_18TensorListMetadataILi2EEENS1_11CopyFunctorIN3c107complexIfEENS7_IdEELi2ELi1ELi1EEEJNS0_4CopyIS8_S9_EEEEEvT_T0_DpT1_,comdat
	.globl	_ZN2at6native12_GLOBAL__N_125multi_tensor_apply_kernelINS1_18TensorListMetadataILi2EEENS1_11CopyFunctorIN3c107complexIfEENS7_IdEELi2ELi1ELi1EEEJNS0_4CopyIS8_S9_EEEEEvT_T0_DpT1_ ; -- Begin function _ZN2at6native12_GLOBAL__N_125multi_tensor_apply_kernelINS1_18TensorListMetadataILi2EEENS1_11CopyFunctorIN3c107complexIfEENS7_IdEELi2ELi1ELi1EEEJNS0_4CopyIS8_S9_EEEEEvT_T0_DpT1_
	.p2align	8
	.type	_ZN2at6native12_GLOBAL__N_125multi_tensor_apply_kernelINS1_18TensorListMetadataILi2EEENS1_11CopyFunctorIN3c107complexIfEENS7_IdEELi2ELi1ELi1EEEJNS0_4CopyIS8_S9_EEEEEvT_T0_DpT1_,@function
_ZN2at6native12_GLOBAL__N_125multi_tensor_apply_kernelINS1_18TensorListMetadataILi2EEENS1_11CopyFunctorIN3c107complexIfEENS7_IdEELi2ELi1ELi1EEEJNS0_4CopyIS8_S9_EEEEEvT_T0_DpT1_: ; @_ZN2at6native12_GLOBAL__N_125multi_tensor_apply_kernelINS1_18TensorListMetadataILi2EEENS1_11CopyFunctorIN3c107complexIfEENS7_IdEELi2ELi1ELi1EEEJNS0_4CopyIS8_S9_EEEEEvT_T0_DpT1_
; %bb.0:
	v_mov_b32_e32 v1, s15
	s_add_u32 s2, s0, s15
	s_mul_hi_u32 s3, s15, 3
	s_mul_i32 s15, s15, 3
	s_addc_u32 s4, s1, 0
	global_load_u8 v1, v1, s[0:1] offset:1536
	s_add_u32 s2, s2, s15
	s_addc_u32 s3, s4, s3
	s_mov_b32 s19, 0
	s_load_b32 s4, s[2:3], 0x740
	s_mov_b32 s23, s19
	s_waitcnt vmcnt(0)
	v_readfirstlane_b32 s5, v1
	s_delay_alu instid0(VALU_DEP_1)
	s_lshl_b32 s5, s5, 3
	s_clause 0x2
	s_load_b64 s[2:3], s[0:1], s5 offset:0x0
	s_load_b64 s[6:7], s[0:1], s5 offset:0x200
	;; [unrolled: 1-line block ×3, first 2 shown]
	s_waitcnt lgkmcnt(0)
	s_ashr_i32 s5, s4, 31
	s_delay_alu instid0(SALU_CYCLE_1)
	s_lshl_b64 s[10:11], s[4:5], 20
	s_lshl_b64 s[20:21], s[4:5], 16
	s_add_u32 s12, s2, s10
	s_addc_u32 s13, s3, s11
	s_lshl_b64 s[8:9], s[4:5], 19
	s_mov_b32 s5, s19
	s_add_u32 s14, s6, s8
	s_addc_u32 s15, s7, s9
	s_and_b32 s22, s16, 3
	s_and_b32 s4, s14, 31
	;; [unrolled: 1-line block ×3, first 2 shown]
	s_or_b64 s[4:5], s[4:5], s[22:23]
	s_delay_alu instid0(SALU_CYCLE_1)
	s_or_b64 s[18:19], s[18:19], s[4:5]
	s_sub_u32 s4, s16, s20
	s_subb_u32 s5, s17, s21
	s_cmp_eq_u64 s[18:19], 0
	s_mov_b32 s16, -1
	s_cbranch_scc0 .LBB291_5
; %bb.1:
	v_dual_mov_b32 v2, 0 :: v_dual_lshlrev_b32 v1, 2, v0
	s_mov_b32 s16, exec_lo
	s_delay_alu instid0(VALU_DEP_1)
	v_cmpx_gt_i64_e64 s[4:5], v[1:2]
	s_cbranch_execz .LBB291_4
; %bb.2:
	s_load_b32 s17, s[0:1], 0xc5c
	v_lshlrev_b32_e32 v3, 6, v0
	v_lshlrev_b32_e32 v5, 5, v0
	s_waitcnt lgkmcnt(0)
	s_and_b32 s18, s17, 0xffff
	s_delay_alu instid0(SALU_CYCLE_1)
	s_lshl_b32 s17, s18, 2
	s_add_u32 s2, s2, s10
	s_addc_u32 s3, s3, s11
	s_lshl_b32 s10, s18, 6
	s_add_u32 s6, s6, s8
	v_add_co_u32 v3, s2, s2, v3
	s_delay_alu instid0(VALU_DEP_1)
	v_add_co_ci_u32_e64 v4, null, s3, 0, s2
	s_addc_u32 s2, s7, s9
	v_add_co_u32 v5, s3, s6, v5
	v_add_lshl_u32 v1, v0, s18, 2
	v_add_co_ci_u32_e64 v6, null, s2, 0, s3
	s_mov_b32 s6, 0
	s_lshl_b32 s7, s18, 5
	s_set_inst_prefetch_distance 0x1
	.p2align	6
.LBB291_3:                              ; =>This Inner Loop Header: Depth=1
	s_clause 0x3
	global_load_b128 v[7:10], v[3:4], off
	global_load_b128 v[11:14], v[3:4], off offset:16
	global_load_b128 v[15:18], v[3:4], off offset:32
	;; [unrolled: 1-line block ×3, first 2 shown]
	v_cmp_le_i64_e32 vcc_lo, s[4:5], v[1:2]
	v_cmp_lt_u64_e64 s2, 0xffff, v[1:2]
	v_add_co_u32 v1, s3, v1, s17
	s_delay_alu instid0(VALU_DEP_1) | instskip(SKIP_1) | instid1(VALU_DEP_4)
	v_add_co_ci_u32_e64 v2, s3, 0, v2, s3
	v_add_co_u32 v3, s3, v3, s10
	s_or_b32 s2, vcc_lo, s2
	v_add_co_ci_u32_e64 v4, s3, 0, v4, s3
	s_and_b32 s2, exec_lo, s2
	s_delay_alu instid0(SALU_CYCLE_1)
	s_or_b32 s6, s2, s6
	s_waitcnt vmcnt(3)
	v_cvt_f32_f64_e32 v7, v[7:8]
	v_cvt_f32_f64_e32 v8, v[9:10]
	s_waitcnt vmcnt(2)
	v_cvt_f32_f64_e32 v9, v[11:12]
	v_cvt_f32_f64_e32 v10, v[13:14]
	;; [unrolled: 3-line block ×4, first 2 shown]
	s_clause 0x1
	global_store_b128 v[5:6], v[7:10], off
	global_store_b128 v[5:6], v[11:14], off offset:16
	v_add_co_u32 v5, vcc_lo, v5, s7
	v_add_co_ci_u32_e32 v6, vcc_lo, 0, v6, vcc_lo
	s_and_not1_b32 exec_lo, exec_lo, s6
	s_cbranch_execnz .LBB291_3
.LBB291_4:
	s_set_inst_prefetch_distance 0x2
	s_or_b32 exec_lo, exec_lo, s16
	s_mov_b32 s16, 0
.LBB291_5:
	s_delay_alu instid0(SALU_CYCLE_1)
	s_and_not1_b32 vcc_lo, exec_lo, s16
	s_cbranch_vccnz .LBB291_25
; %bb.6:
	v_cmp_lt_i64_e64 s2, s[4:5], 1
	s_delay_alu instid0(VALU_DEP_1)
	s_and_b32 vcc_lo, exec_lo, s2
	s_cbranch_vccnz .LBB291_25
; %bb.7:
	s_load_b32 s0, s[0:1], 0xc5c
	v_dual_mov_b32 v18, 0 :: v_dual_lshlrev_b32 v17, 4, v0
	v_cmp_gt_u64_e64 s1, 0x10000, s[4:5]
	v_lshlrev_b32_e32 v19, 3, v0
	s_delay_alu instid0(VALU_DEP_3) | instskip(SKIP_1) | instid1(VALU_DEP_1)
	v_dual_mov_b32 v3, 0 :: v_dual_mov_b32 v20, v18
	v_mov_b32_e32 v4, 0
	v_dual_mov_b32 v8, v4 :: v_dual_mov_b32 v7, v3
	v_dual_mov_b32 v6, v4 :: v_dual_mov_b32 v5, v3
	v_dual_mov_b32 v12, v4 :: v_dual_mov_b32 v11, v3
	v_dual_mov_b32 v10, v4 :: v_dual_mov_b32 v9, v3
	s_waitcnt lgkmcnt(0)
	s_and_b32 s0, s0, 0xffff
	s_and_b32 s1, s1, exec_lo
	v_add_co_u32 v33, s1, v0, s0
	s_cselect_b32 s3, s5, 0
	s_cselect_b32 s2, s4, 0x10000
	s_lshl_b32 s6, s0, 1
	s_mul_i32 s7, s0, 3
	v_mad_u64_u32 v[21:22], null, s0, 48, v[17:18]
	v_mad_u64_u32 v[23:24], null, s0, 24, v[19:20]
	v_add_co_u32 v18, s6, s6, v0
	v_add_co_ci_u32_e64 v34, null, 0, 0, s1
	s_lshl_b32 s1, s0, 5
	v_add_co_ci_u32_e64 v20, null, 0, 0, s6
	v_lshlrev_b32_e32 v36, 4, v33
	v_add_co_u32 v37, s6, s7, v0
	v_lshlrev_b32_e32 v35, 3, v33
	v_add_co_u32 v1, s7, s1, v17
	v_add_co_ci_u32_e64 v38, null, 0, 0, s6
	s_lshl_b32 s6, s0, 4
	v_or_b32_e32 v21, 8, v21
	v_add_co_u32 v39, s6, s6, v19
	v_or_b32_e32 v23, 4, v23
	v_add_co_ci_u32_e64 v40, null, 0, 0, s6
	v_add_co_ci_u32_e64 v41, null, 0, 0, s7
	v_or_b32_e32 v42, 8, v1
	v_dual_mov_b32 v1, v3 :: v_dual_mov_b32 v2, v4
	v_dual_mov_b32 v16, v4 :: v_dual_mov_b32 v15, v3
	;; [unrolled: 1-line block ×3, first 2 shown]
	s_lshl_b32 s8, s0, 2
	s_lshl_b32 s9, s0, 6
	s_mov_b64 s[6:7], 0
	s_branch .LBB291_9
.LBB291_8:                              ;   in Loop: Header=BB291_9 Depth=1
	s_or_b32 exec_lo, exec_lo, s0
	s_add_u32 s6, s6, s8
	s_addc_u32 s7, s7, 0
	s_delay_alu instid0(SALU_CYCLE_1) | instskip(SKIP_1) | instid1(VALU_DEP_1)
	v_cmp_ge_i64_e64 s0, s[6:7], s[4:5]
	v_cmp_lt_u64_e64 s10, 0xffff, s[6:7]
	s_or_b32 s0, s0, s10
	s_add_u32 s12, s12, s9
	s_addc_u32 s13, s13, 0
	s_add_u32 s14, s14, s1
	s_addc_u32 s15, s15, 0
	s_and_b32 vcc_lo, exec_lo, s0
	s_cbranch_vccnz .LBB291_25
.LBB291_9:                              ; =>This Inner Loop Header: Depth=1
	v_add_co_u32 v25, s0, v0, s6
	s_delay_alu instid0(VALU_DEP_1) | instskip(NEXT) | instid1(VALU_DEP_1)
	v_add_co_ci_u32_e64 v26, null, 0, s7, s0
	v_cmp_gt_i64_e32 vcc_lo, s[4:5], v[25:26]
	v_cmp_gt_u64_e64 s0, 0x10000, v[25:26]
	s_delay_alu instid0(VALU_DEP_1) | instskip(NEXT) | instid1(SALU_CYCLE_1)
	s_and_b32 s10, vcc_lo, s0
	s_and_saveexec_b32 s0, s10
	s_cbranch_execz .LBB291_11
; %bb.10:                               ;   in Loop: Header=BB291_9 Depth=1
	s_waitcnt vmcnt(0)
	v_add_co_u32 v13, s10, s12, v17
	s_delay_alu instid0(VALU_DEP_1)
	v_add_co_ci_u32_e64 v14, null, s13, 0, s10
	global_load_b128 v[13:16], v[13:14], off
.LBB291_11:                             ;   in Loop: Header=BB291_9 Depth=1
	s_or_b32 exec_lo, exec_lo, s0
	v_add_co_u32 v27, vcc_lo, v33, s6
	v_add_co_ci_u32_e32 v28, vcc_lo, s7, v34, vcc_lo
	s_delay_alu instid0(VALU_DEP_1) | instskip(SKIP_1) | instid1(VALU_DEP_1)
	v_cmp_gt_i64_e32 vcc_lo, s[4:5], v[27:28]
	v_cmp_gt_u64_e64 s0, 0x10000, v[27:28]
	s_and_b32 s10, vcc_lo, s0
	s_delay_alu instid0(SALU_CYCLE_1)
	s_and_saveexec_b32 s0, s10
	s_cbranch_execz .LBB291_13
; %bb.12:                               ;   in Loop: Header=BB291_9 Depth=1
	s_waitcnt vmcnt(0)
	v_add_co_u32 v9, s10, s12, v36
	s_delay_alu instid0(VALU_DEP_1)
	v_add_co_ci_u32_e64 v10, null, s13, 0, s10
	global_load_b128 v[9:12], v[9:10], off
.LBB291_13:                             ;   in Loop: Header=BB291_9 Depth=1
	s_or_b32 exec_lo, exec_lo, s0
	v_add_co_u32 v29, vcc_lo, v18, s6
	v_add_co_ci_u32_e32 v30, vcc_lo, s7, v20, vcc_lo
	s_delay_alu instid0(VALU_DEP_1) | instskip(SKIP_1) | instid1(VALU_DEP_1)
	v_cmp_gt_i64_e32 vcc_lo, s[4:5], v[29:30]
	v_cmp_gt_u64_e64 s0, 0x10000, v[29:30]
	s_and_b32 s10, vcc_lo, s0
	s_delay_alu instid0(SALU_CYCLE_1)
	s_and_saveexec_b32 s0, s10
	s_cbranch_execz .LBB291_15
; %bb.14:                               ;   in Loop: Header=BB291_9 Depth=1
	s_waitcnt vmcnt(0)
	v_add_co_u32 v5, vcc_lo, s12, v42
	v_add_co_ci_u32_e32 v6, vcc_lo, s13, v41, vcc_lo
	global_load_b128 v[5:8], v[5:6], off offset:-8
.LBB291_15:                             ;   in Loop: Header=BB291_9 Depth=1
	s_or_b32 exec_lo, exec_lo, s0
	v_add_co_u32 v31, vcc_lo, v37, s6
	v_add_co_ci_u32_e32 v32, vcc_lo, s7, v38, vcc_lo
	s_delay_alu instid0(VALU_DEP_1) | instskip(SKIP_1) | instid1(VALU_DEP_1)
	v_cmp_gt_i64_e32 vcc_lo, s[4:5], v[31:32]
	v_cmp_gt_u64_e64 s0, 0x10000, v[31:32]
	s_and_b32 s10, vcc_lo, s0
	s_delay_alu instid0(SALU_CYCLE_1)
	s_and_saveexec_b32 s0, s10
	s_cbranch_execnz .LBB291_20
; %bb.16:                               ;   in Loop: Header=BB291_9 Depth=1
	s_or_b32 exec_lo, exec_lo, s0
	s_delay_alu instid0(SALU_CYCLE_1)
	s_mov_b32 s0, exec_lo
	v_cmpx_gt_u64_e64 s[2:3], v[25:26]
	s_cbranch_execnz .LBB291_21
.LBB291_17:                             ;   in Loop: Header=BB291_9 Depth=1
	s_or_b32 exec_lo, exec_lo, s0
	s_delay_alu instid0(SALU_CYCLE_1)
	s_mov_b32 s0, exec_lo
	v_cmpx_gt_u64_e64 s[2:3], v[27:28]
	s_cbranch_execnz .LBB291_22
.LBB291_18:                             ;   in Loop: Header=BB291_9 Depth=1
	s_or_b32 exec_lo, exec_lo, s0
	s_delay_alu instid0(SALU_CYCLE_1)
	s_mov_b32 s0, exec_lo
	v_cmpx_gt_u64_e64 s[2:3], v[29:30]
	s_cbranch_execnz .LBB291_23
.LBB291_19:                             ;   in Loop: Header=BB291_9 Depth=1
	s_or_b32 exec_lo, exec_lo, s0
	s_delay_alu instid0(SALU_CYCLE_1)
	s_mov_b32 s0, exec_lo
	v_cmpx_gt_u64_e64 s[2:3], v[31:32]
	s_cbranch_execz .LBB291_8
	s_branch .LBB291_24
.LBB291_20:                             ;   in Loop: Header=BB291_9 Depth=1
	s_waitcnt vmcnt(0)
	v_add_co_u32 v1, vcc_lo, s12, v21
	v_add_co_ci_u32_e32 v2, vcc_lo, s13, v22, vcc_lo
	global_load_b128 v[1:4], v[1:2], off offset:-8
	s_or_b32 exec_lo, exec_lo, s0
	s_delay_alu instid0(SALU_CYCLE_1)
	s_mov_b32 s0, exec_lo
	v_cmpx_gt_u64_e64 s[2:3], v[25:26]
	s_cbranch_execz .LBB291_17
.LBB291_21:                             ;   in Loop: Header=BB291_9 Depth=1
	s_waitcnt vmcnt(0)
	v_cvt_f32_f64_e32 v25, v[13:14]
	v_cvt_f32_f64_e32 v26, v[15:16]
	v_add_co_u32 v43, s10, s14, v19
	s_delay_alu instid0(VALU_DEP_1) | instskip(SKIP_2) | instid1(SALU_CYCLE_1)
	v_add_co_ci_u32_e64 v44, null, s15, 0, s10
	global_store_b64 v[43:44], v[25:26], off
	s_or_b32 exec_lo, exec_lo, s0
	s_mov_b32 s0, exec_lo
	v_cmpx_gt_u64_e64 s[2:3], v[27:28]
	s_cbranch_execz .LBB291_18
.LBB291_22:                             ;   in Loop: Header=BB291_9 Depth=1
	s_waitcnt vmcnt(0)
	v_cvt_f32_f64_e32 v25, v[9:10]
	v_cvt_f32_f64_e32 v26, v[11:12]
	v_add_co_u32 v27, s10, s14, v35
	s_delay_alu instid0(VALU_DEP_1) | instskip(SKIP_2) | instid1(SALU_CYCLE_1)
	v_add_co_ci_u32_e64 v28, null, s15, 0, s10
	global_store_b64 v[27:28], v[25:26], off
	s_or_b32 exec_lo, exec_lo, s0
	s_mov_b32 s0, exec_lo
	v_cmpx_gt_u64_e64 s[2:3], v[29:30]
	s_cbranch_execz .LBB291_19
.LBB291_23:                             ;   in Loop: Header=BB291_9 Depth=1
	s_waitcnt vmcnt(0)
	v_cvt_f32_f64_e32 v25, v[5:6]
	v_cvt_f32_f64_e32 v26, v[7:8]
	v_add_co_u32 v27, vcc_lo, s14, v39
	v_add_co_ci_u32_e32 v28, vcc_lo, s15, v40, vcc_lo
	global_store_b64 v[27:28], v[25:26], off
	s_or_b32 exec_lo, exec_lo, s0
	s_delay_alu instid0(SALU_CYCLE_1)
	s_mov_b32 s0, exec_lo
	v_cmpx_gt_u64_e64 s[2:3], v[31:32]
	s_cbranch_execz .LBB291_8
.LBB291_24:                             ;   in Loop: Header=BB291_9 Depth=1
	s_waitcnt vmcnt(0)
	v_cvt_f32_f64_e32 v25, v[1:2]
	v_cvt_f32_f64_e32 v26, v[3:4]
	v_add_co_u32 v27, vcc_lo, s14, v23
	v_add_co_ci_u32_e32 v28, vcc_lo, s15, v24, vcc_lo
	global_store_b64 v[27:28], v[25:26], off offset:-4
	s_branch .LBB291_8
.LBB291_25:
	s_nop 0
	s_sendmsg sendmsg(MSG_DEALLOC_VGPRS)
	s_endpgm
	.section	.rodata,"a",@progbits
	.p2align	6, 0x0
	.amdhsa_kernel _ZN2at6native12_GLOBAL__N_125multi_tensor_apply_kernelINS1_18TensorListMetadataILi2EEENS1_11CopyFunctorIN3c107complexIfEENS7_IdEELi2ELi1ELi1EEEJNS0_4CopyIS8_S9_EEEEEvT_T0_DpT1_
		.amdhsa_group_segment_fixed_size 0
		.amdhsa_private_segment_fixed_size 0
		.amdhsa_kernarg_size 3408
		.amdhsa_user_sgpr_count 15
		.amdhsa_user_sgpr_dispatch_ptr 0
		.amdhsa_user_sgpr_queue_ptr 0
		.amdhsa_user_sgpr_kernarg_segment_ptr 1
		.amdhsa_user_sgpr_dispatch_id 0
		.amdhsa_user_sgpr_private_segment_size 0
		.amdhsa_wavefront_size32 1
		.amdhsa_uses_dynamic_stack 0
		.amdhsa_enable_private_segment 0
		.amdhsa_system_sgpr_workgroup_id_x 1
		.amdhsa_system_sgpr_workgroup_id_y 0
		.amdhsa_system_sgpr_workgroup_id_z 0
		.amdhsa_system_sgpr_workgroup_info 0
		.amdhsa_system_vgpr_workitem_id 0
		.amdhsa_next_free_vgpr 45
		.amdhsa_next_free_sgpr 24
		.amdhsa_reserve_vcc 1
		.amdhsa_float_round_mode_32 0
		.amdhsa_float_round_mode_16_64 0
		.amdhsa_float_denorm_mode_32 3
		.amdhsa_float_denorm_mode_16_64 3
		.amdhsa_dx10_clamp 1
		.amdhsa_ieee_mode 1
		.amdhsa_fp16_overflow 0
		.amdhsa_workgroup_processor_mode 1
		.amdhsa_memory_ordered 1
		.amdhsa_forward_progress 0
		.amdhsa_shared_vgpr_count 0
		.amdhsa_exception_fp_ieee_invalid_op 0
		.amdhsa_exception_fp_denorm_src 0
		.amdhsa_exception_fp_ieee_div_zero 0
		.amdhsa_exception_fp_ieee_overflow 0
		.amdhsa_exception_fp_ieee_underflow 0
		.amdhsa_exception_fp_ieee_inexact 0
		.amdhsa_exception_int_div_zero 0
	.end_amdhsa_kernel
	.section	.text._ZN2at6native12_GLOBAL__N_125multi_tensor_apply_kernelINS1_18TensorListMetadataILi2EEENS1_11CopyFunctorIN3c107complexIfEENS7_IdEELi2ELi1ELi1EEEJNS0_4CopyIS8_S9_EEEEEvT_T0_DpT1_,"axG",@progbits,_ZN2at6native12_GLOBAL__N_125multi_tensor_apply_kernelINS1_18TensorListMetadataILi2EEENS1_11CopyFunctorIN3c107complexIfEENS7_IdEELi2ELi1ELi1EEEJNS0_4CopyIS8_S9_EEEEEvT_T0_DpT1_,comdat
.Lfunc_end291:
	.size	_ZN2at6native12_GLOBAL__N_125multi_tensor_apply_kernelINS1_18TensorListMetadataILi2EEENS1_11CopyFunctorIN3c107complexIfEENS7_IdEELi2ELi1ELi1EEEJNS0_4CopyIS8_S9_EEEEEvT_T0_DpT1_, .Lfunc_end291-_ZN2at6native12_GLOBAL__N_125multi_tensor_apply_kernelINS1_18TensorListMetadataILi2EEENS1_11CopyFunctorIN3c107complexIfEENS7_IdEELi2ELi1ELi1EEEJNS0_4CopyIS8_S9_EEEEEvT_T0_DpT1_
                                        ; -- End function
	.section	.AMDGPU.csdata,"",@progbits
; Kernel info:
; codeLenInByte = 1572
; NumSgprs: 26
; NumVgprs: 45
; ScratchSize: 0
; MemoryBound: 1
; FloatMode: 240
; IeeeMode: 1
; LDSByteSize: 0 bytes/workgroup (compile time only)
; SGPRBlocks: 3
; VGPRBlocks: 5
; NumSGPRsForWavesPerEU: 26
; NumVGPRsForWavesPerEU: 45
; Occupancy: 16
; WaveLimiterHint : 0
; COMPUTE_PGM_RSRC2:SCRATCH_EN: 0
; COMPUTE_PGM_RSRC2:USER_SGPR: 15
; COMPUTE_PGM_RSRC2:TRAP_HANDLER: 0
; COMPUTE_PGM_RSRC2:TGID_X_EN: 1
; COMPUTE_PGM_RSRC2:TGID_Y_EN: 0
; COMPUTE_PGM_RSRC2:TGID_Z_EN: 0
; COMPUTE_PGM_RSRC2:TIDIG_COMP_CNT: 0
	.section	.text._ZN2at6native12_GLOBAL__N_125multi_tensor_apply_kernelINS1_18TensorListMetadataILi2EEENS1_14UnaryOpFunctorIN3c107complexIfEELi2ELi1ELi1EEEJNS0_4CopyIS8_S8_EEEEEvT_T0_DpT1_,"axG",@progbits,_ZN2at6native12_GLOBAL__N_125multi_tensor_apply_kernelINS1_18TensorListMetadataILi2EEENS1_14UnaryOpFunctorIN3c107complexIfEELi2ELi1ELi1EEEJNS0_4CopyIS8_S8_EEEEEvT_T0_DpT1_,comdat
	.globl	_ZN2at6native12_GLOBAL__N_125multi_tensor_apply_kernelINS1_18TensorListMetadataILi2EEENS1_14UnaryOpFunctorIN3c107complexIfEELi2ELi1ELi1EEEJNS0_4CopyIS8_S8_EEEEEvT_T0_DpT1_ ; -- Begin function _ZN2at6native12_GLOBAL__N_125multi_tensor_apply_kernelINS1_18TensorListMetadataILi2EEENS1_14UnaryOpFunctorIN3c107complexIfEELi2ELi1ELi1EEEJNS0_4CopyIS8_S8_EEEEEvT_T0_DpT1_
	.p2align	8
	.type	_ZN2at6native12_GLOBAL__N_125multi_tensor_apply_kernelINS1_18TensorListMetadataILi2EEENS1_14UnaryOpFunctorIN3c107complexIfEELi2ELi1ELi1EEEJNS0_4CopyIS8_S8_EEEEEvT_T0_DpT1_,@function
_ZN2at6native12_GLOBAL__N_125multi_tensor_apply_kernelINS1_18TensorListMetadataILi2EEENS1_14UnaryOpFunctorIN3c107complexIfEELi2ELi1ELi1EEEJNS0_4CopyIS8_S8_EEEEEvT_T0_DpT1_: ; @_ZN2at6native12_GLOBAL__N_125multi_tensor_apply_kernelINS1_18TensorListMetadataILi2EEENS1_14UnaryOpFunctorIN3c107complexIfEELi2ELi1ELi1EEEJNS0_4CopyIS8_S8_EEEEEvT_T0_DpT1_
; %bb.0:
	v_mov_b32_e32 v1, s15
	s_add_u32 s2, s0, s15
	s_mul_hi_u32 s3, s15, 3
	s_mul_i32 s15, s15, 3
	s_addc_u32 s4, s1, 0
	global_load_u8 v1, v1, s[0:1] offset:1536
	s_add_u32 s2, s2, s15
	s_addc_u32 s3, s4, s3
	s_mov_b32 s17, 0
	s_load_b32 s2, s[2:3], 0x740
	s_mov_b32 s19, s17
	s_mov_b32 s21, s17
	s_waitcnt vmcnt(0)
	v_readfirstlane_b32 s5, v1
	s_delay_alu instid0(VALU_DEP_1)
	s_lshl_b32 s3, s5, 3
	s_clause 0x2
	s_load_b64 s[12:13], s[0:1], s3 offset:0x0
	s_load_b64 s[14:15], s[0:1], s3 offset:0x200
	;; [unrolled: 1-line block ×3, first 2 shown]
	s_waitcnt lgkmcnt(0)
	s_ashr_i32 s3, s2, 31
	s_delay_alu instid0(SALU_CYCLE_1) | instskip(NEXT) | instid1(SALU_CYCLE_1)
	s_lshl_b64 s[4:5], s[2:3], 19
	s_add_u32 s8, s12, s4
	s_addc_u32 s9, s13, s5
	s_add_u32 s10, s14, s4
	s_addc_u32 s11, s15, s5
	s_and_b32 s18, s8, 31
	s_and_b32 s20, s6, 3
	s_and_b32 s16, s10, 31
	s_or_b64 s[18:19], s[18:19], s[20:21]
	s_lshl_b64 s[2:3], s[2:3], 16
	s_or_b64 s[16:17], s[16:17], s[18:19]
	s_sub_u32 s6, s6, s2
	s_subb_u32 s7, s7, s3
	s_cmp_eq_u64 s[16:17], 0
	s_mov_b32 s2, -1
	s_cbranch_scc0 .LBB292_5
; %bb.1:
	v_dual_mov_b32 v2, 0 :: v_dual_lshlrev_b32 v1, 2, v0
	s_mov_b32 s16, exec_lo
	s_delay_alu instid0(VALU_DEP_1)
	v_cmpx_gt_i64_e64 s[6:7], v[1:2]
	s_cbranch_execz .LBB292_4
; %bb.2:
	s_load_b32 s2, s[0:1], 0xc5c
	v_lshlrev_b32_e32 v3, 5, v0
	s_mov_b32 s17, 0
	s_waitcnt lgkmcnt(0)
	s_and_b32 s2, s2, 0xffff
	s_delay_alu instid0(SALU_CYCLE_1)
	v_add_lshl_u32 v1, v0, s2, 2
	s_lshl_b32 s18, s2, 2
	s_lshl_b32 s19, s2, 5
	s_set_inst_prefetch_distance 0x1
	.p2align	6
.LBB292_3:                              ; =>This Inner Loop Header: Depth=1
	v_add_co_u32 v8, s2, s8, v3
	s_delay_alu instid0(VALU_DEP_1)
	v_add_co_ci_u32_e64 v9, null, s9, 0, s2
	v_cmp_le_i64_e32 vcc_lo, s[6:7], v[1:2]
	v_cmp_lt_u64_e64 s2, 0xffff, v[1:2]
	v_add_co_u32 v12, s3, s10, v3
	s_clause 0x1
	global_load_b128 v[4:7], v[8:9], off
	global_load_b128 v[8:11], v[8:9], off offset:16
	v_add_co_ci_u32_e64 v13, null, s11, 0, s3
	s_or_b32 s2, vcc_lo, s2
	s_add_u32 s8, s8, s19
	v_add_co_u32 v1, s3, v1, s18
	s_addc_u32 s9, s9, 0
	s_add_u32 s10, s10, s19
	v_add_co_ci_u32_e64 v2, s3, 0, v2, s3
	s_addc_u32 s11, s11, 0
	s_and_b32 s2, exec_lo, s2
	s_waitcnt vmcnt(1)
	global_store_b128 v[12:13], v[4:7], off
	s_waitcnt vmcnt(0)
	global_store_b128 v[12:13], v[8:11], off offset:16
	s_or_b32 s17, s2, s17
	s_delay_alu instid0(SALU_CYCLE_1)
	s_and_not1_b32 exec_lo, exec_lo, s17
	s_cbranch_execnz .LBB292_3
.LBB292_4:
	s_set_inst_prefetch_distance 0x2
	s_or_b32 exec_lo, exec_lo, s16
	s_mov_b32 s2, 0
.LBB292_5:
	s_delay_alu instid0(SALU_CYCLE_1)
	s_and_not1_b32 vcc_lo, exec_lo, s2
	s_cbranch_vccnz .LBB292_25
; %bb.6:
	v_cmp_lt_i64_e64 s2, s[6:7], 1
	s_delay_alu instid0(VALU_DEP_1)
	s_and_b32 vcc_lo, exec_lo, s2
	s_cbranch_vccnz .LBB292_25
; %bb.7:
	s_load_b32 s0, s[0:1], 0xc5c
	v_mov_b32_e32 v1, 0
	v_lshl_or_b32 v2, v0, 3, 4
	v_cmp_gt_u64_e64 s1, 0x10000, s[6:7]
	s_mov_b32 s9, 0
	s_delay_alu instid0(VALU_DEP_3) | instskip(NEXT) | instid1(VALU_DEP_3)
	v_mov_b32_e32 v3, v1
	v_add_co_u32 v10, s2, s12, v2
	s_delay_alu instid0(VALU_DEP_1) | instskip(SKIP_1) | instid1(VALU_DEP_1)
	v_add_co_ci_u32_e64 v11, null, s13, 0, s2
	v_add_co_u32 v12, s2, s14, v2
	v_add_co_ci_u32_e64 v13, null, s15, 0, s2
	s_waitcnt lgkmcnt(0)
	s_and_b32 s16, s0, 0xffff
	s_and_b32 s0, s1, exec_lo
	v_add_lshl_u32 v6, v0, s16, 3
	v_mad_u64_u32 v[4:5], null, s16, 24, v[2:3]
	s_cselect_b32 s11, s7, 0
	s_cselect_b32 s10, s6, 0x10000
	s_delay_alu instid0(VALU_DEP_2) | instskip(NEXT) | instid1(VALU_DEP_1)
	v_add_co_u32 v14, s0, s14, v6
	v_add_co_ci_u32_e64 v15, null, s15, 0, s0
	v_add_co_u32 v18, s0, s12, v6
	s_delay_alu instid0(VALU_DEP_1)
	v_add_co_ci_u32_e64 v19, null, s13, 0, s0
	s_lshl_b32 s0, s16, 4
	v_add_co_u32 v16, vcc_lo, s12, v4
	v_add_co_u32 v2, s0, v2, s0
	v_add_co_ci_u32_e32 v17, vcc_lo, s13, v5, vcc_lo
	v_add_co_ci_u32_e64 v3, null, 0, 0, s0
	v_add_co_u32 v20, vcc_lo, s14, v4
	v_add_co_ci_u32_e32 v21, vcc_lo, s15, v5, vcc_lo
	v_add_co_u32 v22, vcc_lo, s12, v2
	s_delay_alu instid0(VALU_DEP_4)
	v_add_co_ci_u32_e32 v23, vcc_lo, s13, v3, vcc_lo
	v_add_co_u32 v24, vcc_lo, s14, v2
	v_add_co_ci_u32_e32 v25, vcc_lo, s15, v3, vcc_lo
	s_lshl_b32 s8, s16, 2
	s_lshl_b32 s17, s16, 1
	s_mul_i32 s18, s16, 3
	s_lshl_b32 s14, s16, 5
	s_mov_b64 s[12:13], s[8:9]
	s_branch .LBB292_9
.LBB292_8:                              ;   in Loop: Header=BB292_9 Depth=1
	s_or_b32 exec_lo, exec_lo, s0
	v_add_co_u32 v0, vcc_lo, v0, s8
	v_add_co_ci_u32_e32 v1, vcc_lo, 0, v1, vcc_lo
	v_add_co_u32 v10, vcc_lo, v10, s14
	v_add_co_ci_u32_e32 v11, vcc_lo, 0, v11, vcc_lo
	;; [unrolled: 2-line block ×7, first 2 shown]
	v_cmp_ge_i64_e64 s0, s[12:13], s[6:7]
	v_cmp_lt_u64_e64 s1, 0xffff, s[12:13]
	v_add_co_u32 v22, vcc_lo, v22, s14
	v_add_co_ci_u32_e32 v23, vcc_lo, 0, v23, vcc_lo
	v_add_co_u32 v24, vcc_lo, v24, s14
	v_add_co_ci_u32_e32 v25, vcc_lo, 0, v25, vcc_lo
	s_or_b32 s0, s0, s1
	s_add_u32 s12, s12, s8
	s_addc_u32 s13, s13, 0
	s_and_b32 vcc_lo, exec_lo, s0
	s_cbranch_vccnz .LBB292_25
.LBB292_9:                              ; =>This Inner Loop Header: Depth=1
	v_cmp_gt_u64_e32 vcc_lo, s[10:11], v[0:1]
	s_waitcnt vmcnt(0)
	v_dual_mov_b32 v5, 0 :: v_dual_mov_b32 v4, 0
	s_and_saveexec_b32 s1, vcc_lo
	s_cbranch_execz .LBB292_11
; %bb.10:                               ;   in Loop: Header=BB292_9 Depth=1
	v_add_co_u32 v2, s0, v10, s4
	s_delay_alu instid0(VALU_DEP_1)
	v_add_co_ci_u32_e64 v3, s0, s5, v11, s0
	global_load_b64 v[4:5], v[2:3], off offset:-4
.LBB292_11:                             ;   in Loop: Header=BB292_9 Depth=1
	s_or_b32 exec_lo, exec_lo, s1
	v_add_co_u32 v6, s0, s16, v0
	s_delay_alu instid0(VALU_DEP_1) | instskip(SKIP_1) | instid1(VALU_DEP_2)
	v_add_co_ci_u32_e64 v7, s0, 0, v1, s0
	v_mov_b32_e32 v3, 0
	v_cmp_gt_u64_e64 s0, s[10:11], v[6:7]
	v_dual_mov_b32 v6, 0 :: v_dual_mov_b32 v7, 0
	s_delay_alu instid0(VALU_DEP_2)
	s_and_saveexec_b32 s2, s0
	s_cbranch_execz .LBB292_13
; %bb.12:                               ;   in Loop: Header=BB292_9 Depth=1
	v_add_co_u32 v6, s1, v18, s4
	s_delay_alu instid0(VALU_DEP_1)
	v_add_co_ci_u32_e64 v7, s1, s5, v19, s1
	global_load_b64 v[6:7], v[6:7], off
.LBB292_13:                             ;   in Loop: Header=BB292_9 Depth=1
	s_or_b32 exec_lo, exec_lo, s2
	v_add_co_u32 v8, s1, s17, v0
	s_delay_alu instid0(VALU_DEP_1) | instskip(SKIP_1) | instid1(VALU_DEP_2)
	v_add_co_ci_u32_e64 v9, s1, 0, v1, s1
	v_mov_b32_e32 v2, 0
	v_cmp_gt_u64_e64 s1, s[10:11], v[8:9]
	s_delay_alu instid0(VALU_DEP_1)
	s_and_saveexec_b32 s3, s1
	s_cbranch_execz .LBB292_15
; %bb.14:                               ;   in Loop: Header=BB292_9 Depth=1
	v_add_co_u32 v2, s2, v22, s4
	s_delay_alu instid0(VALU_DEP_1)
	v_add_co_ci_u32_e64 v3, s2, s5, v23, s2
	global_load_b64 v[2:3], v[2:3], off offset:-4
.LBB292_15:                             ;   in Loop: Header=BB292_9 Depth=1
	s_or_b32 exec_lo, exec_lo, s3
	v_add_co_u32 v8, s2, s18, v0
	s_delay_alu instid0(VALU_DEP_1) | instskip(NEXT) | instid1(VALU_DEP_1)
	v_add_co_ci_u32_e64 v9, s2, 0, v1, s2
	v_cmp_gt_u64_e64 s2, s[10:11], v[8:9]
	v_dual_mov_b32 v9, 0 :: v_dual_mov_b32 v8, 0
	s_delay_alu instid0(VALU_DEP_2)
	s_and_saveexec_b32 s9, s2
	s_cbranch_execnz .LBB292_20
; %bb.16:                               ;   in Loop: Header=BB292_9 Depth=1
	s_or_b32 exec_lo, exec_lo, s9
	s_and_saveexec_b32 s3, vcc_lo
	s_cbranch_execnz .LBB292_21
.LBB292_17:                             ;   in Loop: Header=BB292_9 Depth=1
	s_or_b32 exec_lo, exec_lo, s3
	s_and_saveexec_b32 s3, s0
	s_cbranch_execnz .LBB292_22
.LBB292_18:                             ;   in Loop: Header=BB292_9 Depth=1
	s_or_b32 exec_lo, exec_lo, s3
	s_and_saveexec_b32 s0, s1
	s_cbranch_execnz .LBB292_23
.LBB292_19:                             ;   in Loop: Header=BB292_9 Depth=1
	s_or_b32 exec_lo, exec_lo, s0
	s_and_saveexec_b32 s0, s2
	s_cbranch_execz .LBB292_8
	s_branch .LBB292_24
.LBB292_20:                             ;   in Loop: Header=BB292_9 Depth=1
	v_add_co_u32 v8, s3, v16, s4
	s_delay_alu instid0(VALU_DEP_1)
	v_add_co_ci_u32_e64 v9, s3, s5, v17, s3
	global_load_b64 v[8:9], v[8:9], off offset:-4
	s_or_b32 exec_lo, exec_lo, s9
	s_and_saveexec_b32 s3, vcc_lo
	s_cbranch_execz .LBB292_17
.LBB292_21:                             ;   in Loop: Header=BB292_9 Depth=1
	v_add_co_u32 v26, vcc_lo, v12, s4
	v_add_co_ci_u32_e32 v27, vcc_lo, s5, v13, vcc_lo
	s_waitcnt vmcnt(0)
	global_store_b64 v[26:27], v[4:5], off offset:-4
	s_or_b32 exec_lo, exec_lo, s3
	s_and_saveexec_b32 s3, s0
	s_cbranch_execz .LBB292_18
.LBB292_22:                             ;   in Loop: Header=BB292_9 Depth=1
	s_waitcnt vmcnt(0)
	v_add_co_u32 v4, vcc_lo, v14, s4
	v_add_co_ci_u32_e32 v5, vcc_lo, s5, v15, vcc_lo
	global_store_b64 v[4:5], v[6:7], off
	s_or_b32 exec_lo, exec_lo, s3
	s_and_saveexec_b32 s0, s1
	s_cbranch_execz .LBB292_19
.LBB292_23:                             ;   in Loop: Header=BB292_9 Depth=1
	s_waitcnt vmcnt(0)
	v_add_co_u32 v4, vcc_lo, v24, s4
	v_add_co_ci_u32_e32 v5, vcc_lo, s5, v25, vcc_lo
	global_store_b64 v[4:5], v[2:3], off offset:-4
	s_or_b32 exec_lo, exec_lo, s0
	s_and_saveexec_b32 s0, s2
	s_cbranch_execz .LBB292_8
.LBB292_24:                             ;   in Loop: Header=BB292_9 Depth=1
	s_waitcnt vmcnt(0)
	v_add_co_u32 v2, vcc_lo, v20, s4
	v_add_co_ci_u32_e32 v3, vcc_lo, s5, v21, vcc_lo
	global_store_b64 v[2:3], v[8:9], off offset:-4
	s_branch .LBB292_8
.LBB292_25:
	s_nop 0
	s_sendmsg sendmsg(MSG_DEALLOC_VGPRS)
	s_endpgm
	.section	.rodata,"a",@progbits
	.p2align	6, 0x0
	.amdhsa_kernel _ZN2at6native12_GLOBAL__N_125multi_tensor_apply_kernelINS1_18TensorListMetadataILi2EEENS1_14UnaryOpFunctorIN3c107complexIfEELi2ELi1ELi1EEEJNS0_4CopyIS8_S8_EEEEEvT_T0_DpT1_
		.amdhsa_group_segment_fixed_size 0
		.amdhsa_private_segment_fixed_size 0
		.amdhsa_kernarg_size 3408
		.amdhsa_user_sgpr_count 15
		.amdhsa_user_sgpr_dispatch_ptr 0
		.amdhsa_user_sgpr_queue_ptr 0
		.amdhsa_user_sgpr_kernarg_segment_ptr 1
		.amdhsa_user_sgpr_dispatch_id 0
		.amdhsa_user_sgpr_private_segment_size 0
		.amdhsa_wavefront_size32 1
		.amdhsa_uses_dynamic_stack 0
		.amdhsa_enable_private_segment 0
		.amdhsa_system_sgpr_workgroup_id_x 1
		.amdhsa_system_sgpr_workgroup_id_y 0
		.amdhsa_system_sgpr_workgroup_id_z 0
		.amdhsa_system_sgpr_workgroup_info 0
		.amdhsa_system_vgpr_workitem_id 0
		.amdhsa_next_free_vgpr 28
		.amdhsa_next_free_sgpr 22
		.amdhsa_reserve_vcc 1
		.amdhsa_float_round_mode_32 0
		.amdhsa_float_round_mode_16_64 0
		.amdhsa_float_denorm_mode_32 3
		.amdhsa_float_denorm_mode_16_64 3
		.amdhsa_dx10_clamp 1
		.amdhsa_ieee_mode 1
		.amdhsa_fp16_overflow 0
		.amdhsa_workgroup_processor_mode 1
		.amdhsa_memory_ordered 1
		.amdhsa_forward_progress 0
		.amdhsa_shared_vgpr_count 0
		.amdhsa_exception_fp_ieee_invalid_op 0
		.amdhsa_exception_fp_denorm_src 0
		.amdhsa_exception_fp_ieee_div_zero 0
		.amdhsa_exception_fp_ieee_overflow 0
		.amdhsa_exception_fp_ieee_underflow 0
		.amdhsa_exception_fp_ieee_inexact 0
		.amdhsa_exception_int_div_zero 0
	.end_amdhsa_kernel
	.section	.text._ZN2at6native12_GLOBAL__N_125multi_tensor_apply_kernelINS1_18TensorListMetadataILi2EEENS1_14UnaryOpFunctorIN3c107complexIfEELi2ELi1ELi1EEEJNS0_4CopyIS8_S8_EEEEEvT_T0_DpT1_,"axG",@progbits,_ZN2at6native12_GLOBAL__N_125multi_tensor_apply_kernelINS1_18TensorListMetadataILi2EEENS1_14UnaryOpFunctorIN3c107complexIfEELi2ELi1ELi1EEEJNS0_4CopyIS8_S8_EEEEEvT_T0_DpT1_,comdat
.Lfunc_end292:
	.size	_ZN2at6native12_GLOBAL__N_125multi_tensor_apply_kernelINS1_18TensorListMetadataILi2EEENS1_14UnaryOpFunctorIN3c107complexIfEELi2ELi1ELi1EEEJNS0_4CopyIS8_S8_EEEEEvT_T0_DpT1_, .Lfunc_end292-_ZN2at6native12_GLOBAL__N_125multi_tensor_apply_kernelINS1_18TensorListMetadataILi2EEENS1_14UnaryOpFunctorIN3c107complexIfEELi2ELi1ELi1EEEJNS0_4CopyIS8_S8_EEEEEvT_T0_DpT1_
                                        ; -- End function
	.section	.AMDGPU.csdata,"",@progbits
; Kernel info:
; codeLenInByte = 1368
; NumSgprs: 24
; NumVgprs: 28
; ScratchSize: 0
; MemoryBound: 0
; FloatMode: 240
; IeeeMode: 1
; LDSByteSize: 0 bytes/workgroup (compile time only)
; SGPRBlocks: 2
; VGPRBlocks: 3
; NumSGPRsForWavesPerEU: 24
; NumVGPRsForWavesPerEU: 28
; Occupancy: 16
; WaveLimiterHint : 0
; COMPUTE_PGM_RSRC2:SCRATCH_EN: 0
; COMPUTE_PGM_RSRC2:USER_SGPR: 15
; COMPUTE_PGM_RSRC2:TRAP_HANDLER: 0
; COMPUTE_PGM_RSRC2:TGID_X_EN: 1
; COMPUTE_PGM_RSRC2:TGID_Y_EN: 0
; COMPUTE_PGM_RSRC2:TGID_Z_EN: 0
; COMPUTE_PGM_RSRC2:TIDIG_COMP_CNT: 0
	.section	.text._ZN2at6native12_GLOBAL__N_125multi_tensor_apply_kernelINS1_18TensorListMetadataILi2EEENS1_11CopyFunctorIN3c107complexIfEENS6_4HalfELi2ELi1ELi1EEEJNS0_4CopyIS8_S9_EEEEEvT_T0_DpT1_,"axG",@progbits,_ZN2at6native12_GLOBAL__N_125multi_tensor_apply_kernelINS1_18TensorListMetadataILi2EEENS1_11CopyFunctorIN3c107complexIfEENS6_4HalfELi2ELi1ELi1EEEJNS0_4CopyIS8_S9_EEEEEvT_T0_DpT1_,comdat
	.globl	_ZN2at6native12_GLOBAL__N_125multi_tensor_apply_kernelINS1_18TensorListMetadataILi2EEENS1_11CopyFunctorIN3c107complexIfEENS6_4HalfELi2ELi1ELi1EEEJNS0_4CopyIS8_S9_EEEEEvT_T0_DpT1_ ; -- Begin function _ZN2at6native12_GLOBAL__N_125multi_tensor_apply_kernelINS1_18TensorListMetadataILi2EEENS1_11CopyFunctorIN3c107complexIfEENS6_4HalfELi2ELi1ELi1EEEJNS0_4CopyIS8_S9_EEEEEvT_T0_DpT1_
	.p2align	8
	.type	_ZN2at6native12_GLOBAL__N_125multi_tensor_apply_kernelINS1_18TensorListMetadataILi2EEENS1_11CopyFunctorIN3c107complexIfEENS6_4HalfELi2ELi1ELi1EEEJNS0_4CopyIS8_S9_EEEEEvT_T0_DpT1_,@function
_ZN2at6native12_GLOBAL__N_125multi_tensor_apply_kernelINS1_18TensorListMetadataILi2EEENS1_11CopyFunctorIN3c107complexIfEENS6_4HalfELi2ELi1ELi1EEEJNS0_4CopyIS8_S9_EEEEEvT_T0_DpT1_: ; @_ZN2at6native12_GLOBAL__N_125multi_tensor_apply_kernelINS1_18TensorListMetadataILi2EEENS1_11CopyFunctorIN3c107complexIfEENS6_4HalfELi2ELi1ELi1EEEJNS0_4CopyIS8_S9_EEEEEvT_T0_DpT1_
; %bb.0:
	v_mov_b32_e32 v1, s15
	s_add_u32 s2, s0, s15
	s_mul_hi_u32 s3, s15, 3
	s_mul_i32 s15, s15, 3
	s_addc_u32 s4, s1, 0
	global_load_u8 v1, v1, s[0:1] offset:1536
	s_add_u32 s2, s2, s15
	s_addc_u32 s3, s4, s3
	s_mov_b32 s15, 0
	s_load_b32 s8, s[2:3], 0x740
	s_mov_b32 s19, s15
	s_waitcnt lgkmcnt(0)
	s_ashr_i32 s9, s8, 31
	s_delay_alu instid0(SALU_CYCLE_1) | instskip(SKIP_3) | instid1(VALU_DEP_1)
	s_lshl_b64 s[10:11], s[8:9], 19
	s_lshl_b64 s[16:17], s[8:9], 16
	s_waitcnt vmcnt(0)
	v_readfirstlane_b32 s5, v1
	s_lshl_b32 s6, s5, 3
	s_clause 0x2
	s_load_b64 s[2:3], s[0:1], s6 offset:0x200
	s_load_b64 s[4:5], s[0:1], s6 offset:0x400
	;; [unrolled: 1-line block ×3, first 2 shown]
	s_waitcnt lgkmcnt(0)
	s_add_u32 s12, s2, s10
	s_addc_u32 s13, s3, s11
	s_and_b32 s18, s4, 3
	s_and_b32 s14, s12, 31
	;; [unrolled: 1-line block ×3, first 2 shown]
	s_or_b64 s[14:15], s[14:15], s[18:19]
	s_delay_alu instid0(SALU_CYCLE_1)
	s_or_b32 s14, s14, s20
	s_sub_u32 s4, s4, s16
	s_subb_u32 s5, s5, s17
	s_cmp_eq_u64 s[14:15], 0
	s_mov_b32 s14, -1
	s_cbranch_scc0 .LBB293_5
; %bb.1:
	v_dual_mov_b32 v2, 0 :: v_dual_lshlrev_b32 v1, 2, v0
	s_mov_b32 s14, exec_lo
	s_delay_alu instid0(VALU_DEP_1)
	v_cmpx_gt_i64_e64 s[4:5], v[1:2]
	s_cbranch_execz .LBB293_4
; %bb.2:
	s_load_b32 s15, s[0:1], 0xc5c
	s_lshl_b64 s[16:17], s[8:9], 17
	s_waitcnt lgkmcnt(0)
	s_and_b32 s18, s15, 0xffff
	s_delay_alu instid0(SALU_CYCLE_1)
	v_add_lshl_u32 v1, v0, s18, 2
	v_dual_mov_b32 v10, v2 :: v_dual_lshlrev_b32 v3, 3, v0
	s_lshl_b32 s15, s18, 2
	s_add_u32 s19, s6, s16
	s_addc_u32 s17, s7, s17
	s_lshl_b32 s16, s18, 3
	v_dual_mov_b32 v9, v1 :: v_dual_lshlrev_b32 v4, 5, v0
	s_add_u32 s2, s2, s10
	v_add_co_u32 v3, s10, s19, v3
	s_delay_alu instid0(VALU_DEP_1) | instskip(SKIP_2) | instid1(VALU_DEP_3)
	v_add_co_ci_u32_e64 v8, null, s17, 0, s10
	s_addc_u32 s3, s3, s11
	v_add_co_u32 v5, s2, s2, v4
	v_add_co_u32 v7, vcc_lo, v3, 4
	v_add_co_ci_u32_e64 v6, null, s3, 0, s2
	v_add_co_ci_u32_e32 v8, vcc_lo, 0, v8, vcc_lo
	s_mov_b32 s10, 0
	s_lshl_b32 s11, s18, 5
	s_set_inst_prefetch_distance 0x1
	.p2align	6
.LBB293_3:                              ; =>This Inner Loop Header: Depth=1
	global_load_b64 v[15:16], v[7:8], off offset:-4
	v_cmp_le_i64_e32 vcc_lo, s[4:5], v[9:10]
	v_cmp_lt_u64_e64 s2, 0xffff, v[9:10]
	v_mov_b32_e32 v4, v2
	v_mov_b32_e32 v12, v2
	;; [unrolled: 1-line block ×3, first 2 shown]
	v_add_co_u32 v9, s3, v9, s15
	s_delay_alu instid0(VALU_DEP_1) | instskip(SKIP_4) | instid1(SALU_CYCLE_1)
	v_add_co_ci_u32_e64 v10, s3, 0, v10, s3
	v_add_co_u32 v7, s3, v7, s16
	s_or_b32 s2, vcc_lo, s2
	v_add_co_ci_u32_e64 v8, s3, 0, v8, s3
	s_and_b32 s2, exec_lo, s2
	s_or_b32 s10, s2, s10
	s_waitcnt vmcnt(0)
	v_lshrrev_b32_e32 v3, 16, v15
	v_lshrrev_b32_e32 v13, 16, v16
	v_cvt_f32_f16_e32 v1, v15
	v_cvt_f32_f16_e32 v11, v16
	s_delay_alu instid0(VALU_DEP_4) | instskip(NEXT) | instid1(VALU_DEP_4)
	v_cvt_f32_f16_e32 v3, v3
	v_cvt_f32_f16_e32 v13, v13
	s_clause 0x1
	global_store_b128 v[5:6], v[1:4], off
	global_store_b128 v[5:6], v[11:14], off offset:16
	v_add_co_u32 v5, vcc_lo, v5, s11
	v_add_co_ci_u32_e32 v6, vcc_lo, 0, v6, vcc_lo
	s_and_not1_b32 exec_lo, exec_lo, s10
	s_cbranch_execnz .LBB293_3
.LBB293_4:
	s_set_inst_prefetch_distance 0x2
	s_or_b32 exec_lo, exec_lo, s14
	s_mov_b32 s14, 0
.LBB293_5:
	s_delay_alu instid0(SALU_CYCLE_1)
	s_and_not1_b32 vcc_lo, exec_lo, s14
	s_cbranch_vccnz .LBB293_25
; %bb.6:
	v_cmp_lt_i64_e64 s2, s[4:5], 1
	s_delay_alu instid0(VALU_DEP_1)
	s_and_b32 vcc_lo, exec_lo, s2
	s_cbranch_vccnz .LBB293_25
; %bb.7:
	s_load_b32 s0, s[0:1], 0xc5c
	v_cmp_gt_u64_e64 s1, 0x10000, s[4:5]
	v_dual_mov_b32 v2, 0 :: v_dual_lshlrev_b32 v1, 1, v0
	v_lshlrev_b32_e32 v3, 3, v0
                                        ; implicit-def: $vgpr29
                                        ; implicit-def: $vgpr30
                                        ; implicit-def: $vgpr27
                                        ; implicit-def: $vgpr28
	s_delay_alu instid0(VALU_DEP_2)
	v_mov_b32_e32 v4, v2
	s_waitcnt lgkmcnt(0)
	s_and_b32 s0, s0, 0xffff
	s_and_b32 s1, s1, exec_lo
	s_cselect_b32 s3, s5, 0
	s_cselect_b32 s2, s4, 0x10000
	s_lshl_b64 s[8:9], s[8:9], 17
	s_lshl_b32 s10, s0, 1
	s_lshl_b32 s1, s0, 2
	s_mul_i32 s11, s0, 3
	s_add_u32 s6, s6, s8
	v_mad_u64_u32 v[5:6], null, s0, 24, v[3:4]
	v_add_co_u32 v4, s8, s11, v0
	s_addc_u32 s7, s7, s9
	v_add_co_u32 v7, s11, s6, v1
	s_delay_alu instid0(VALU_DEP_1) | instskip(SKIP_3) | instid1(VALU_DEP_2)
	v_add_co_ci_u32_e64 v8, null, s7, 0, s11
	v_add_co_u32 v20, s11, v0, s0
	s_lshl_b32 s9, s0, 4
	v_add_co_ci_u32_e64 v19, null, 0, 0, s8
	v_lshlrev_b32_e32 v1, 1, v20
	v_add_co_u32 v21, s9, s9, v3
	s_delay_alu instid0(VALU_DEP_1) | instskip(SKIP_1) | instid1(VALU_DEP_4)
	v_add_co_ci_u32_e64 v22, null, 0, 0, s9
	v_add_co_u32 v24, s9, s10, v0
	v_add_co_u32 v9, s6, s6, v1
	v_add_co_ci_u32_e64 v23, null, 0, 0, s11
	v_add_co_ci_u32_e64 v25, null, 0, 0, s9
	v_add_co_ci_u32_e64 v10, null, s7, 0, s6
	v_lshlrev_b32_e32 v26, 3, v20
	s_lshl_b32 s8, s0, 3
	s_lshl_b32 s9, s0, 5
	s_mul_i32 s10, s0, 6
	s_mov_b64 s[6:7], 0
	s_branch .LBB293_9
.LBB293_8:                              ;   in Loop: Header=BB293_9 Depth=1
	s_or_b32 exec_lo, exec_lo, s0
	s_add_u32 s6, s6, s1
	s_addc_u32 s7, s7, 0
	v_add_co_u32 v7, vcc_lo, v7, s8
	v_cmp_ge_i64_e64 s0, s[6:7], s[4:5]
	v_cmp_lt_u64_e64 s11, 0xffff, s[6:7]
	v_add_co_ci_u32_e32 v8, vcc_lo, 0, v8, vcc_lo
	v_add_co_u32 v9, vcc_lo, v9, s8
	v_add_co_ci_u32_e32 v10, vcc_lo, 0, v10, vcc_lo
	s_delay_alu instid0(VALU_DEP_4)
	s_or_b32 s0, s0, s11
	s_add_u32 s12, s12, s9
	s_addc_u32 s13, s13, 0
	s_and_b32 vcc_lo, exec_lo, s0
	s_cbranch_vccnz .LBB293_25
.LBB293_9:                              ; =>This Inner Loop Header: Depth=1
	v_add_co_u32 v11, s0, v0, s6
	s_delay_alu instid0(VALU_DEP_1) | instskip(NEXT) | instid1(VALU_DEP_1)
	v_add_co_ci_u32_e64 v12, null, 0, s7, s0
	v_cmp_gt_i64_e32 vcc_lo, s[4:5], v[11:12]
	v_cmp_gt_u64_e64 s0, 0x10000, v[11:12]
	s_delay_alu instid0(VALU_DEP_1) | instskip(NEXT) | instid1(SALU_CYCLE_1)
	s_and_b32 s11, vcc_lo, s0
	s_and_saveexec_b32 s0, s11
	s_cbranch_execz .LBB293_11
; %bb.10:                               ;   in Loop: Header=BB293_9 Depth=1
	global_load_u16 v28, v[7:8], off
.LBB293_11:                             ;   in Loop: Header=BB293_9 Depth=1
	s_or_b32 exec_lo, exec_lo, s0
	v_add_co_u32 v13, vcc_lo, v20, s6
	v_add_co_ci_u32_e32 v14, vcc_lo, s7, v23, vcc_lo
	s_delay_alu instid0(VALU_DEP_1) | instskip(SKIP_1) | instid1(VALU_DEP_1)
	v_cmp_gt_i64_e32 vcc_lo, s[4:5], v[13:14]
	v_cmp_gt_u64_e64 s0, 0x10000, v[13:14]
	s_and_b32 s11, vcc_lo, s0
	s_delay_alu instid0(SALU_CYCLE_1)
	s_and_saveexec_b32 s0, s11
	s_cbranch_execz .LBB293_13
; %bb.12:                               ;   in Loop: Header=BB293_9 Depth=1
	global_load_u16 v27, v[9:10], off
.LBB293_13:                             ;   in Loop: Header=BB293_9 Depth=1
	s_or_b32 exec_lo, exec_lo, s0
	v_add_co_u32 v15, vcc_lo, v24, s6
	v_add_co_ci_u32_e32 v16, vcc_lo, s7, v25, vcc_lo
	s_delay_alu instid0(VALU_DEP_1) | instskip(SKIP_1) | instid1(VALU_DEP_1)
	v_cmp_gt_i64_e32 vcc_lo, s[4:5], v[15:16]
	v_cmp_gt_u64_e64 s0, 0x10000, v[15:16]
	s_and_b32 s11, vcc_lo, s0
	s_delay_alu instid0(SALU_CYCLE_1)
	s_and_saveexec_b32 s0, s11
	s_cbranch_execz .LBB293_15
; %bb.14:                               ;   in Loop: Header=BB293_9 Depth=1
	v_add_co_u32 v17, vcc_lo, v7, s1
	v_add_co_ci_u32_e32 v18, vcc_lo, 0, v8, vcc_lo
	global_load_u16 v30, v[17:18], off
.LBB293_15:                             ;   in Loop: Header=BB293_9 Depth=1
	s_or_b32 exec_lo, exec_lo, s0
	v_add_co_u32 v17, vcc_lo, v4, s6
	v_add_co_ci_u32_e32 v18, vcc_lo, s7, v19, vcc_lo
	s_delay_alu instid0(VALU_DEP_1) | instskip(SKIP_1) | instid1(VALU_DEP_1)
	v_cmp_gt_i64_e32 vcc_lo, s[4:5], v[17:18]
	v_cmp_gt_u64_e64 s0, 0x10000, v[17:18]
	s_and_b32 s11, vcc_lo, s0
	s_delay_alu instid0(SALU_CYCLE_1)
	s_and_saveexec_b32 s0, s11
	s_cbranch_execnz .LBB293_20
; %bb.16:                               ;   in Loop: Header=BB293_9 Depth=1
	s_or_b32 exec_lo, exec_lo, s0
	s_delay_alu instid0(SALU_CYCLE_1)
	s_mov_b32 s0, exec_lo
	v_cmpx_gt_u64_e64 s[2:3], v[11:12]
	s_cbranch_execnz .LBB293_21
.LBB293_17:                             ;   in Loop: Header=BB293_9 Depth=1
	s_or_b32 exec_lo, exec_lo, s0
	s_delay_alu instid0(SALU_CYCLE_1)
	s_mov_b32 s0, exec_lo
	v_cmpx_gt_u64_e64 s[2:3], v[13:14]
	s_cbranch_execnz .LBB293_22
.LBB293_18:                             ;   in Loop: Header=BB293_9 Depth=1
	s_or_b32 exec_lo, exec_lo, s0
	s_delay_alu instid0(SALU_CYCLE_1)
	s_mov_b32 s0, exec_lo
	v_cmpx_gt_u64_e64 s[2:3], v[15:16]
	s_cbranch_execnz .LBB293_23
.LBB293_19:                             ;   in Loop: Header=BB293_9 Depth=1
	s_or_b32 exec_lo, exec_lo, s0
	s_delay_alu instid0(SALU_CYCLE_1)
	s_mov_b32 s0, exec_lo
	v_cmpx_gt_u64_e64 s[2:3], v[17:18]
	s_cbranch_execz .LBB293_8
	s_branch .LBB293_24
.LBB293_20:                             ;   in Loop: Header=BB293_9 Depth=1
	v_add_co_u32 v31, vcc_lo, v7, s10
	v_add_co_ci_u32_e32 v32, vcc_lo, 0, v8, vcc_lo
	global_load_u16 v29, v[31:32], off
	s_or_b32 exec_lo, exec_lo, s0
	s_delay_alu instid0(SALU_CYCLE_1)
	s_mov_b32 s0, exec_lo
	v_cmpx_gt_u64_e64 s[2:3], v[11:12]
	s_cbranch_execz .LBB293_17
.LBB293_21:                             ;   in Loop: Header=BB293_9 Depth=1
	v_add_co_u32 v11, s11, s12, v3
	s_delay_alu instid0(VALU_DEP_1) | instskip(SKIP_4) | instid1(SALU_CYCLE_1)
	v_add_co_ci_u32_e64 v12, null, s13, 0, s11
	s_waitcnt vmcnt(0)
	v_cvt_f32_f16_e32 v1, v28
	global_store_b64 v[11:12], v[1:2], off
	s_or_b32 exec_lo, exec_lo, s0
	s_mov_b32 s0, exec_lo
	v_cmpx_gt_u64_e64 s[2:3], v[13:14]
	s_cbranch_execz .LBB293_18
.LBB293_22:                             ;   in Loop: Header=BB293_9 Depth=1
	v_add_co_u32 v11, s11, s12, v26
	s_waitcnt vmcnt(0)
	v_cvt_f32_f16_e32 v1, v27
	v_add_co_ci_u32_e64 v12, null, s13, 0, s11
	global_store_b64 v[11:12], v[1:2], off
	s_or_b32 exec_lo, exec_lo, s0
	s_delay_alu instid0(SALU_CYCLE_1)
	s_mov_b32 s0, exec_lo
	v_cmpx_gt_u64_e64 s[2:3], v[15:16]
	s_cbranch_execz .LBB293_19
.LBB293_23:                             ;   in Loop: Header=BB293_9 Depth=1
	v_add_co_u32 v11, vcc_lo, s12, v21
	s_waitcnt vmcnt(0)
	v_cvt_f32_f16_e32 v1, v30
	v_add_co_ci_u32_e32 v12, vcc_lo, s13, v22, vcc_lo
	global_store_b64 v[11:12], v[1:2], off
	s_or_b32 exec_lo, exec_lo, s0
	s_delay_alu instid0(SALU_CYCLE_1)
	s_mov_b32 s0, exec_lo
	v_cmpx_gt_u64_e64 s[2:3], v[17:18]
	s_cbranch_execz .LBB293_8
.LBB293_24:                             ;   in Loop: Header=BB293_9 Depth=1
	v_add_co_u32 v11, vcc_lo, s12, v5
	s_waitcnt vmcnt(0)
	v_cvt_f32_f16_e32 v1, v29
	v_add_co_ci_u32_e32 v12, vcc_lo, s13, v6, vcc_lo
	global_store_b64 v[11:12], v[1:2], off
	s_branch .LBB293_8
.LBB293_25:
	s_nop 0
	s_sendmsg sendmsg(MSG_DEALLOC_VGPRS)
	s_endpgm
	.section	.rodata,"a",@progbits
	.p2align	6, 0x0
	.amdhsa_kernel _ZN2at6native12_GLOBAL__N_125multi_tensor_apply_kernelINS1_18TensorListMetadataILi2EEENS1_11CopyFunctorIN3c107complexIfEENS6_4HalfELi2ELi1ELi1EEEJNS0_4CopyIS8_S9_EEEEEvT_T0_DpT1_
		.amdhsa_group_segment_fixed_size 0
		.amdhsa_private_segment_fixed_size 0
		.amdhsa_kernarg_size 3408
		.amdhsa_user_sgpr_count 15
		.amdhsa_user_sgpr_dispatch_ptr 0
		.amdhsa_user_sgpr_queue_ptr 0
		.amdhsa_user_sgpr_kernarg_segment_ptr 1
		.amdhsa_user_sgpr_dispatch_id 0
		.amdhsa_user_sgpr_private_segment_size 0
		.amdhsa_wavefront_size32 1
		.amdhsa_uses_dynamic_stack 0
		.amdhsa_enable_private_segment 0
		.amdhsa_system_sgpr_workgroup_id_x 1
		.amdhsa_system_sgpr_workgroup_id_y 0
		.amdhsa_system_sgpr_workgroup_id_z 0
		.amdhsa_system_sgpr_workgroup_info 0
		.amdhsa_system_vgpr_workitem_id 0
		.amdhsa_next_free_vgpr 33
		.amdhsa_next_free_sgpr 21
		.amdhsa_reserve_vcc 1
		.amdhsa_float_round_mode_32 0
		.amdhsa_float_round_mode_16_64 0
		.amdhsa_float_denorm_mode_32 3
		.amdhsa_float_denorm_mode_16_64 3
		.amdhsa_dx10_clamp 1
		.amdhsa_ieee_mode 1
		.amdhsa_fp16_overflow 0
		.amdhsa_workgroup_processor_mode 1
		.amdhsa_memory_ordered 1
		.amdhsa_forward_progress 0
		.amdhsa_shared_vgpr_count 0
		.amdhsa_exception_fp_ieee_invalid_op 0
		.amdhsa_exception_fp_denorm_src 0
		.amdhsa_exception_fp_ieee_div_zero 0
		.amdhsa_exception_fp_ieee_overflow 0
		.amdhsa_exception_fp_ieee_underflow 0
		.amdhsa_exception_fp_ieee_inexact 0
		.amdhsa_exception_int_div_zero 0
	.end_amdhsa_kernel
	.section	.text._ZN2at6native12_GLOBAL__N_125multi_tensor_apply_kernelINS1_18TensorListMetadataILi2EEENS1_11CopyFunctorIN3c107complexIfEENS6_4HalfELi2ELi1ELi1EEEJNS0_4CopyIS8_S9_EEEEEvT_T0_DpT1_,"axG",@progbits,_ZN2at6native12_GLOBAL__N_125multi_tensor_apply_kernelINS1_18TensorListMetadataILi2EEENS1_11CopyFunctorIN3c107complexIfEENS6_4HalfELi2ELi1ELi1EEEJNS0_4CopyIS8_S9_EEEEEvT_T0_DpT1_,comdat
.Lfunc_end293:
	.size	_ZN2at6native12_GLOBAL__N_125multi_tensor_apply_kernelINS1_18TensorListMetadataILi2EEENS1_11CopyFunctorIN3c107complexIfEENS6_4HalfELi2ELi1ELi1EEEJNS0_4CopyIS8_S9_EEEEEvT_T0_DpT1_, .Lfunc_end293-_ZN2at6native12_GLOBAL__N_125multi_tensor_apply_kernelINS1_18TensorListMetadataILi2EEENS1_11CopyFunctorIN3c107complexIfEENS6_4HalfELi2ELi1ELi1EEEJNS0_4CopyIS8_S9_EEEEEvT_T0_DpT1_
                                        ; -- End function
	.section	.AMDGPU.csdata,"",@progbits
; Kernel info:
; codeLenInByte = 1444
; NumSgprs: 23
; NumVgprs: 33
; ScratchSize: 0
; MemoryBound: 0
; FloatMode: 240
; IeeeMode: 1
; LDSByteSize: 0 bytes/workgroup (compile time only)
; SGPRBlocks: 2
; VGPRBlocks: 4
; NumSGPRsForWavesPerEU: 23
; NumVGPRsForWavesPerEU: 33
; Occupancy: 16
; WaveLimiterHint : 0
; COMPUTE_PGM_RSRC2:SCRATCH_EN: 0
; COMPUTE_PGM_RSRC2:USER_SGPR: 15
; COMPUTE_PGM_RSRC2:TRAP_HANDLER: 0
; COMPUTE_PGM_RSRC2:TGID_X_EN: 1
; COMPUTE_PGM_RSRC2:TGID_Y_EN: 0
; COMPUTE_PGM_RSRC2:TGID_Z_EN: 0
; COMPUTE_PGM_RSRC2:TIDIG_COMP_CNT: 0
	.section	.text._ZN2at6native12_GLOBAL__N_125multi_tensor_apply_kernelINS1_18TensorListMetadataILi2EEENS1_11CopyFunctorIN3c107complexIfEENS6_8BFloat16ELi2ELi1ELi1EEEJNS0_4CopyIS8_S9_EEEEEvT_T0_DpT1_,"axG",@progbits,_ZN2at6native12_GLOBAL__N_125multi_tensor_apply_kernelINS1_18TensorListMetadataILi2EEENS1_11CopyFunctorIN3c107complexIfEENS6_8BFloat16ELi2ELi1ELi1EEEJNS0_4CopyIS8_S9_EEEEEvT_T0_DpT1_,comdat
	.globl	_ZN2at6native12_GLOBAL__N_125multi_tensor_apply_kernelINS1_18TensorListMetadataILi2EEENS1_11CopyFunctorIN3c107complexIfEENS6_8BFloat16ELi2ELi1ELi1EEEJNS0_4CopyIS8_S9_EEEEEvT_T0_DpT1_ ; -- Begin function _ZN2at6native12_GLOBAL__N_125multi_tensor_apply_kernelINS1_18TensorListMetadataILi2EEENS1_11CopyFunctorIN3c107complexIfEENS6_8BFloat16ELi2ELi1ELi1EEEJNS0_4CopyIS8_S9_EEEEEvT_T0_DpT1_
	.p2align	8
	.type	_ZN2at6native12_GLOBAL__N_125multi_tensor_apply_kernelINS1_18TensorListMetadataILi2EEENS1_11CopyFunctorIN3c107complexIfEENS6_8BFloat16ELi2ELi1ELi1EEEJNS0_4CopyIS8_S9_EEEEEvT_T0_DpT1_,@function
_ZN2at6native12_GLOBAL__N_125multi_tensor_apply_kernelINS1_18TensorListMetadataILi2EEENS1_11CopyFunctorIN3c107complexIfEENS6_8BFloat16ELi2ELi1ELi1EEEJNS0_4CopyIS8_S9_EEEEEvT_T0_DpT1_: ; @_ZN2at6native12_GLOBAL__N_125multi_tensor_apply_kernelINS1_18TensorListMetadataILi2EEENS1_11CopyFunctorIN3c107complexIfEENS6_8BFloat16ELi2ELi1ELi1EEEJNS0_4CopyIS8_S9_EEEEEvT_T0_DpT1_
; %bb.0:
	v_mov_b32_e32 v1, s15
	s_add_u32 s2, s0, s15
	s_mul_hi_u32 s3, s15, 3
	s_mul_i32 s15, s15, 3
	s_addc_u32 s4, s1, 0
	global_load_u8 v1, v1, s[0:1] offset:1536
	s_add_u32 s2, s2, s15
	s_addc_u32 s3, s4, s3
	s_mov_b32 s19, 0
	s_load_b32 s4, s[2:3], 0x740
	s_mov_b32 s23, s19
	s_waitcnt vmcnt(0)
	v_readfirstlane_b32 s5, v1
	s_delay_alu instid0(VALU_DEP_1)
	s_lshl_b32 s5, s5, 3
	s_clause 0x2
	s_load_b64 s[2:3], s[0:1], s5 offset:0x0
	s_load_b64 s[6:7], s[0:1], s5 offset:0x200
	;; [unrolled: 1-line block ×3, first 2 shown]
	s_waitcnt lgkmcnt(0)
	s_ashr_i32 s5, s4, 31
	s_delay_alu instid0(SALU_CYCLE_1)
	s_lshl_b64 s[10:11], s[4:5], 17
	s_lshl_b64 s[20:21], s[4:5], 16
	s_add_u32 s12, s2, s10
	s_addc_u32 s13, s3, s11
	s_lshl_b64 s[8:9], s[4:5], 19
	s_mov_b32 s5, s19
	s_add_u32 s14, s6, s8
	s_addc_u32 s15, s7, s9
	s_and_b32 s22, s16, 3
	s_and_b32 s4, s14, 31
	;; [unrolled: 1-line block ×3, first 2 shown]
	s_or_b64 s[4:5], s[4:5], s[22:23]
	s_delay_alu instid0(SALU_CYCLE_1)
	s_or_b64 s[18:19], s[18:19], s[4:5]
	s_sub_u32 s4, s16, s20
	s_subb_u32 s5, s17, s21
	s_cmp_eq_u64 s[18:19], 0
	s_mov_b32 s16, -1
	s_cbranch_scc0 .LBB294_5
; %bb.1:
	v_dual_mov_b32 v2, 0 :: v_dual_lshlrev_b32 v1, 2, v0
	s_mov_b32 s16, exec_lo
	s_delay_alu instid0(VALU_DEP_1)
	v_cmpx_gt_i64_e64 s[4:5], v[1:2]
	s_cbranch_execz .LBB294_4
; %bb.2:
	s_load_b32 s17, s[0:1], 0xc5c
	s_waitcnt lgkmcnt(0)
	s_and_b32 s17, s17, 0xffff
	s_add_u32 s2, s2, s10
	v_add_lshl_u32 v1, v0, s17, 2
	v_dual_mov_b32 v10, v2 :: v_dual_lshlrev_b32 v3, 3, v0
	v_lshlrev_b32_e32 v4, 5, v0
	s_addc_u32 s3, s3, s11
	s_delay_alu instid0(VALU_DEP_3) | instskip(SKIP_4) | instid1(VALU_DEP_1)
	v_mov_b32_e32 v9, v1
	s_lshl_b32 s10, s17, 3
	s_lshl_b32 s11, s17, 2
	s_add_u32 s6, s6, s8
	v_add_co_u32 v5, s2, s2, v3
	v_add_co_ci_u32_e64 v6, null, s3, 0, s2
	s_addc_u32 s2, s7, s9
	v_add_co_u32 v7, s3, s6, v4
	s_delay_alu instid0(VALU_DEP_1)
	v_add_co_ci_u32_e64 v8, null, s2, 0, s3
	s_mov_b32 s6, 0
	s_lshl_b32 s7, s17, 5
	s_set_inst_prefetch_distance 0x1
	.p2align	6
.LBB294_3:                              ; =>This Inner Loop Header: Depth=1
	global_load_b64 v[15:16], v[5:6], off
	v_cmp_le_i64_e32 vcc_lo, s[4:5], v[9:10]
	v_cmp_lt_u64_e64 s2, 0xffff, v[9:10]
	v_mov_b32_e32 v4, v2
	v_mov_b32_e32 v12, v2
	;; [unrolled: 1-line block ×3, first 2 shown]
	v_add_co_u32 v5, s3, v5, s10
	s_delay_alu instid0(VALU_DEP_1) | instskip(SKIP_4) | instid1(SALU_CYCLE_1)
	v_add_co_ci_u32_e64 v6, s3, 0, v6, s3
	v_add_co_u32 v9, s3, v9, s11
	s_or_b32 s2, vcc_lo, s2
	v_add_co_ci_u32_e64 v10, s3, 0, v10, s3
	s_and_b32 s2, exec_lo, s2
	s_or_b32 s6, s2, s6
	s_waitcnt vmcnt(0)
	v_and_b32_e32 v13, 0xffff0000, v16
	v_alignbit_b32 v11, v16, v15, 16
	v_and_b32_e32 v3, 0xffff0000, v15
	v_lshlrev_b32_e32 v1, 16, v15
	s_delay_alu instid0(VALU_DEP_3)
	v_and_b32_e32 v11, 0xffff0000, v11
	s_clause 0x1
	global_store_b128 v[7:8], v[1:4], off
	global_store_b128 v[7:8], v[11:14], off offset:16
	v_add_co_u32 v7, vcc_lo, v7, s7
	v_add_co_ci_u32_e32 v8, vcc_lo, 0, v8, vcc_lo
	s_and_not1_b32 exec_lo, exec_lo, s6
	s_cbranch_execnz .LBB294_3
.LBB294_4:
	s_set_inst_prefetch_distance 0x2
	s_or_b32 exec_lo, exec_lo, s16
	s_mov_b32 s16, 0
.LBB294_5:
	s_delay_alu instid0(SALU_CYCLE_1)
	s_and_not1_b32 vcc_lo, exec_lo, s16
	s_cbranch_vccnz .LBB294_25
; %bb.6:
	v_cmp_lt_i64_e64 s2, s[4:5], 1
	s_delay_alu instid0(VALU_DEP_1)
	s_and_b32 vcc_lo, exec_lo, s2
	s_cbranch_vccnz .LBB294_25
; %bb.7:
	s_load_b32 s0, s[0:1], 0xc5c
	v_dual_mov_b32 v2, 0 :: v_dual_lshlrev_b32 v3, 1, v0
	v_cmp_gt_u64_e64 s1, 0x10000, s[4:5]
	v_lshlrev_b32_e32 v5, 3, v0
                                        ; implicit-def: $vgpr29
                                        ; implicit-def: $vgpr30
                                        ; implicit-def: $vgpr31
                                        ; implicit-def: $vgpr32
	s_delay_alu instid0(VALU_DEP_3) | instskip(SKIP_2) | instid1(VALU_DEP_3)
	v_mov_b32_e32 v4, v2
	s_waitcnt lgkmcnt(0)
	s_and_b32 s0, s0, 0xffff
	s_and_b32 s1, s1, exec_lo
	v_add_co_u32 v19, s8, v0, s0
	v_mov_b32_e32 v6, v2
	s_mul_i32 s7, s0, 3
	s_cselect_b32 s3, s5, 0
	s_delay_alu instid0(VALU_DEP_2)
	v_lshlrev_b32_e32 v21, 3, v19
	s_cselect_b32 s2, s4, 0x10000
	v_mad_u64_u32 v[9:10], null, s0, 24, v[5:6]
	v_add_co_ci_u32_e64 v20, null, 0, 0, s8
	v_mad_u64_u32 v[7:8], null, s0, 6, v[3:4]
	s_lshl_b32 s8, s0, 4
	v_add_co_u32 v4, s7, s7, v0
	s_delay_alu instid0(VALU_DEP_1)
	v_add_co_ci_u32_e64 v6, null, 0, 0, s7
	v_add_co_u32 v1, s7, s8, v5
	s_lshl_b32 s6, s0, 1
	s_lshl_b32 s1, s0, 2
	v_add_co_u32 v27, s6, s6, v0
	v_add_co_u32 v22, s8, s1, v3
	v_or_b32_e32 v9, 4, v9
	v_add_co_ci_u32_e64 v23, null, 0, 0, s8
	v_lshlrev_b32_e32 v24, 1, v19
	v_add_co_ci_u32_e64 v25, null, 0, 0, s7
	v_or_b32_e32 v26, 4, v1
	v_add_co_ci_u32_e64 v28, null, 0, 0, s6
	s_lshl_b32 s8, s0, 3
	s_lshl_b32 s9, s0, 5
	s_mov_b64 s[6:7], 0
	s_branch .LBB294_9
.LBB294_8:                              ;   in Loop: Header=BB294_9 Depth=1
	s_or_b32 exec_lo, exec_lo, s0
	s_add_u32 s6, s6, s1
	s_addc_u32 s7, s7, 0
	s_delay_alu instid0(SALU_CYCLE_1) | instskip(SKIP_1) | instid1(VALU_DEP_1)
	v_cmp_ge_i64_e64 s0, s[6:7], s[4:5]
	v_cmp_lt_u64_e64 s10, 0xffff, s[6:7]
	s_or_b32 s0, s0, s10
	s_add_u32 s12, s12, s8
	s_addc_u32 s13, s13, 0
	s_add_u32 s14, s14, s9
	s_addc_u32 s15, s15, 0
	s_and_b32 vcc_lo, exec_lo, s0
	s_cbranch_vccnz .LBB294_25
.LBB294_9:                              ; =>This Inner Loop Header: Depth=1
	v_add_co_u32 v11, s0, v0, s6
	s_delay_alu instid0(VALU_DEP_1) | instskip(NEXT) | instid1(VALU_DEP_1)
	v_add_co_ci_u32_e64 v12, null, 0, s7, s0
	v_cmp_gt_i64_e32 vcc_lo, s[4:5], v[11:12]
	v_cmp_gt_u64_e64 s0, 0x10000, v[11:12]
	s_delay_alu instid0(VALU_DEP_1) | instskip(NEXT) | instid1(SALU_CYCLE_1)
	s_and_b32 s10, vcc_lo, s0
	s_and_saveexec_b32 s0, s10
	s_cbranch_execz .LBB294_11
; %bb.10:                               ;   in Loop: Header=BB294_9 Depth=1
	v_add_co_u32 v13, s10, s12, v3
	s_delay_alu instid0(VALU_DEP_1)
	v_add_co_ci_u32_e64 v14, null, s13, 0, s10
	global_load_u16 v32, v[13:14], off
.LBB294_11:                             ;   in Loop: Header=BB294_9 Depth=1
	s_or_b32 exec_lo, exec_lo, s0
	v_add_co_u32 v13, vcc_lo, v19, s6
	v_add_co_ci_u32_e32 v14, vcc_lo, s7, v20, vcc_lo
	s_delay_alu instid0(VALU_DEP_1) | instskip(SKIP_1) | instid1(VALU_DEP_1)
	v_cmp_gt_i64_e32 vcc_lo, s[4:5], v[13:14]
	v_cmp_gt_u64_e64 s0, 0x10000, v[13:14]
	s_and_b32 s10, vcc_lo, s0
	s_delay_alu instid0(SALU_CYCLE_1)
	s_and_saveexec_b32 s0, s10
	s_cbranch_execz .LBB294_13
; %bb.12:                               ;   in Loop: Header=BB294_9 Depth=1
	v_add_co_u32 v15, s10, s12, v24
	s_delay_alu instid0(VALU_DEP_1)
	v_add_co_ci_u32_e64 v16, null, s13, 0, s10
	global_load_u16 v31, v[15:16], off
.LBB294_13:                             ;   in Loop: Header=BB294_9 Depth=1
	s_or_b32 exec_lo, exec_lo, s0
	v_add_co_u32 v15, vcc_lo, v27, s6
	v_add_co_ci_u32_e32 v16, vcc_lo, s7, v28, vcc_lo
	s_delay_alu instid0(VALU_DEP_1) | instskip(SKIP_1) | instid1(VALU_DEP_1)
	v_cmp_gt_i64_e32 vcc_lo, s[4:5], v[15:16]
	v_cmp_gt_u64_e64 s0, 0x10000, v[15:16]
	s_and_b32 s10, vcc_lo, s0
	s_delay_alu instid0(SALU_CYCLE_1)
	s_and_saveexec_b32 s0, s10
	s_cbranch_execz .LBB294_15
; %bb.14:                               ;   in Loop: Header=BB294_9 Depth=1
	v_add_co_u32 v17, vcc_lo, s12, v22
	v_add_co_ci_u32_e32 v18, vcc_lo, s13, v23, vcc_lo
	global_load_u16 v30, v[17:18], off
.LBB294_15:                             ;   in Loop: Header=BB294_9 Depth=1
	s_or_b32 exec_lo, exec_lo, s0
	v_add_co_u32 v17, vcc_lo, v4, s6
	v_add_co_ci_u32_e32 v18, vcc_lo, s7, v6, vcc_lo
	s_delay_alu instid0(VALU_DEP_1) | instskip(SKIP_1) | instid1(VALU_DEP_1)
	v_cmp_gt_i64_e32 vcc_lo, s[4:5], v[17:18]
	v_cmp_gt_u64_e64 s0, 0x10000, v[17:18]
	s_and_b32 s10, vcc_lo, s0
	s_delay_alu instid0(SALU_CYCLE_1)
	s_and_saveexec_b32 s0, s10
	s_cbranch_execnz .LBB294_20
; %bb.16:                               ;   in Loop: Header=BB294_9 Depth=1
	s_or_b32 exec_lo, exec_lo, s0
	s_delay_alu instid0(SALU_CYCLE_1)
	s_mov_b32 s0, exec_lo
	v_cmpx_gt_u64_e64 s[2:3], v[11:12]
	s_cbranch_execnz .LBB294_21
.LBB294_17:                             ;   in Loop: Header=BB294_9 Depth=1
	s_or_b32 exec_lo, exec_lo, s0
	s_delay_alu instid0(SALU_CYCLE_1)
	s_mov_b32 s0, exec_lo
	v_cmpx_gt_u64_e64 s[2:3], v[13:14]
	s_cbranch_execnz .LBB294_22
.LBB294_18:                             ;   in Loop: Header=BB294_9 Depth=1
	s_or_b32 exec_lo, exec_lo, s0
	s_delay_alu instid0(SALU_CYCLE_1)
	s_mov_b32 s0, exec_lo
	v_cmpx_gt_u64_e64 s[2:3], v[15:16]
	s_cbranch_execnz .LBB294_23
.LBB294_19:                             ;   in Loop: Header=BB294_9 Depth=1
	s_or_b32 exec_lo, exec_lo, s0
	s_delay_alu instid0(SALU_CYCLE_1)
	s_mov_b32 s0, exec_lo
	v_cmpx_gt_u64_e64 s[2:3], v[17:18]
	s_cbranch_execz .LBB294_8
	s_branch .LBB294_24
.LBB294_20:                             ;   in Loop: Header=BB294_9 Depth=1
	v_add_co_u32 v33, vcc_lo, s12, v7
	v_add_co_ci_u32_e32 v34, vcc_lo, s13, v8, vcc_lo
	global_load_u16 v29, v[33:34], off
	s_or_b32 exec_lo, exec_lo, s0
	s_delay_alu instid0(SALU_CYCLE_1)
	s_mov_b32 s0, exec_lo
	v_cmpx_gt_u64_e64 s[2:3], v[11:12]
	s_cbranch_execz .LBB294_17
.LBB294_21:                             ;   in Loop: Header=BB294_9 Depth=1
	v_add_co_u32 v11, s10, s14, v5
	s_delay_alu instid0(VALU_DEP_1) | instskip(SKIP_4) | instid1(SALU_CYCLE_1)
	v_add_co_ci_u32_e64 v12, null, s15, 0, s10
	s_waitcnt vmcnt(0)
	v_lshlrev_b32_e32 v1, 16, v32
	global_store_b64 v[11:12], v[1:2], off
	s_or_b32 exec_lo, exec_lo, s0
	s_mov_b32 s0, exec_lo
	v_cmpx_gt_u64_e64 s[2:3], v[13:14]
	s_cbranch_execz .LBB294_18
.LBB294_22:                             ;   in Loop: Header=BB294_9 Depth=1
	v_add_co_u32 v11, s10, s14, v21
	s_waitcnt vmcnt(0)
	v_lshlrev_b32_e32 v1, 16, v31
	v_add_co_ci_u32_e64 v12, null, s15, 0, s10
	global_store_b64 v[11:12], v[1:2], off
	s_or_b32 exec_lo, exec_lo, s0
	s_delay_alu instid0(SALU_CYCLE_1)
	s_mov_b32 s0, exec_lo
	v_cmpx_gt_u64_e64 s[2:3], v[15:16]
	s_cbranch_execz .LBB294_19
.LBB294_23:                             ;   in Loop: Header=BB294_9 Depth=1
	v_add_co_u32 v11, vcc_lo, s14, v26
	s_waitcnt vmcnt(0)
	v_lshlrev_b32_e32 v1, 16, v30
	v_add_co_ci_u32_e32 v12, vcc_lo, s15, v25, vcc_lo
	global_store_b64 v[11:12], v[1:2], off offset:-4
	s_or_b32 exec_lo, exec_lo, s0
	s_delay_alu instid0(SALU_CYCLE_1)
	s_mov_b32 s0, exec_lo
	v_cmpx_gt_u64_e64 s[2:3], v[17:18]
	s_cbranch_execz .LBB294_8
.LBB294_24:                             ;   in Loop: Header=BB294_9 Depth=1
	v_add_co_u32 v11, vcc_lo, s14, v9
	s_waitcnt vmcnt(0)
	v_lshlrev_b32_e32 v1, 16, v29
	v_add_co_ci_u32_e32 v12, vcc_lo, s15, v10, vcc_lo
	global_store_b64 v[11:12], v[1:2], off offset:-4
	s_branch .LBB294_8
.LBB294_25:
	s_nop 0
	s_sendmsg sendmsg(MSG_DEALLOC_VGPRS)
	s_endpgm
	.section	.rodata,"a",@progbits
	.p2align	6, 0x0
	.amdhsa_kernel _ZN2at6native12_GLOBAL__N_125multi_tensor_apply_kernelINS1_18TensorListMetadataILi2EEENS1_11CopyFunctorIN3c107complexIfEENS6_8BFloat16ELi2ELi1ELi1EEEJNS0_4CopyIS8_S9_EEEEEvT_T0_DpT1_
		.amdhsa_group_segment_fixed_size 0
		.amdhsa_private_segment_fixed_size 0
		.amdhsa_kernarg_size 3408
		.amdhsa_user_sgpr_count 15
		.amdhsa_user_sgpr_dispatch_ptr 0
		.amdhsa_user_sgpr_queue_ptr 0
		.amdhsa_user_sgpr_kernarg_segment_ptr 1
		.amdhsa_user_sgpr_dispatch_id 0
		.amdhsa_user_sgpr_private_segment_size 0
		.amdhsa_wavefront_size32 1
		.amdhsa_uses_dynamic_stack 0
		.amdhsa_enable_private_segment 0
		.amdhsa_system_sgpr_workgroup_id_x 1
		.amdhsa_system_sgpr_workgroup_id_y 0
		.amdhsa_system_sgpr_workgroup_id_z 0
		.amdhsa_system_sgpr_workgroup_info 0
		.amdhsa_system_vgpr_workitem_id 0
		.amdhsa_next_free_vgpr 35
		.amdhsa_next_free_sgpr 24
		.amdhsa_reserve_vcc 1
		.amdhsa_float_round_mode_32 0
		.amdhsa_float_round_mode_16_64 0
		.amdhsa_float_denorm_mode_32 3
		.amdhsa_float_denorm_mode_16_64 3
		.amdhsa_dx10_clamp 1
		.amdhsa_ieee_mode 1
		.amdhsa_fp16_overflow 0
		.amdhsa_workgroup_processor_mode 1
		.amdhsa_memory_ordered 1
		.amdhsa_forward_progress 0
		.amdhsa_shared_vgpr_count 0
		.amdhsa_exception_fp_ieee_invalid_op 0
		.amdhsa_exception_fp_denorm_src 0
		.amdhsa_exception_fp_ieee_div_zero 0
		.amdhsa_exception_fp_ieee_overflow 0
		.amdhsa_exception_fp_ieee_underflow 0
		.amdhsa_exception_fp_ieee_inexact 0
		.amdhsa_exception_int_div_zero 0
	.end_amdhsa_kernel
	.section	.text._ZN2at6native12_GLOBAL__N_125multi_tensor_apply_kernelINS1_18TensorListMetadataILi2EEENS1_11CopyFunctorIN3c107complexIfEENS6_8BFloat16ELi2ELi1ELi1EEEJNS0_4CopyIS8_S9_EEEEEvT_T0_DpT1_,"axG",@progbits,_ZN2at6native12_GLOBAL__N_125multi_tensor_apply_kernelINS1_18TensorListMetadataILi2EEENS1_11CopyFunctorIN3c107complexIfEENS6_8BFloat16ELi2ELi1ELi1EEEJNS0_4CopyIS8_S9_EEEEEvT_T0_DpT1_,comdat
.Lfunc_end294:
	.size	_ZN2at6native12_GLOBAL__N_125multi_tensor_apply_kernelINS1_18TensorListMetadataILi2EEENS1_11CopyFunctorIN3c107complexIfEENS6_8BFloat16ELi2ELi1ELi1EEEJNS0_4CopyIS8_S9_EEEEEvT_T0_DpT1_, .Lfunc_end294-_ZN2at6native12_GLOBAL__N_125multi_tensor_apply_kernelINS1_18TensorListMetadataILi2EEENS1_11CopyFunctorIN3c107complexIfEENS6_8BFloat16ELi2ELi1ELi1EEEJNS0_4CopyIS8_S9_EEEEEvT_T0_DpT1_
                                        ; -- End function
	.section	.AMDGPU.csdata,"",@progbits
; Kernel info:
; codeLenInByte = 1468
; NumSgprs: 26
; NumVgprs: 35
; ScratchSize: 0
; MemoryBound: 0
; FloatMode: 240
; IeeeMode: 1
; LDSByteSize: 0 bytes/workgroup (compile time only)
; SGPRBlocks: 3
; VGPRBlocks: 4
; NumSGPRsForWavesPerEU: 26
; NumVGPRsForWavesPerEU: 35
; Occupancy: 16
; WaveLimiterHint : 0
; COMPUTE_PGM_RSRC2:SCRATCH_EN: 0
; COMPUTE_PGM_RSRC2:USER_SGPR: 15
; COMPUTE_PGM_RSRC2:TRAP_HANDLER: 0
; COMPUTE_PGM_RSRC2:TGID_X_EN: 1
; COMPUTE_PGM_RSRC2:TGID_Y_EN: 0
; COMPUTE_PGM_RSRC2:TGID_Z_EN: 0
; COMPUTE_PGM_RSRC2:TIDIG_COMP_CNT: 0
	.section	.text._ZN2at6native12_GLOBAL__N_125multi_tensor_apply_kernelINS1_18TensorListMetadataILi2EEENS1_11CopyFunctorIN3c107complexIfEEbLi2ELi1ELi1EEEJNS0_4CopyIS8_bEEEEEvT_T0_DpT1_,"axG",@progbits,_ZN2at6native12_GLOBAL__N_125multi_tensor_apply_kernelINS1_18TensorListMetadataILi2EEENS1_11CopyFunctorIN3c107complexIfEEbLi2ELi1ELi1EEEJNS0_4CopyIS8_bEEEEEvT_T0_DpT1_,comdat
	.globl	_ZN2at6native12_GLOBAL__N_125multi_tensor_apply_kernelINS1_18TensorListMetadataILi2EEENS1_11CopyFunctorIN3c107complexIfEEbLi2ELi1ELi1EEEJNS0_4CopyIS8_bEEEEEvT_T0_DpT1_ ; -- Begin function _ZN2at6native12_GLOBAL__N_125multi_tensor_apply_kernelINS1_18TensorListMetadataILi2EEENS1_11CopyFunctorIN3c107complexIfEEbLi2ELi1ELi1EEEJNS0_4CopyIS8_bEEEEEvT_T0_DpT1_
	.p2align	8
	.type	_ZN2at6native12_GLOBAL__N_125multi_tensor_apply_kernelINS1_18TensorListMetadataILi2EEENS1_11CopyFunctorIN3c107complexIfEEbLi2ELi1ELi1EEEJNS0_4CopyIS8_bEEEEEvT_T0_DpT1_,@function
_ZN2at6native12_GLOBAL__N_125multi_tensor_apply_kernelINS1_18TensorListMetadataILi2EEENS1_11CopyFunctorIN3c107complexIfEEbLi2ELi1ELi1EEEJNS0_4CopyIS8_bEEEEEvT_T0_DpT1_: ; @_ZN2at6native12_GLOBAL__N_125multi_tensor_apply_kernelINS1_18TensorListMetadataILi2EEENS1_11CopyFunctorIN3c107complexIfEEbLi2ELi1ELi1EEEJNS0_4CopyIS8_bEEEEEvT_T0_DpT1_
; %bb.0:
	v_mov_b32_e32 v1, s15
	s_add_u32 s2, s0, s15
	s_mul_hi_u32 s3, s15, 3
	s_mul_i32 s15, s15, 3
	s_addc_u32 s4, s1, 0
	global_load_u8 v1, v1, s[0:1] offset:1536
	s_add_u32 s2, s2, s15
	s_addc_u32 s3, s4, s3
	s_mov_b32 s19, 0
	s_load_b32 s4, s[2:3], 0x740
	s_mov_b32 s21, s19
	s_waitcnt vmcnt(0)
	v_readfirstlane_b32 s5, v1
	s_delay_alu instid0(VALU_DEP_1)
	s_lshl_b32 s5, s5, 3
	s_clause 0x2
	s_load_b64 s[8:9], s[0:1], s5 offset:0x0
	s_load_b64 s[2:3], s[0:1], s5 offset:0x200
	;; [unrolled: 1-line block ×3, first 2 shown]
	s_waitcnt lgkmcnt(0)
	s_ashr_i32 s5, s4, 31
	s_delay_alu instid0(SALU_CYCLE_1) | instskip(NEXT) | instid1(SALU_CYCLE_1)
	s_lshl_b64 s[10:11], s[4:5], 16
	s_add_u32 s14, s8, s10
	s_addc_u32 s15, s9, s11
	s_lshl_b64 s[6:7], s[4:5], 19
	s_mov_b32 s5, s19
	s_add_u32 s12, s2, s6
	s_addc_u32 s13, s3, s7
	s_and_b32 s20, s16, 3
	s_and_b32 s4, s12, 31
	;; [unrolled: 1-line block ×3, first 2 shown]
	s_or_b64 s[4:5], s[4:5], s[20:21]
	s_delay_alu instid0(SALU_CYCLE_1)
	s_or_b64 s[18:19], s[18:19], s[4:5]
	s_sub_u32 s4, s16, s10
	s_subb_u32 s5, s17, s11
	s_cmp_eq_u64 s[18:19], 0
	s_mov_b32 s16, -1
	s_cbranch_scc0 .LBB295_5
; %bb.1:
	v_dual_mov_b32 v2, 0 :: v_dual_lshlrev_b32 v1, 2, v0
	s_mov_b32 s16, exec_lo
	s_delay_alu instid0(VALU_DEP_1)
	v_cmpx_gt_i64_e64 s[4:5], v[1:2]
	s_cbranch_execz .LBB295_4
; %bb.2:
	s_load_b32 s17, s[0:1], 0xc5c
	v_dual_mov_b32 v8, v2 :: v_dual_lshlrev_b32 v3, 5, v0
	v_mov_b32_e32 v7, v1
	s_waitcnt lgkmcnt(0)
	s_and_b32 s18, s17, 0xffff
	s_delay_alu instid0(SALU_CYCLE_1) | instskip(SKIP_3) | instid1(VALU_DEP_1)
	s_lshl_b32 s17, s18, 2
	s_add_u32 s2, s2, s6
	s_addc_u32 s3, s3, s7
	v_add_co_u32 v5, s2, s2, v3
	v_add_co_ci_u32_e64 v6, null, s3, 0, s2
	s_mov_b32 s3, 0
	s_lshl_b32 s6, s18, 5
	s_set_inst_prefetch_distance 0x1
	.p2align	6
.LBB295_3:                              ; =>This Inner Loop Header: Depth=1
	v_add_co_u32 v3, vcc_lo, s14, v7
	v_add_co_ci_u32_e32 v4, vcc_lo, s15, v8, vcc_lo
	v_add_co_u32 v7, vcc_lo, s17, v7
	v_add_co_ci_u32_e32 v8, vcc_lo, 0, v8, vcc_lo
	global_load_b32 v1, v[3:4], off
	v_mov_b32_e32 v4, v2
	v_mov_b32_e32 v10, v2
	v_cmp_le_i64_e32 vcc_lo, s[4:5], v[7:8]
	v_cmp_lt_u64_e64 s2, 0xffff, v[7:8]
	v_mov_b32_e32 v12, v2
	s_delay_alu instid0(VALU_DEP_2) | instskip(NEXT) | instid1(SALU_CYCLE_1)
	s_or_b32 s2, vcc_lo, s2
	s_and_b32 s2, exec_lo, s2
	s_delay_alu instid0(SALU_CYCLE_1)
	s_or_b32 s3, s2, s3
	s_waitcnt vmcnt(0)
	v_and_b32_e32 v13, 0x1000000, v1
	v_and_b32_e32 v9, 1, v1
	v_and_b32_e32 v11, 0x10000, v1
	v_lshrrev_b16 v3, 8, v1
	s_delay_alu instid0(VALU_DEP_3) | instskip(NEXT) | instid1(VALU_DEP_2)
	v_cmp_eq_u32_e32 vcc_lo, 1, v9
	v_and_b32_e32 v3, 1, v3
	v_cndmask_b32_e64 v1, 0, 1.0, vcc_lo
	v_cmp_ne_u32_e32 vcc_lo, 0, v11
	v_cndmask_b32_e64 v9, 0, 1.0, vcc_lo
	v_cmp_ne_u32_e32 vcc_lo, 0, v13
	v_cndmask_b32_e64 v11, 0, 1.0, vcc_lo
	v_cmp_eq_u32_e32 vcc_lo, 1, v3
	v_cndmask_b32_e64 v3, 0, 1.0, vcc_lo
	s_clause 0x1
	global_store_b128 v[5:6], v[1:4], off
	global_store_b128 v[5:6], v[9:12], off offset:16
	v_add_co_u32 v5, vcc_lo, v5, s6
	v_add_co_ci_u32_e32 v6, vcc_lo, 0, v6, vcc_lo
	s_and_not1_b32 exec_lo, exec_lo, s3
	s_cbranch_execnz .LBB295_3
.LBB295_4:
	s_set_inst_prefetch_distance 0x2
	s_or_b32 exec_lo, exec_lo, s16
	s_mov_b32 s16, 0
.LBB295_5:
	s_delay_alu instid0(SALU_CYCLE_1)
	s_and_not1_b32 vcc_lo, exec_lo, s16
	s_cbranch_vccnz .LBB295_25
; %bb.6:
	v_cmp_lt_i64_e64 s2, s[4:5], 1
	s_delay_alu instid0(VALU_DEP_1)
	s_and_b32 vcc_lo, exec_lo, s2
	s_cbranch_vccnz .LBB295_25
; %bb.7:
	s_load_b32 s0, s[0:1], 0xc5c
	v_cmp_gt_u64_e64 s1, 0x10000, s[4:5]
	v_dual_mov_b32 v2, 0 :: v_dual_lshlrev_b32 v3, 3, v0
	v_add_co_u32 v1, s2, s10, v0
	s_delay_alu instid0(VALU_DEP_1) | instskip(NEXT) | instid1(VALU_DEP_3)
	v_add_co_ci_u32_e64 v7, null, s11, 0, s2
	v_mov_b32_e32 v4, v2
	s_delay_alu instid0(VALU_DEP_3) | instskip(NEXT) | instid1(VALU_DEP_3)
	v_add_co_u32 v15, vcc_lo, s8, v1
	v_add_co_ci_u32_e32 v16, vcc_lo, s9, v7, vcc_lo
                                        ; implicit-def: $vgpr31
                                        ; implicit-def: $vgpr32
                                        ; implicit-def: $vgpr33
                                        ; implicit-def: $vgpr34
	s_waitcnt lgkmcnt(0)
	s_and_b32 s0, s0, 0xffff
	s_and_b32 s1, s1, exec_lo
	s_mul_i32 s2, s0, 3
	s_cselect_b32 s7, s5, 0
	s_cselect_b32 s6, s4, 0x10000
	s_lshl_b32 s1, s0, 1
	s_lshl_b32 s14, s0, 2
	;; [unrolled: 1-line block ×3, first 2 shown]
	s_add_u32 s3, s10, s2
	s_addc_u32 s16, s11, 0
	s_add_u32 s3, s8, s3
	v_mad_u64_u32 v[5:6], null, s0, 24, v[3:4]
	v_add_co_u32 v4, s2, s2, v0
	s_addc_u32 s16, s9, s16
	v_add_co_u32 v17, s3, s3, v0
	v_add_co_ci_u32_e64 v19, null, 0, 0, s2
	s_add_u32 s2, s10, s1
	v_add_co_ci_u32_e64 v18, null, s16, 0, s3
	s_addc_u32 s3, s11, 0
	s_add_u32 s2, s8, s2
	s_addc_u32 s3, s9, s3
	v_add_co_u32 v20, s2, s2, v0
	v_add_co_u32 v24, s1, s1, v0
	v_add_co_ci_u32_e64 v21, null, s3, 0, s2
	s_lshl_b32 s2, s0, 4
	v_add_co_ci_u32_e64 v25, null, 0, 0, s1
	s_add_u32 s1, s8, s0
	v_add_co_u32 v26, s0, v0, s0
	v_add_co_u32 v22, s2, s2, v3
	s_delay_alu instid0(VALU_DEP_1)
	v_add_co_ci_u32_e64 v23, null, 0, 0, s2
	s_addc_u32 s2, s9, 0
	v_add_co_u32 v27, vcc_lo, s1, v1
	v_add_co_ci_u32_e32 v28, vcc_lo, s2, v7, vcc_lo
	v_add_co_ci_u32_e64 v29, null, 0, 0, s0
	v_lshlrev_b32_e32 v30, 3, v26
	s_mov_b64 s[8:9], 0
	s_branch .LBB295_9
.LBB295_8:                              ;   in Loop: Header=BB295_9 Depth=1
	s_or_b32 exec_lo, exec_lo, s1
	s_add_u32 s8, s8, s14
	s_addc_u32 s9, s9, 0
	s_delay_alu instid0(SALU_CYCLE_1) | instskip(SKIP_1) | instid1(VALU_DEP_1)
	v_cmp_ge_i64_e64 s0, s[8:9], s[4:5]
	v_cmp_lt_u64_e64 s1, 0xffff, s[8:9]
	s_or_b32 s0, s0, s1
	s_add_u32 s12, s12, s15
	s_addc_u32 s13, s13, 0
	s_and_b32 vcc_lo, exec_lo, s0
	s_cbranch_vccnz .LBB295_25
.LBB295_9:                              ; =>This Inner Loop Header: Depth=1
	v_add_co_u32 v7, s0, v0, s8
	s_delay_alu instid0(VALU_DEP_1) | instskip(NEXT) | instid1(VALU_DEP_1)
	v_add_co_ci_u32_e64 v8, null, 0, s9, s0
	v_cmp_gt_i64_e32 vcc_lo, s[4:5], v[7:8]
	v_cmp_gt_u64_e64 s0, 0x10000, v[7:8]
	s_delay_alu instid0(VALU_DEP_1) | instskip(NEXT) | instid1(SALU_CYCLE_1)
	s_and_b32 s1, vcc_lo, s0
	s_and_saveexec_b32 s0, s1
	s_cbranch_execz .LBB295_11
; %bb.10:                               ;   in Loop: Header=BB295_9 Depth=1
	v_add_co_u32 v9, vcc_lo, v15, s8
	v_add_co_ci_u32_e32 v10, vcc_lo, s9, v16, vcc_lo
	global_load_u8 v31, v[9:10], off
.LBB295_11:                             ;   in Loop: Header=BB295_9 Depth=1
	s_or_b32 exec_lo, exec_lo, s0
	v_add_co_u32 v9, vcc_lo, v26, s8
	v_add_co_ci_u32_e32 v10, vcc_lo, s9, v29, vcc_lo
	s_delay_alu instid0(VALU_DEP_1) | instskip(SKIP_1) | instid1(VALU_DEP_1)
	v_cmp_gt_i64_e32 vcc_lo, s[4:5], v[9:10]
	v_cmp_gt_u64_e64 s0, 0x10000, v[9:10]
	s_and_b32 s1, vcc_lo, s0
	s_delay_alu instid0(SALU_CYCLE_1)
	s_and_saveexec_b32 s0, s1
	s_cbranch_execz .LBB295_13
; %bb.12:                               ;   in Loop: Header=BB295_9 Depth=1
	v_add_co_u32 v11, vcc_lo, v27, s8
	v_add_co_ci_u32_e32 v12, vcc_lo, s9, v28, vcc_lo
	global_load_u8 v32, v[11:12], off
.LBB295_13:                             ;   in Loop: Header=BB295_9 Depth=1
	s_or_b32 exec_lo, exec_lo, s0
	v_add_co_u32 v11, vcc_lo, v24, s8
	v_add_co_ci_u32_e32 v12, vcc_lo, s9, v25, vcc_lo
	s_delay_alu instid0(VALU_DEP_1) | instskip(SKIP_1) | instid1(VALU_DEP_1)
	v_cmp_gt_i64_e32 vcc_lo, s[4:5], v[11:12]
	v_cmp_gt_u64_e64 s0, 0x10000, v[11:12]
	s_and_b32 s1, vcc_lo, s0
	s_delay_alu instid0(SALU_CYCLE_1)
	s_and_saveexec_b32 s0, s1
	s_cbranch_execz .LBB295_15
; %bb.14:                               ;   in Loop: Header=BB295_9 Depth=1
	v_add_co_u32 v13, vcc_lo, v20, s8
	v_add_co_ci_u32_e32 v14, vcc_lo, s9, v21, vcc_lo
	global_load_u8 v33, v[13:14], off
.LBB295_15:                             ;   in Loop: Header=BB295_9 Depth=1
	s_or_b32 exec_lo, exec_lo, s0
	v_add_co_u32 v13, vcc_lo, v4, s8
	v_add_co_ci_u32_e32 v14, vcc_lo, s9, v19, vcc_lo
	s_delay_alu instid0(VALU_DEP_1) | instskip(SKIP_1) | instid1(VALU_DEP_1)
	v_cmp_gt_i64_e32 vcc_lo, s[4:5], v[13:14]
	v_cmp_gt_u64_e64 s0, 0x10000, v[13:14]
	s_and_b32 s1, vcc_lo, s0
	s_delay_alu instid0(SALU_CYCLE_1)
	s_and_saveexec_b32 s0, s1
	s_cbranch_execz .LBB295_17
; %bb.16:                               ;   in Loop: Header=BB295_9 Depth=1
	v_add_co_u32 v34, vcc_lo, v17, s8
	v_add_co_ci_u32_e32 v35, vcc_lo, s9, v18, vcc_lo
	global_load_u8 v34, v[34:35], off
.LBB295_17:                             ;   in Loop: Header=BB295_9 Depth=1
	s_or_b32 exec_lo, exec_lo, s0
	s_waitcnt vmcnt(0)
	v_and_b32_e32 v1, 1, v31
	v_and_b32_e32 v35, 1, v32
	;; [unrolled: 1-line block ×4, first 2 shown]
	s_mov_b32 s10, exec_lo
	v_cmp_eq_u32_e64 s2, 1, v1
	v_cmp_eq_u32_e64 s1, 1, v35
	;; [unrolled: 1-line block ×3, first 2 shown]
	v_cmp_eq_u32_e32 vcc_lo, 1, v37
	v_cmpx_gt_u64_e64 s[6:7], v[7:8]
	s_cbranch_execnz .LBB295_21
; %bb.18:                               ;   in Loop: Header=BB295_9 Depth=1
	s_or_b32 exec_lo, exec_lo, s10
	s_delay_alu instid0(SALU_CYCLE_1)
	s_mov_b32 s3, exec_lo
	v_cmpx_gt_u64_e64 s[6:7], v[9:10]
	s_cbranch_execnz .LBB295_22
.LBB295_19:                             ;   in Loop: Header=BB295_9 Depth=1
	s_or_b32 exec_lo, exec_lo, s3
	s_delay_alu instid0(SALU_CYCLE_1)
	s_mov_b32 s2, exec_lo
	v_cmpx_gt_u64_e64 s[6:7], v[11:12]
	s_cbranch_execnz .LBB295_23
.LBB295_20:                             ;   in Loop: Header=BB295_9 Depth=1
	s_or_b32 exec_lo, exec_lo, s2
	s_delay_alu instid0(SALU_CYCLE_1)
	s_mov_b32 s1, exec_lo
	v_cmpx_gt_u64_e64 s[6:7], v[13:14]
	s_cbranch_execz .LBB295_8
	s_branch .LBB295_24
.LBB295_21:                             ;   in Loop: Header=BB295_9 Depth=1
	v_add_co_u32 v7, s3, s12, v3
	s_delay_alu instid0(VALU_DEP_1) | instskip(SKIP_3) | instid1(SALU_CYCLE_1)
	v_add_co_ci_u32_e64 v8, null, s13, 0, s3
	v_cndmask_b32_e64 v1, 0, 1.0, s2
	global_store_b64 v[7:8], v[1:2], off
	s_or_b32 exec_lo, exec_lo, s10
	s_mov_b32 s3, exec_lo
	v_cmpx_gt_u64_e64 s[6:7], v[9:10]
	s_cbranch_execz .LBB295_19
.LBB295_22:                             ;   in Loop: Header=BB295_9 Depth=1
	v_cndmask_b32_e64 v1, 0, 1.0, s1
	v_add_co_u32 v7, s1, s12, v30
	s_delay_alu instid0(VALU_DEP_1) | instskip(SKIP_2) | instid1(SALU_CYCLE_1)
	v_add_co_ci_u32_e64 v8, null, s13, 0, s1
	global_store_b64 v[7:8], v[1:2], off
	s_or_b32 exec_lo, exec_lo, s3
	s_mov_b32 s2, exec_lo
	v_cmpx_gt_u64_e64 s[6:7], v[11:12]
	s_cbranch_execz .LBB295_20
.LBB295_23:                             ;   in Loop: Header=BB295_9 Depth=1
	v_cndmask_b32_e64 v1, 0, 1.0, s0
	v_add_co_u32 v7, s0, s12, v22
	s_delay_alu instid0(VALU_DEP_1) | instskip(SKIP_2) | instid1(SALU_CYCLE_1)
	v_add_co_ci_u32_e64 v8, s0, s13, v23, s0
	global_store_b64 v[7:8], v[1:2], off
	s_or_b32 exec_lo, exec_lo, s2
	s_mov_b32 s1, exec_lo
	v_cmpx_gt_u64_e64 s[6:7], v[13:14]
	s_cbranch_execz .LBB295_8
.LBB295_24:                             ;   in Loop: Header=BB295_9 Depth=1
	v_cndmask_b32_e64 v1, 0, 1.0, vcc_lo
	v_add_co_u32 v7, vcc_lo, s12, v5
	v_add_co_ci_u32_e32 v8, vcc_lo, s13, v6, vcc_lo
	global_store_b64 v[7:8], v[1:2], off
	s_branch .LBB295_8
.LBB295_25:
	s_nop 0
	s_sendmsg sendmsg(MSG_DEALLOC_VGPRS)
	s_endpgm
	.section	.rodata,"a",@progbits
	.p2align	6, 0x0
	.amdhsa_kernel _ZN2at6native12_GLOBAL__N_125multi_tensor_apply_kernelINS1_18TensorListMetadataILi2EEENS1_11CopyFunctorIN3c107complexIfEEbLi2ELi1ELi1EEEJNS0_4CopyIS8_bEEEEEvT_T0_DpT1_
		.amdhsa_group_segment_fixed_size 0
		.amdhsa_private_segment_fixed_size 0
		.amdhsa_kernarg_size 3408
		.amdhsa_user_sgpr_count 15
		.amdhsa_user_sgpr_dispatch_ptr 0
		.amdhsa_user_sgpr_queue_ptr 0
		.amdhsa_user_sgpr_kernarg_segment_ptr 1
		.amdhsa_user_sgpr_dispatch_id 0
		.amdhsa_user_sgpr_private_segment_size 0
		.amdhsa_wavefront_size32 1
		.amdhsa_uses_dynamic_stack 0
		.amdhsa_enable_private_segment 0
		.amdhsa_system_sgpr_workgroup_id_x 1
		.amdhsa_system_sgpr_workgroup_id_y 0
		.amdhsa_system_sgpr_workgroup_id_z 0
		.amdhsa_system_sgpr_workgroup_info 0
		.amdhsa_system_vgpr_workitem_id 0
		.amdhsa_next_free_vgpr 38
		.amdhsa_next_free_sgpr 22
		.amdhsa_reserve_vcc 1
		.amdhsa_float_round_mode_32 0
		.amdhsa_float_round_mode_16_64 0
		.amdhsa_float_denorm_mode_32 3
		.amdhsa_float_denorm_mode_16_64 3
		.amdhsa_dx10_clamp 1
		.amdhsa_ieee_mode 1
		.amdhsa_fp16_overflow 0
		.amdhsa_workgroup_processor_mode 1
		.amdhsa_memory_ordered 1
		.amdhsa_forward_progress 0
		.amdhsa_shared_vgpr_count 0
		.amdhsa_exception_fp_ieee_invalid_op 0
		.amdhsa_exception_fp_denorm_src 0
		.amdhsa_exception_fp_ieee_div_zero 0
		.amdhsa_exception_fp_ieee_overflow 0
		.amdhsa_exception_fp_ieee_underflow 0
		.amdhsa_exception_fp_ieee_inexact 0
		.amdhsa_exception_int_div_zero 0
	.end_amdhsa_kernel
	.section	.text._ZN2at6native12_GLOBAL__N_125multi_tensor_apply_kernelINS1_18TensorListMetadataILi2EEENS1_11CopyFunctorIN3c107complexIfEEbLi2ELi1ELi1EEEJNS0_4CopyIS8_bEEEEEvT_T0_DpT1_,"axG",@progbits,_ZN2at6native12_GLOBAL__N_125multi_tensor_apply_kernelINS1_18TensorListMetadataILi2EEENS1_11CopyFunctorIN3c107complexIfEEbLi2ELi1ELi1EEEJNS0_4CopyIS8_bEEEEEvT_T0_DpT1_,comdat
.Lfunc_end295:
	.size	_ZN2at6native12_GLOBAL__N_125multi_tensor_apply_kernelINS1_18TensorListMetadataILi2EEENS1_11CopyFunctorIN3c107complexIfEEbLi2ELi1ELi1EEEJNS0_4CopyIS8_bEEEEEvT_T0_DpT1_, .Lfunc_end295-_ZN2at6native12_GLOBAL__N_125multi_tensor_apply_kernelINS1_18TensorListMetadataILi2EEENS1_11CopyFunctorIN3c107complexIfEEbLi2ELi1ELi1EEEJNS0_4CopyIS8_bEEEEEvT_T0_DpT1_
                                        ; -- End function
	.section	.AMDGPU.csdata,"",@progbits
; Kernel info:
; codeLenInByte = 1524
; NumSgprs: 24
; NumVgprs: 38
; ScratchSize: 0
; MemoryBound: 0
; FloatMode: 240
; IeeeMode: 1
; LDSByteSize: 0 bytes/workgroup (compile time only)
; SGPRBlocks: 2
; VGPRBlocks: 4
; NumSGPRsForWavesPerEU: 24
; NumVGPRsForWavesPerEU: 38
; Occupancy: 16
; WaveLimiterHint : 0
; COMPUTE_PGM_RSRC2:SCRATCH_EN: 0
; COMPUTE_PGM_RSRC2:USER_SGPR: 15
; COMPUTE_PGM_RSRC2:TRAP_HANDLER: 0
; COMPUTE_PGM_RSRC2:TGID_X_EN: 1
; COMPUTE_PGM_RSRC2:TGID_Y_EN: 0
; COMPUTE_PGM_RSRC2:TGID_Z_EN: 0
; COMPUTE_PGM_RSRC2:TIDIG_COMP_CNT: 0
	.section	.text._ZN2at6native12_GLOBAL__N_125multi_tensor_apply_kernelINS1_18TensorListMetadataILi2EEENS1_11CopyFunctorIN3c107complexIfEENS6_13Float8_e4m3fnELi2ELi1ELi1EEEJNS0_4CopyIS8_S9_EEEEEvT_T0_DpT1_,"axG",@progbits,_ZN2at6native12_GLOBAL__N_125multi_tensor_apply_kernelINS1_18TensorListMetadataILi2EEENS1_11CopyFunctorIN3c107complexIfEENS6_13Float8_e4m3fnELi2ELi1ELi1EEEJNS0_4CopyIS8_S9_EEEEEvT_T0_DpT1_,comdat
	.globl	_ZN2at6native12_GLOBAL__N_125multi_tensor_apply_kernelINS1_18TensorListMetadataILi2EEENS1_11CopyFunctorIN3c107complexIfEENS6_13Float8_e4m3fnELi2ELi1ELi1EEEJNS0_4CopyIS8_S9_EEEEEvT_T0_DpT1_ ; -- Begin function _ZN2at6native12_GLOBAL__N_125multi_tensor_apply_kernelINS1_18TensorListMetadataILi2EEENS1_11CopyFunctorIN3c107complexIfEENS6_13Float8_e4m3fnELi2ELi1ELi1EEEJNS0_4CopyIS8_S9_EEEEEvT_T0_DpT1_
	.p2align	8
	.type	_ZN2at6native12_GLOBAL__N_125multi_tensor_apply_kernelINS1_18TensorListMetadataILi2EEENS1_11CopyFunctorIN3c107complexIfEENS6_13Float8_e4m3fnELi2ELi1ELi1EEEJNS0_4CopyIS8_S9_EEEEEvT_T0_DpT1_,@function
_ZN2at6native12_GLOBAL__N_125multi_tensor_apply_kernelINS1_18TensorListMetadataILi2EEENS1_11CopyFunctorIN3c107complexIfEENS6_13Float8_e4m3fnELi2ELi1ELi1EEEJNS0_4CopyIS8_S9_EEEEEvT_T0_DpT1_: ; @_ZN2at6native12_GLOBAL__N_125multi_tensor_apply_kernelINS1_18TensorListMetadataILi2EEENS1_11CopyFunctorIN3c107complexIfEENS6_13Float8_e4m3fnELi2ELi1ELi1EEEJNS0_4CopyIS8_S9_EEEEEvT_T0_DpT1_
; %bb.0:
	v_mov_b32_e32 v1, s15
	s_add_u32 s2, s0, s15
	s_mul_hi_u32 s3, s15, 3
	s_mul_i32 s15, s15, 3
	s_addc_u32 s4, s1, 0
	global_load_u8 v1, v1, s[0:1] offset:1536
	s_add_u32 s2, s2, s15
	s_addc_u32 s3, s4, s3
	s_mov_b32 s19, 0
	s_load_b32 s4, s[2:3], 0x740
	s_mov_b32 s21, s19
	s_waitcnt vmcnt(0)
	v_readfirstlane_b32 s5, v1
	s_delay_alu instid0(VALU_DEP_1)
	s_lshl_b32 s5, s5, 3
	s_clause 0x2
	s_load_b64 s[6:7], s[0:1], s5 offset:0x0
	s_load_b64 s[2:3], s[0:1], s5 offset:0x200
	;; [unrolled: 1-line block ×3, first 2 shown]
	s_waitcnt lgkmcnt(0)
	s_ashr_i32 s5, s4, 31
	s_delay_alu instid0(SALU_CYCLE_1) | instskip(NEXT) | instid1(SALU_CYCLE_1)
	s_lshl_b64 s[8:9], s[4:5], 16
	s_add_u32 s14, s6, s8
	s_addc_u32 s15, s7, s9
	s_lshl_b64 s[10:11], s[4:5], 19
	s_mov_b32 s5, s19
	s_add_u32 s12, s2, s10
	s_addc_u32 s13, s3, s11
	s_and_b32 s20, s16, 3
	s_and_b32 s4, s12, 31
	;; [unrolled: 1-line block ×3, first 2 shown]
	s_or_b64 s[4:5], s[4:5], s[20:21]
	s_delay_alu instid0(SALU_CYCLE_1)
	s_or_b64 s[18:19], s[18:19], s[4:5]
	s_sub_u32 s4, s16, s8
	s_subb_u32 s5, s17, s9
	s_cmp_eq_u64 s[18:19], 0
	s_mov_b32 s16, -1
	s_cbranch_scc0 .LBB296_5
; %bb.1:
	v_dual_mov_b32 v2, 0 :: v_dual_lshlrev_b32 v1, 2, v0
	s_mov_b32 s16, exec_lo
	s_delay_alu instid0(VALU_DEP_1)
	v_cmpx_gt_i64_e64 s[4:5], v[1:2]
	s_cbranch_execz .LBB296_4
; %bb.2:
	s_load_b32 s17, s[0:1], 0xc5c
	v_dual_mov_b32 v8, v2 :: v_dual_lshlrev_b32 v3, 5, v0
	v_mov_b32_e32 v7, v1
	s_waitcnt lgkmcnt(0)
	s_and_b32 s18, s17, 0xffff
	s_delay_alu instid0(SALU_CYCLE_1) | instskip(SKIP_3) | instid1(VALU_DEP_1)
	s_lshl_b32 s17, s18, 2
	s_add_u32 s2, s2, s10
	s_addc_u32 s3, s3, s11
	v_add_co_u32 v5, s2, s2, v3
	v_add_co_ci_u32_e64 v6, null, s3, 0, s2
	s_mov_b32 s10, 0
	s_lshl_b32 s11, s18, 5
.LBB296_3:                              ; =>This Inner Loop Header: Depth=1
	v_add_co_u32 v3, vcc_lo, s14, v7
	v_add_co_ci_u32_e32 v4, vcc_lo, s15, v8, vcc_lo
	v_add_co_u32 v7, vcc_lo, s17, v7
	v_add_co_ci_u32_e32 v8, vcc_lo, 0, v8, vcc_lo
	global_load_b32 v1, v[3:4], off
	v_mov_b32_e32 v4, v2
	v_mov_b32_e32 v12, v2
	v_cmp_le_i64_e32 vcc_lo, s[4:5], v[7:8]
	v_cmp_lt_u64_e64 s2, 0xffff, v[7:8]
	v_mov_b32_e32 v10, v2
	s_delay_alu instid0(VALU_DEP_2) | instskip(NEXT) | instid1(SALU_CYCLE_1)
	s_or_b32 s2, vcc_lo, s2
	s_and_b32 s18, exec_lo, s2
	s_delay_alu instid0(SALU_CYCLE_1)
	s_or_b32 s10, s18, s10
	s_waitcnt vmcnt(0)
	v_lshlrev_b32_e32 v9, 16, v1
	v_lshlrev_b32_e32 v3, 24, v1
	v_and_b32_e32 v11, 0x7f000000, v1
	v_lshlrev_b32_e32 v13, 8, v1
	s_delay_alu instid0(VALU_DEP_3) | instskip(NEXT) | instid1(VALU_DEP_3)
	v_and_b32_e32 v14, 0x7f000000, v3
	v_clz_i32_u32_e32 v17, v11
	v_cmp_ne_u32_e32 vcc_lo, 0, v11
	s_delay_alu instid0(VALU_DEP_4)
	v_and_b32_e32 v16, 0x7f000000, v13
	v_add_nc_u32_e32 v18, 0x1000000, v11
	v_clz_i32_u32_e32 v19, v14
	v_min_u32_e32 v17, 32, v17
	v_add_nc_u32_e32 v20, 0x1000000, v14
	v_clz_i32_u32_e32 v23, v16
	v_ashrrev_i32_e32 v18, 8, v18
	v_min_u32_e32 v19, 32, v19
	v_sub_nc_u32_e64 v17, v17, 4 clamp
	v_ashrrev_i32_e32 v20, 8, v20
	v_min_u32_e32 v23, 32, v23
	v_add_nc_u32_e32 v24, 0x1000000, v16
	v_sub_nc_u32_e64 v19, v19, 4 clamp
	v_lshlrev_b32_e32 v25, v17, v11
	v_lshlrev_b32_e32 v17, 23, v17
	v_sub_nc_u32_e64 v23, v23, 4 clamp
	v_cmp_ne_u32_e64 s3, 0, v16
	v_lshlrev_b32_e32 v26, v19, v14
	v_lshrrev_b32_e32 v25, 4, v25
	v_lshlrev_b32_e32 v19, 23, v19
	v_lshlrev_b32_e32 v28, v23, v16
	;; [unrolled: 1-line block ×3, first 2 shown]
	v_lshrrev_b32_e32 v26, 4, v26
	v_sub_nc_u32_e32 v17, v25, v17
	v_ashrrev_i32_e32 v24, 8, v24
	v_lshrrev_b32_e32 v28, 4, v28
	s_delay_alu instid0(VALU_DEP_4) | instskip(NEXT) | instid1(VALU_DEP_4)
	v_sub_nc_u32_e32 v19, v26, v19
	v_add_nc_u32_e32 v17, 0x3c000000, v17
	s_delay_alu instid0(VALU_DEP_3) | instskip(NEXT) | instid1(VALU_DEP_3)
	v_sub_nc_u32_e32 v23, v28, v23
	v_add_nc_u32_e32 v19, 0x3c000000, v19
	s_delay_alu instid0(VALU_DEP_3) | instskip(NEXT) | instid1(VALU_DEP_3)
	v_and_or_b32 v17, 0x7f800000, v18, v17
	v_add_nc_u32_e32 v23, 0x3c000000, v23
	s_delay_alu instid0(VALU_DEP_3) | instskip(NEXT) | instid1(VALU_DEP_3)
	v_and_or_b32 v11, 0x7f800000, v20, v19
	v_cndmask_b32_e32 v16, 0, v17, vcc_lo
	v_cmp_ne_u32_e32 vcc_lo, 0, v14
	s_delay_alu instid0(VALU_DEP_3) | instskip(NEXT) | instid1(VALU_DEP_1)
	v_dual_cndmask_b32 v14, 0, v11 :: v_dual_and_b32 v15, 0x7f000000, v9
	v_clz_i32_u32_e32 v21, v15
	v_add_nc_u32_e32 v22, 0x1000000, v15
	v_cmp_ne_u32_e64 s2, 0, v15
	v_and_or_b32 v11, 0x80000000, v1, v16
	v_and_or_b32 v1, 0x80000000, v3, v14
	v_min_u32_e32 v21, 32, v21
	v_ashrrev_i32_e32 v22, 8, v22
	s_delay_alu instid0(VALU_DEP_2) | instskip(NEXT) | instid1(VALU_DEP_1)
	v_sub_nc_u32_e64 v21, v21, 4 clamp
	v_lshlrev_b32_e32 v27, v21, v15
	v_lshlrev_b32_e32 v21, 23, v21
	v_and_or_b32 v15, 0x7f800000, v24, v23
	s_delay_alu instid0(VALU_DEP_3) | instskip(NEXT) | instid1(VALU_DEP_2)
	v_lshrrev_b32_e32 v27, 4, v27
	v_cndmask_b32_e64 v15, 0, v15, s3
	s_delay_alu instid0(VALU_DEP_2) | instskip(NEXT) | instid1(VALU_DEP_1)
	v_sub_nc_u32_e32 v21, v27, v21
	v_add_nc_u32_e32 v21, 0x3c000000, v21
	s_delay_alu instid0(VALU_DEP_1) | instskip(NEXT) | instid1(VALU_DEP_1)
	v_and_or_b32 v18, 0x7f800000, v22, v21
	v_cndmask_b32_e64 v17, 0, v18, s2
	s_delay_alu instid0(VALU_DEP_1)
	v_and_or_b32 v3, 0x80000000, v9, v17
	v_and_or_b32 v9, 0x80000000, v13, v15
	s_clause 0x1
	global_store_b128 v[5:6], v[1:4], off
	global_store_b128 v[5:6], v[9:12], off offset:16
	v_add_co_u32 v5, vcc_lo, v5, s11
	v_add_co_ci_u32_e32 v6, vcc_lo, 0, v6, vcc_lo
	s_and_not1_b32 exec_lo, exec_lo, s10
	s_cbranch_execnz .LBB296_3
.LBB296_4:
	s_or_b32 exec_lo, exec_lo, s16
	s_mov_b32 s16, 0
.LBB296_5:
	s_delay_alu instid0(SALU_CYCLE_1)
	s_and_not1_b32 vcc_lo, exec_lo, s16
	s_cbranch_vccnz .LBB296_25
; %bb.6:
	v_cmp_lt_i64_e64 s2, s[4:5], 1
	s_delay_alu instid0(VALU_DEP_1)
	s_and_b32 vcc_lo, exec_lo, s2
	s_cbranch_vccnz .LBB296_25
; %bb.7:
	s_load_b32 s0, s[0:1], 0xc5c
	v_cmp_gt_u64_e64 s1, 0x10000, s[4:5]
	v_add_co_u32 v1, s2, s8, v0
	v_dual_mov_b32 v2, 0 :: v_dual_lshlrev_b32 v3, 3, v0
	v_add_co_ci_u32_e64 v7, null, s9, 0, s2
	s_delay_alu instid0(VALU_DEP_3) | instskip(NEXT) | instid1(VALU_DEP_3)
	v_add_co_u32 v15, vcc_lo, s6, v1
	v_mov_b32_e32 v4, v2
	s_delay_alu instid0(VALU_DEP_3)
	v_add_co_ci_u32_e32 v16, vcc_lo, s7, v7, vcc_lo
                                        ; implicit-def: $vgpr31
                                        ; implicit-def: $vgpr32
                                        ; implicit-def: $vgpr33
                                        ; implicit-def: $vgpr34
	s_waitcnt lgkmcnt(0)
	s_and_b32 s0, s0, 0xffff
	s_and_b32 s1, s1, exec_lo
	v_add_co_u32 v17, s10, v0, s0
	s_mul_i32 s14, s0, 3
	s_cselect_b32 s3, s5, 0
	s_cselect_b32 s2, s4, 0x10000
	s_lshl_b32 s11, s0, 1
	s_lshl_b32 s1, s0, 2
	v_add_co_ci_u32_e64 v18, null, 0, 0, s10
	s_lshl_b32 s10, s0, 5
	s_add_u32 s15, s8, s14
	s_addc_u32 s16, s9, 0
	s_add_u32 s15, s6, s15
	s_addc_u32 s16, s7, s16
	;; [unrolled: 2-line block ×4, first 2 shown]
	v_mad_u64_u32 v[5:6], null, s0, 24, v[3:4]
	s_add_u32 s6, s6, s0
	s_addc_u32 s7, s7, 0
	s_lshl_b32 s0, s0, 4
	v_add_co_u32 v4, s15, s15, v0
	v_add_co_u32 v8, s0, s0, v3
	;; [unrolled: 1-line block ×4, first 2 shown]
	v_add_co_u32 v25, vcc_lo, s6, v1
	v_add_co_ci_u32_e64 v27, null, 0, 0, s0
	v_add_co_u32 v29, s0, s11, v0
	v_add_co_ci_u32_e64 v19, null, s16, 0, s15
	v_lshlrev_b32_e32 v20, 3, v17
	v_or_b32_e32 v5, 4, v5
	v_add_co_ci_u32_e64 v22, null, 0, 0, s14
	v_add_co_ci_u32_e64 v24, null, s9, 0, s8
	v_add_co_ci_u32_e32 v26, vcc_lo, s7, v7, vcc_lo
	v_or_b32_e32 v28, 4, v8
	v_add_co_ci_u32_e64 v30, null, 0, 0, s0
	s_mov_b64 s[6:7], 0
	s_branch .LBB296_9
.LBB296_8:                              ;   in Loop: Header=BB296_9 Depth=1
	s_or_b32 exec_lo, exec_lo, s0
	s_add_u32 s6, s6, s1
	s_addc_u32 s7, s7, 0
	s_delay_alu instid0(SALU_CYCLE_1) | instskip(SKIP_1) | instid1(VALU_DEP_1)
	v_cmp_ge_i64_e64 s0, s[6:7], s[4:5]
	v_cmp_lt_u64_e64 s8, 0xffff, s[6:7]
	s_or_b32 s0, s0, s8
	s_add_u32 s12, s12, s10
	s_addc_u32 s13, s13, 0
	s_and_b32 vcc_lo, exec_lo, s0
	s_cbranch_vccnz .LBB296_25
.LBB296_9:                              ; =>This Inner Loop Header: Depth=1
	v_add_co_u32 v13, s0, v0, s6
	s_delay_alu instid0(VALU_DEP_1) | instskip(NEXT) | instid1(VALU_DEP_1)
	v_add_co_ci_u32_e64 v14, null, 0, s7, s0
	v_cmp_gt_i64_e32 vcc_lo, s[4:5], v[13:14]
	v_cmp_gt_u64_e64 s0, 0x10000, v[13:14]
	s_delay_alu instid0(VALU_DEP_1) | instskip(NEXT) | instid1(SALU_CYCLE_1)
	s_and_b32 s8, vcc_lo, s0
	s_and_saveexec_b32 s0, s8
	s_cbranch_execz .LBB296_11
; %bb.10:                               ;   in Loop: Header=BB296_9 Depth=1
	v_add_co_u32 v7, vcc_lo, v15, s6
	v_add_co_ci_u32_e32 v8, vcc_lo, s7, v16, vcc_lo
	global_load_u8 v34, v[7:8], off
.LBB296_11:                             ;   in Loop: Header=BB296_9 Depth=1
	s_or_b32 exec_lo, exec_lo, s0
	v_add_co_u32 v11, vcc_lo, v17, s6
	v_add_co_ci_u32_e32 v12, vcc_lo, s7, v18, vcc_lo
	s_delay_alu instid0(VALU_DEP_1) | instskip(SKIP_1) | instid1(VALU_DEP_1)
	v_cmp_gt_i64_e32 vcc_lo, s[4:5], v[11:12]
	v_cmp_gt_u64_e64 s0, 0x10000, v[11:12]
	s_and_b32 s8, vcc_lo, s0
	s_delay_alu instid0(SALU_CYCLE_1)
	s_and_saveexec_b32 s0, s8
	s_cbranch_execz .LBB296_13
; %bb.12:                               ;   in Loop: Header=BB296_9 Depth=1
	v_add_co_u32 v7, vcc_lo, v25, s6
	v_add_co_ci_u32_e32 v8, vcc_lo, s7, v26, vcc_lo
	global_load_u8 v33, v[7:8], off
.LBB296_13:                             ;   in Loop: Header=BB296_9 Depth=1
	s_or_b32 exec_lo, exec_lo, s0
	v_add_co_u32 v9, vcc_lo, v29, s6
	v_add_co_ci_u32_e32 v10, vcc_lo, s7, v30, vcc_lo
	s_delay_alu instid0(VALU_DEP_1) | instskip(SKIP_1) | instid1(VALU_DEP_1)
	v_cmp_gt_i64_e32 vcc_lo, s[4:5], v[9:10]
	v_cmp_gt_u64_e64 s0, 0x10000, v[9:10]
	s_and_b32 s8, vcc_lo, s0
	s_delay_alu instid0(SALU_CYCLE_1)
	;; [unrolled: 15-line block ×3, first 2 shown]
	s_and_saveexec_b32 s0, s8
	s_cbranch_execnz .LBB296_20
; %bb.16:                               ;   in Loop: Header=BB296_9 Depth=1
	s_or_b32 exec_lo, exec_lo, s0
	s_delay_alu instid0(SALU_CYCLE_1)
	s_mov_b32 s0, exec_lo
	v_cmpx_gt_u64_e64 s[2:3], v[13:14]
	s_cbranch_execnz .LBB296_21
.LBB296_17:                             ;   in Loop: Header=BB296_9 Depth=1
	s_or_b32 exec_lo, exec_lo, s0
	s_delay_alu instid0(SALU_CYCLE_1)
	s_mov_b32 s0, exec_lo
	v_cmpx_gt_u64_e64 s[2:3], v[11:12]
	s_cbranch_execnz .LBB296_22
.LBB296_18:                             ;   in Loop: Header=BB296_9 Depth=1
	s_or_b32 exec_lo, exec_lo, s0
	s_delay_alu instid0(SALU_CYCLE_1)
	s_mov_b32 s0, exec_lo
	v_cmpx_gt_u64_e64 s[2:3], v[9:10]
	s_cbranch_execnz .LBB296_23
.LBB296_19:                             ;   in Loop: Header=BB296_9 Depth=1
	s_or_b32 exec_lo, exec_lo, s0
	s_delay_alu instid0(SALU_CYCLE_1)
	s_mov_b32 s0, exec_lo
	v_cmpx_gt_u64_e64 s[2:3], v[7:8]
	s_cbranch_execz .LBB296_8
	s_branch .LBB296_24
.LBB296_20:                             ;   in Loop: Header=BB296_9 Depth=1
	v_add_co_u32 v35, vcc_lo, v4, s6
	v_add_co_ci_u32_e32 v36, vcc_lo, s7, v19, vcc_lo
	global_load_u8 v31, v[35:36], off
	s_or_b32 exec_lo, exec_lo, s0
	s_delay_alu instid0(SALU_CYCLE_1)
	s_mov_b32 s0, exec_lo
	v_cmpx_gt_u64_e64 s[2:3], v[13:14]
	s_cbranch_execz .LBB296_17
.LBB296_21:                             ;   in Loop: Header=BB296_9 Depth=1
	s_waitcnt vmcnt(0)
	v_lshlrev_b32_e32 v1, 24, v34
	s_delay_alu instid0(VALU_DEP_1) | instskip(NEXT) | instid1(VALU_DEP_1)
	v_and_b32_e32 v13, 0x7f000000, v1
	v_clz_i32_u32_e32 v14, v13
	v_cmp_ne_u32_e32 vcc_lo, 0, v13
	v_add_nc_u32_e32 v36, 0x1000000, v13
	s_delay_alu instid0(VALU_DEP_3) | instskip(NEXT) | instid1(VALU_DEP_1)
	v_min_u32_e32 v14, 32, v14
	v_sub_nc_u32_e64 v14, v14, 4 clamp
	s_delay_alu instid0(VALU_DEP_1) | instskip(SKIP_1) | instid1(VALU_DEP_2)
	v_lshlrev_b32_e32 v35, v14, v13
	v_lshlrev_b32_e32 v14, 23, v14
	v_lshrrev_b32_e32 v35, 4, v35
	s_delay_alu instid0(VALU_DEP_1) | instskip(SKIP_1) | instid1(VALU_DEP_2)
	v_sub_nc_u32_e32 v14, v35, v14
	v_ashrrev_i32_e32 v35, 8, v36
	v_add_nc_u32_e32 v14, 0x3c000000, v14
	s_delay_alu instid0(VALU_DEP_1) | instskip(NEXT) | instid1(VALU_DEP_1)
	v_and_or_b32 v14, 0x7f800000, v35, v14
	v_cndmask_b32_e32 v13, 0, v14, vcc_lo
	s_delay_alu instid0(VALU_DEP_1) | instskip(SKIP_1) | instid1(VALU_DEP_1)
	v_and_or_b32 v1, 0x80000000, v1, v13
	v_add_co_u32 v13, s8, s12, v3
	v_add_co_ci_u32_e64 v14, null, s13, 0, s8
	global_store_b64 v[13:14], v[1:2], off
	s_or_b32 exec_lo, exec_lo, s0
	s_delay_alu instid0(SALU_CYCLE_1)
	s_mov_b32 s0, exec_lo
	v_cmpx_gt_u64_e64 s[2:3], v[11:12]
	s_cbranch_execz .LBB296_18
.LBB296_22:                             ;   in Loop: Header=BB296_9 Depth=1
	s_waitcnt vmcnt(0)
	v_lshlrev_b32_e32 v1, 24, v33
	s_delay_alu instid0(VALU_DEP_1) | instskip(NEXT) | instid1(VALU_DEP_1)
	v_and_b32_e32 v11, 0x7f000000, v1
	v_clz_i32_u32_e32 v12, v11
	v_cmp_ne_u32_e32 vcc_lo, 0, v11
	v_add_nc_u32_e32 v14, 0x1000000, v11
	s_delay_alu instid0(VALU_DEP_3) | instskip(NEXT) | instid1(VALU_DEP_1)
	v_min_u32_e32 v12, 32, v12
	v_sub_nc_u32_e64 v12, v12, 4 clamp
	s_delay_alu instid0(VALU_DEP_1) | instskip(SKIP_1) | instid1(VALU_DEP_2)
	v_lshlrev_b32_e32 v13, v12, v11
	v_lshlrev_b32_e32 v12, 23, v12
	v_lshrrev_b32_e32 v13, 4, v13
	s_delay_alu instid0(VALU_DEP_1) | instskip(SKIP_1) | instid1(VALU_DEP_2)
	v_sub_nc_u32_e32 v12, v13, v12
	v_ashrrev_i32_e32 v13, 8, v14
	v_add_nc_u32_e32 v12, 0x3c000000, v12
	s_delay_alu instid0(VALU_DEP_1) | instskip(NEXT) | instid1(VALU_DEP_1)
	v_and_or_b32 v12, 0x7f800000, v13, v12
	v_cndmask_b32_e32 v11, 0, v12, vcc_lo
	s_delay_alu instid0(VALU_DEP_1) | instskip(SKIP_1) | instid1(VALU_DEP_1)
	v_and_or_b32 v1, 0x80000000, v1, v11
	v_add_co_u32 v11, s8, s12, v20
	v_add_co_ci_u32_e64 v12, null, s13, 0, s8
	global_store_b64 v[11:12], v[1:2], off
	s_or_b32 exec_lo, exec_lo, s0
	s_delay_alu instid0(SALU_CYCLE_1)
	s_mov_b32 s0, exec_lo
	v_cmpx_gt_u64_e64 s[2:3], v[9:10]
	s_cbranch_execz .LBB296_19
.LBB296_23:                             ;   in Loop: Header=BB296_9 Depth=1
	s_waitcnt vmcnt(0)
	v_lshlrev_b32_e32 v1, 24, v32
	s_delay_alu instid0(VALU_DEP_1) | instskip(NEXT) | instid1(VALU_DEP_1)
	v_and_b32_e32 v9, 0x7f000000, v1
	v_clz_i32_u32_e32 v10, v9
	v_cmp_ne_u32_e32 vcc_lo, 0, v9
	v_add_nc_u32_e32 v12, 0x1000000, v9
	s_delay_alu instid0(VALU_DEP_3) | instskip(NEXT) | instid1(VALU_DEP_1)
	v_min_u32_e32 v10, 32, v10
	v_sub_nc_u32_e64 v10, v10, 4 clamp
	s_delay_alu instid0(VALU_DEP_1) | instskip(SKIP_1) | instid1(VALU_DEP_2)
	v_lshlrev_b32_e32 v11, v10, v9
	v_lshlrev_b32_e32 v10, 23, v10
	v_lshrrev_b32_e32 v11, 4, v11
	s_delay_alu instid0(VALU_DEP_1) | instskip(SKIP_1) | instid1(VALU_DEP_2)
	v_sub_nc_u32_e32 v10, v11, v10
	v_ashrrev_i32_e32 v11, 8, v12
	v_add_nc_u32_e32 v10, 0x3c000000, v10
	s_delay_alu instid0(VALU_DEP_1) | instskip(NEXT) | instid1(VALU_DEP_1)
	v_and_or_b32 v10, 0x7f800000, v11, v10
	v_cndmask_b32_e32 v9, 0, v10, vcc_lo
	s_delay_alu instid0(VALU_DEP_1) | instskip(SKIP_4) | instid1(SALU_CYCLE_1)
	v_and_or_b32 v1, 0x80000000, v1, v9
	v_add_co_u32 v9, vcc_lo, s12, v28
	v_add_co_ci_u32_e32 v10, vcc_lo, s13, v27, vcc_lo
	global_store_b64 v[9:10], v[1:2], off offset:-4
	s_or_b32 exec_lo, exec_lo, s0
	s_mov_b32 s0, exec_lo
	v_cmpx_gt_u64_e64 s[2:3], v[7:8]
	s_cbranch_execz .LBB296_8
.LBB296_24:                             ;   in Loop: Header=BB296_9 Depth=1
	s_waitcnt vmcnt(0)
	v_lshlrev_b32_e32 v1, 24, v31
	s_delay_alu instid0(VALU_DEP_1) | instskip(NEXT) | instid1(VALU_DEP_1)
	v_and_b32_e32 v7, 0x7f000000, v1
	v_clz_i32_u32_e32 v8, v7
	v_cmp_ne_u32_e32 vcc_lo, 0, v7
	v_add_nc_u32_e32 v10, 0x1000000, v7
	s_delay_alu instid0(VALU_DEP_3) | instskip(NEXT) | instid1(VALU_DEP_1)
	v_min_u32_e32 v8, 32, v8
	v_sub_nc_u32_e64 v8, v8, 4 clamp
	s_delay_alu instid0(VALU_DEP_1) | instskip(SKIP_1) | instid1(VALU_DEP_2)
	v_lshlrev_b32_e32 v9, v8, v7
	v_lshlrev_b32_e32 v8, 23, v8
	v_lshrrev_b32_e32 v9, 4, v9
	s_delay_alu instid0(VALU_DEP_1) | instskip(SKIP_1) | instid1(VALU_DEP_2)
	v_sub_nc_u32_e32 v8, v9, v8
	v_ashrrev_i32_e32 v9, 8, v10
	v_add_nc_u32_e32 v8, 0x3c000000, v8
	s_delay_alu instid0(VALU_DEP_1) | instskip(NEXT) | instid1(VALU_DEP_1)
	v_and_or_b32 v8, 0x7f800000, v9, v8
	v_cndmask_b32_e32 v7, 0, v8, vcc_lo
	s_delay_alu instid0(VALU_DEP_1)
	v_and_or_b32 v1, 0x80000000, v1, v7
	v_add_co_u32 v7, vcc_lo, s12, v5
	v_add_co_ci_u32_e32 v8, vcc_lo, s13, v6, vcc_lo
	global_store_b64 v[7:8], v[1:2], off offset:-4
	s_branch .LBB296_8
.LBB296_25:
	s_nop 0
	s_sendmsg sendmsg(MSG_DEALLOC_VGPRS)
	s_endpgm
	.section	.rodata,"a",@progbits
	.p2align	6, 0x0
	.amdhsa_kernel _ZN2at6native12_GLOBAL__N_125multi_tensor_apply_kernelINS1_18TensorListMetadataILi2EEENS1_11CopyFunctorIN3c107complexIfEENS6_13Float8_e4m3fnELi2ELi1ELi1EEEJNS0_4CopyIS8_S9_EEEEEvT_T0_DpT1_
		.amdhsa_group_segment_fixed_size 0
		.amdhsa_private_segment_fixed_size 0
		.amdhsa_kernarg_size 3408
		.amdhsa_user_sgpr_count 15
		.amdhsa_user_sgpr_dispatch_ptr 0
		.amdhsa_user_sgpr_queue_ptr 0
		.amdhsa_user_sgpr_kernarg_segment_ptr 1
		.amdhsa_user_sgpr_dispatch_id 0
		.amdhsa_user_sgpr_private_segment_size 0
		.amdhsa_wavefront_size32 1
		.amdhsa_uses_dynamic_stack 0
		.amdhsa_enable_private_segment 0
		.amdhsa_system_sgpr_workgroup_id_x 1
		.amdhsa_system_sgpr_workgroup_id_y 0
		.amdhsa_system_sgpr_workgroup_id_z 0
		.amdhsa_system_sgpr_workgroup_info 0
		.amdhsa_system_vgpr_workitem_id 0
		.amdhsa_next_free_vgpr 37
		.amdhsa_next_free_sgpr 22
		.amdhsa_reserve_vcc 1
		.amdhsa_float_round_mode_32 0
		.amdhsa_float_round_mode_16_64 0
		.amdhsa_float_denorm_mode_32 3
		.amdhsa_float_denorm_mode_16_64 3
		.amdhsa_dx10_clamp 1
		.amdhsa_ieee_mode 1
		.amdhsa_fp16_overflow 0
		.amdhsa_workgroup_processor_mode 1
		.amdhsa_memory_ordered 1
		.amdhsa_forward_progress 0
		.amdhsa_shared_vgpr_count 0
		.amdhsa_exception_fp_ieee_invalid_op 0
		.amdhsa_exception_fp_denorm_src 0
		.amdhsa_exception_fp_ieee_div_zero 0
		.amdhsa_exception_fp_ieee_overflow 0
		.amdhsa_exception_fp_ieee_underflow 0
		.amdhsa_exception_fp_ieee_inexact 0
		.amdhsa_exception_int_div_zero 0
	.end_amdhsa_kernel
	.section	.text._ZN2at6native12_GLOBAL__N_125multi_tensor_apply_kernelINS1_18TensorListMetadataILi2EEENS1_11CopyFunctorIN3c107complexIfEENS6_13Float8_e4m3fnELi2ELi1ELi1EEEJNS0_4CopyIS8_S9_EEEEEvT_T0_DpT1_,"axG",@progbits,_ZN2at6native12_GLOBAL__N_125multi_tensor_apply_kernelINS1_18TensorListMetadataILi2EEENS1_11CopyFunctorIN3c107complexIfEENS6_13Float8_e4m3fnELi2ELi1ELi1EEEJNS0_4CopyIS8_S9_EEEEEvT_T0_DpT1_,comdat
.Lfunc_end296:
	.size	_ZN2at6native12_GLOBAL__N_125multi_tensor_apply_kernelINS1_18TensorListMetadataILi2EEENS1_11CopyFunctorIN3c107complexIfEENS6_13Float8_e4m3fnELi2ELi1ELi1EEEJNS0_4CopyIS8_S9_EEEEEvT_T0_DpT1_, .Lfunc_end296-_ZN2at6native12_GLOBAL__N_125multi_tensor_apply_kernelINS1_18TensorListMetadataILi2EEENS1_11CopyFunctorIN3c107complexIfEENS6_13Float8_e4m3fnELi2ELi1ELi1EEEJNS0_4CopyIS8_S9_EEEEEvT_T0_DpT1_
                                        ; -- End function
	.section	.AMDGPU.csdata,"",@progbits
; Kernel info:
; codeLenInByte = 2316
; NumSgprs: 24
; NumVgprs: 37
; ScratchSize: 0
; MemoryBound: 0
; FloatMode: 240
; IeeeMode: 1
; LDSByteSize: 0 bytes/workgroup (compile time only)
; SGPRBlocks: 2
; VGPRBlocks: 4
; NumSGPRsForWavesPerEU: 24
; NumVGPRsForWavesPerEU: 37
; Occupancy: 16
; WaveLimiterHint : 0
; COMPUTE_PGM_RSRC2:SCRATCH_EN: 0
; COMPUTE_PGM_RSRC2:USER_SGPR: 15
; COMPUTE_PGM_RSRC2:TRAP_HANDLER: 0
; COMPUTE_PGM_RSRC2:TGID_X_EN: 1
; COMPUTE_PGM_RSRC2:TGID_Y_EN: 0
; COMPUTE_PGM_RSRC2:TGID_Z_EN: 0
; COMPUTE_PGM_RSRC2:TIDIG_COMP_CNT: 0
	.section	.text._ZN2at6native12_GLOBAL__N_125multi_tensor_apply_kernelINS1_18TensorListMetadataILi2EEENS1_11CopyFunctorIN3c107complexIfEENS6_15Float8_e4m3fnuzELi2ELi1ELi1EEEJNS0_4CopyIS8_S9_EEEEEvT_T0_DpT1_,"axG",@progbits,_ZN2at6native12_GLOBAL__N_125multi_tensor_apply_kernelINS1_18TensorListMetadataILi2EEENS1_11CopyFunctorIN3c107complexIfEENS6_15Float8_e4m3fnuzELi2ELi1ELi1EEEJNS0_4CopyIS8_S9_EEEEEvT_T0_DpT1_,comdat
	.globl	_ZN2at6native12_GLOBAL__N_125multi_tensor_apply_kernelINS1_18TensorListMetadataILi2EEENS1_11CopyFunctorIN3c107complexIfEENS6_15Float8_e4m3fnuzELi2ELi1ELi1EEEJNS0_4CopyIS8_S9_EEEEEvT_T0_DpT1_ ; -- Begin function _ZN2at6native12_GLOBAL__N_125multi_tensor_apply_kernelINS1_18TensorListMetadataILi2EEENS1_11CopyFunctorIN3c107complexIfEENS6_15Float8_e4m3fnuzELi2ELi1ELi1EEEJNS0_4CopyIS8_S9_EEEEEvT_T0_DpT1_
	.p2align	8
	.type	_ZN2at6native12_GLOBAL__N_125multi_tensor_apply_kernelINS1_18TensorListMetadataILi2EEENS1_11CopyFunctorIN3c107complexIfEENS6_15Float8_e4m3fnuzELi2ELi1ELi1EEEJNS0_4CopyIS8_S9_EEEEEvT_T0_DpT1_,@function
_ZN2at6native12_GLOBAL__N_125multi_tensor_apply_kernelINS1_18TensorListMetadataILi2EEENS1_11CopyFunctorIN3c107complexIfEENS6_15Float8_e4m3fnuzELi2ELi1ELi1EEEJNS0_4CopyIS8_S9_EEEEEvT_T0_DpT1_: ; @_ZN2at6native12_GLOBAL__N_125multi_tensor_apply_kernelINS1_18TensorListMetadataILi2EEENS1_11CopyFunctorIN3c107complexIfEENS6_15Float8_e4m3fnuzELi2ELi1ELi1EEEJNS0_4CopyIS8_S9_EEEEEvT_T0_DpT1_
; %bb.0:
	v_mov_b32_e32 v1, s15
	s_add_u32 s2, s0, s15
	s_mul_hi_u32 s3, s15, 3
	s_mul_i32 s15, s15, 3
	s_addc_u32 s4, s1, 0
	global_load_u8 v1, v1, s[0:1] offset:1536
	s_add_u32 s2, s2, s15
	s_addc_u32 s3, s4, s3
	s_mov_b32 s19, 0
	s_load_b32 s4, s[2:3], 0x740
	s_mov_b32 s21, s19
	s_waitcnt vmcnt(0)
	v_readfirstlane_b32 s5, v1
	s_delay_alu instid0(VALU_DEP_1)
	s_lshl_b32 s5, s5, 3
	s_clause 0x2
	s_load_b64 s[6:7], s[0:1], s5 offset:0x0
	s_load_b64 s[2:3], s[0:1], s5 offset:0x200
	;; [unrolled: 1-line block ×3, first 2 shown]
	s_waitcnt lgkmcnt(0)
	s_ashr_i32 s5, s4, 31
	s_delay_alu instid0(SALU_CYCLE_1) | instskip(NEXT) | instid1(SALU_CYCLE_1)
	s_lshl_b64 s[8:9], s[4:5], 16
	s_add_u32 s14, s6, s8
	s_addc_u32 s15, s7, s9
	s_lshl_b64 s[10:11], s[4:5], 19
	s_mov_b32 s5, s19
	s_add_u32 s12, s2, s10
	s_addc_u32 s13, s3, s11
	s_and_b32 s20, s16, 3
	s_and_b32 s4, s12, 31
	s_and_b32 s18, s14, 3
	s_or_b64 s[4:5], s[4:5], s[20:21]
	s_delay_alu instid0(SALU_CYCLE_1)
	s_or_b64 s[18:19], s[18:19], s[4:5]
	s_sub_u32 s4, s16, s8
	s_subb_u32 s5, s17, s9
	s_cmp_eq_u64 s[18:19], 0
	s_mov_b32 s16, -1
	s_cbranch_scc0 .LBB297_37
; %bb.1:
	v_dual_mov_b32 v2, 0 :: v_dual_lshlrev_b32 v1, 2, v0
	s_mov_b32 s16, exec_lo
	s_delay_alu instid0(VALU_DEP_1)
	v_cmpx_gt_i64_e64 s[4:5], v[1:2]
	s_cbranch_execz .LBB297_36
; %bb.2:
	s_load_b32 s17, s[0:1], 0xc5c
	v_dual_mov_b32 v12, v2 :: v_dual_lshlrev_b32 v3, 5, v0
	v_mov_b32_e32 v11, v1
	s_waitcnt lgkmcnt(0)
	s_and_b32 s18, s17, 0xffff
	s_delay_alu instid0(SALU_CYCLE_1) | instskip(SKIP_3) | instid1(VALU_DEP_1)
	s_lshl_b32 s17, s18, 2
	s_add_u32 s2, s2, s10
	s_addc_u32 s3, s3, s11
	v_add_co_u32 v9, s2, s2, v3
	v_add_co_ci_u32_e64 v10, null, s3, 0, s2
	s_mov_b32 s3, 0
	s_lshl_b32 s10, s18, 5
	s_branch .LBB297_4
.LBB297_3:                              ;   in Loop: Header=BB297_4 Depth=1
	s_or_b32 exec_lo, exec_lo, s11
	v_add_co_u32 v11, vcc_lo, s17, v11
	v_add_co_ci_u32_e32 v12, vcc_lo, 0, v12, vcc_lo
	v_mov_b32_e32 v4, v2
	v_mov_b32_e32 v6, v2
	;; [unrolled: 1-line block ×3, first 2 shown]
	s_delay_alu instid0(VALU_DEP_4)
	v_cmp_le_i64_e32 vcc_lo, s[4:5], v[11:12]
	v_cmp_lt_u64_e64 s2, 0xffff, v[11:12]
	s_clause 0x1
	global_store_b128 v[9:10], v[1:4], off
	global_store_b128 v[9:10], v[5:8], off offset:16
	s_or_b32 s2, vcc_lo, s2
	v_add_co_u32 v9, vcc_lo, v9, s10
	v_add_co_ci_u32_e32 v10, vcc_lo, 0, v10, vcc_lo
	s_and_b32 s2, exec_lo, s2
	s_delay_alu instid0(SALU_CYCLE_1) | instskip(NEXT) | instid1(SALU_CYCLE_1)
	s_or_b32 s3, s2, s3
	s_and_not1_b32 exec_lo, exec_lo, s3
	s_cbranch_execz .LBB297_36
.LBB297_4:                              ; =>This Inner Loop Header: Depth=1
	v_add_co_u32 v3, vcc_lo, s14, v11
	v_add_co_ci_u32_e32 v4, vcc_lo, s15, v12, vcc_lo
	s_mov_b32 s2, 0
	s_mov_b32 s18, exec_lo
                                        ; implicit-def: $sgpr11
	global_load_b32 v4, v[3:4], off
	s_waitcnt vmcnt(0)
	v_and_b32_e32 v3, 0xff, v4
	s_delay_alu instid0(VALU_DEP_1)
	v_cmpx_lt_i16_e32 0x7f, v3
	s_xor_b32 s18, exec_lo, s18
	s_cbranch_execnz .LBB297_19
; %bb.5:                                ;   in Loop: Header=BB297_4 Depth=1
	s_or_saveexec_b32 s18, s18
	v_mov_b32_e32 v1, s11
	s_xor_b32 exec_lo, exec_lo, s18
	s_cbranch_execnz .LBB297_22
.LBB297_6:                              ;   in Loop: Header=BB297_4 Depth=1
	s_or_b32 exec_lo, exec_lo, s18
	s_and_saveexec_b32 s11, s2
	s_cbranch_execz .LBB297_8
.LBB297_7:                              ;   in Loop: Header=BB297_4 Depth=1
	v_and_b32_e32 v1, 7, v4
	v_bfe_u32 v6, v4, 3, 4
	v_lshlrev_b32_e32 v7, 24, v4
	s_delay_alu instid0(VALU_DEP_3) | instskip(NEXT) | instid1(VALU_DEP_3)
	v_clz_i32_u32_e32 v3, v1
	v_cmp_eq_u32_e32 vcc_lo, 0, v6
	s_delay_alu instid0(VALU_DEP_2) | instskip(NEXT) | instid1(VALU_DEP_1)
	v_min_u32_e32 v3, 32, v3
	v_subrev_nc_u32_e32 v5, 28, v3
	v_sub_nc_u32_e32 v3, 29, v3
	s_delay_alu instid0(VALU_DEP_2) | instskip(NEXT) | instid1(VALU_DEP_2)
	v_lshlrev_b32_e32 v5, v5, v4
	v_cndmask_b32_e32 v3, v6, v3, vcc_lo
	s_delay_alu instid0(VALU_DEP_2) | instskip(NEXT) | instid1(VALU_DEP_2)
	v_and_b32_e32 v5, 7, v5
	v_lshl_add_u32 v3, v3, 23, 0x3b800000
	s_delay_alu instid0(VALU_DEP_2) | instskip(SKIP_1) | instid1(VALU_DEP_2)
	v_cndmask_b32_e32 v1, v1, v5, vcc_lo
	v_and_b32_e32 v5, 0x80000000, v7
	v_lshlrev_b32_e32 v1, 20, v1
	s_delay_alu instid0(VALU_DEP_1)
	v_or3_b32 v1, v5, v3, v1
.LBB297_8:                              ;   in Loop: Header=BB297_4 Depth=1
	s_or_b32 exec_lo, exec_lo, s11
	v_lshrrev_b32_e32 v5, 8, v4
	s_mov_b32 s2, 0
	s_mov_b32 s18, exec_lo
                                        ; implicit-def: $sgpr11
	s_delay_alu instid0(VALU_DEP_1) | instskip(NEXT) | instid1(VALU_DEP_1)
	v_and_b32_e32 v6, 0xff, v5
	v_cmpx_lt_i16_e32 0x7f, v6
	s_xor_b32 s18, exec_lo, s18
	s_cbranch_execnz .LBB297_23
; %bb.9:                                ;   in Loop: Header=BB297_4 Depth=1
	s_or_saveexec_b32 s18, s18
	v_mov_b32_e32 v3, s11
	s_xor_b32 exec_lo, exec_lo, s18
	s_cbranch_execnz .LBB297_26
.LBB297_10:                             ;   in Loop: Header=BB297_4 Depth=1
	s_or_b32 exec_lo, exec_lo, s18
	s_and_saveexec_b32 s11, s2
	s_cbranch_execz .LBB297_12
.LBB297_11:                             ;   in Loop: Header=BB297_4 Depth=1
	v_bfe_u32 v3, v4, 8, 3
	v_bfe_u32 v8, v4, 11, 4
	s_delay_alu instid0(VALU_DEP_2) | instskip(NEXT) | instid1(VALU_DEP_2)
	v_clz_i32_u32_e32 v6, v3
	v_cmp_eq_u32_e32 vcc_lo, 0, v8
	s_delay_alu instid0(VALU_DEP_2) | instskip(NEXT) | instid1(VALU_DEP_1)
	v_min_u32_e32 v6, 32, v6
	v_subrev_nc_u32_e32 v7, 28, v6
	v_sub_nc_u32_e32 v6, 29, v6
	s_delay_alu instid0(VALU_DEP_1) | instskip(SKIP_1) | instid1(VALU_DEP_2)
	v_dual_cndmask_b32 v6, v8, v6 :: v_dual_lshlrev_b32 v7, v7, v5
	v_lshlrev_b32_e32 v5, 24, v5
	v_and_b32_e32 v7, 7, v7
	s_delay_alu instid0(VALU_DEP_3) | instskip(NEXT) | instid1(VALU_DEP_3)
	v_lshl_add_u32 v6, v6, 23, 0x3b800000
	v_and_b32_e32 v5, 0x80000000, v5
	s_delay_alu instid0(VALU_DEP_3) | instskip(NEXT) | instid1(VALU_DEP_1)
	v_cndmask_b32_e32 v3, v3, v7, vcc_lo
	v_lshlrev_b32_e32 v3, 20, v3
	s_delay_alu instid0(VALU_DEP_1)
	v_or3_b32 v3, v5, v6, v3
.LBB297_12:                             ;   in Loop: Header=BB297_4 Depth=1
	s_or_b32 exec_lo, exec_lo, s11
	v_lshrrev_b32_e32 v6, 16, v4
	s_mov_b32 s2, 0
	s_mov_b32 s18, exec_lo
                                        ; implicit-def: $sgpr11
	s_delay_alu instid0(VALU_DEP_1) | instskip(NEXT) | instid1(VALU_DEP_1)
	v_and_b32_e32 v7, 0xff, v6
	v_cmpx_lt_i16_e32 0x7f, v7
	s_xor_b32 s18, exec_lo, s18
	s_cbranch_execnz .LBB297_27
; %bb.13:                               ;   in Loop: Header=BB297_4 Depth=1
	s_or_saveexec_b32 s18, s18
	v_mov_b32_e32 v5, s11
	s_xor_b32 exec_lo, exec_lo, s18
	s_cbranch_execnz .LBB297_30
.LBB297_14:                             ;   in Loop: Header=BB297_4 Depth=1
	s_or_b32 exec_lo, exec_lo, s18
	s_and_saveexec_b32 s11, s2
	s_cbranch_execz .LBB297_16
.LBB297_15:                             ;   in Loop: Header=BB297_4 Depth=1
	v_bfe_u32 v5, v4, 16, 3
	v_bfe_u32 v13, v4, 19, 4
	s_delay_alu instid0(VALU_DEP_2) | instskip(NEXT) | instid1(VALU_DEP_2)
	v_clz_i32_u32_e32 v7, v5
	v_cmp_eq_u32_e32 vcc_lo, 0, v13
	s_delay_alu instid0(VALU_DEP_2) | instskip(NEXT) | instid1(VALU_DEP_1)
	v_min_u32_e32 v7, 32, v7
	v_subrev_nc_u32_e32 v8, 28, v7
	v_sub_nc_u32_e32 v7, 29, v7
	s_delay_alu instid0(VALU_DEP_1) | instskip(NEXT) | instid1(VALU_DEP_1)
	v_dual_cndmask_b32 v7, v13, v7 :: v_dual_lshlrev_b32 v8, v8, v6
	v_and_b32_e32 v8, 7, v8
	v_lshlrev_b32_e32 v6, 24, v6
	s_delay_alu instid0(VALU_DEP_3) | instskip(NEXT) | instid1(VALU_DEP_2)
	v_lshl_add_u32 v7, v7, 23, 0x3b800000
	v_dual_cndmask_b32 v5, v5, v8 :: v_dual_and_b32 v6, 0x80000000, v6
	s_delay_alu instid0(VALU_DEP_1) | instskip(NEXT) | instid1(VALU_DEP_1)
	v_lshlrev_b32_e32 v5, 20, v5
	v_or3_b32 v5, v6, v7, v5
.LBB297_16:                             ;   in Loop: Header=BB297_4 Depth=1
	s_or_b32 exec_lo, exec_lo, s11
	v_lshrrev_b32_e32 v6, 24, v4
	s_mov_b32 s2, 0
	s_mov_b32 s18, exec_lo
                                        ; implicit-def: $sgpr11
	s_delay_alu instid0(VALU_DEP_1)
	v_cmpx_lt_i16_e32 0x7f, v6
	s_xor_b32 s18, exec_lo, s18
	s_cbranch_execnz .LBB297_31
; %bb.17:                               ;   in Loop: Header=BB297_4 Depth=1
	s_or_saveexec_b32 s18, s18
	v_mov_b32_e32 v7, s11
	s_xor_b32 exec_lo, exec_lo, s18
	s_cbranch_execnz .LBB297_34
.LBB297_18:                             ;   in Loop: Header=BB297_4 Depth=1
	s_or_b32 exec_lo, exec_lo, s18
	s_and_saveexec_b32 s11, s2
	s_cbranch_execz .LBB297_3
	s_branch .LBB297_35
.LBB297_19:                             ;   in Loop: Header=BB297_4 Depth=1
	s_mov_b32 s2, -1
	s_mov_b32 s19, exec_lo
                                        ; implicit-def: $sgpr11
	v_cmpx_eq_u16_e32 0x80, v3
; %bb.20:                               ;   in Loop: Header=BB297_4 Depth=1
	s_mov_b32 s11, 0x7f800001
	s_xor_b32 s2, exec_lo, -1
; %bb.21:                               ;   in Loop: Header=BB297_4 Depth=1
	s_or_b32 exec_lo, exec_lo, s19
	s_delay_alu instid0(SALU_CYCLE_1)
	s_and_b32 s2, s2, exec_lo
                                        ; implicit-def: $vgpr3
	s_or_saveexec_b32 s18, s18
	v_mov_b32_e32 v1, s11
	s_xor_b32 exec_lo, exec_lo, s18
	s_cbranch_execz .LBB297_6
.LBB297_22:                             ;   in Loop: Header=BB297_4 Depth=1
	v_cmp_ne_u16_e32 vcc_lo, 0, v3
	v_and_b32_e32 v1, 0xffff, v3
	s_and_not1_b32 s2, s2, exec_lo
	s_and_b32 s11, vcc_lo, exec_lo
	s_delay_alu instid0(SALU_CYCLE_1)
	s_or_b32 s2, s2, s11
	s_or_b32 exec_lo, exec_lo, s18
	s_and_saveexec_b32 s11, s2
	s_cbranch_execnz .LBB297_7
	s_branch .LBB297_8
.LBB297_23:                             ;   in Loop: Header=BB297_4 Depth=1
	s_mov_b32 s2, -1
	s_mov_b32 s19, exec_lo
                                        ; implicit-def: $sgpr11
	v_cmpx_eq_u16_e32 0x80, v6
; %bb.24:                               ;   in Loop: Header=BB297_4 Depth=1
	s_mov_b32 s11, 0x7f800001
	s_xor_b32 s2, exec_lo, -1
; %bb.25:                               ;   in Loop: Header=BB297_4 Depth=1
	s_or_b32 exec_lo, exec_lo, s19
	s_delay_alu instid0(SALU_CYCLE_1)
	s_and_b32 s2, s2, exec_lo
                                        ; implicit-def: $vgpr6
	s_or_saveexec_b32 s18, s18
	v_mov_b32_e32 v3, s11
	s_xor_b32 exec_lo, exec_lo, s18
	s_cbranch_execz .LBB297_10
.LBB297_26:                             ;   in Loop: Header=BB297_4 Depth=1
	v_cmp_ne_u16_e32 vcc_lo, 0, v6
	v_and_b32_e32 v3, 0xffff, v6
	s_and_not1_b32 s2, s2, exec_lo
	s_and_b32 s11, vcc_lo, exec_lo
	s_delay_alu instid0(SALU_CYCLE_1)
	s_or_b32 s2, s2, s11
	s_or_b32 exec_lo, exec_lo, s18
	s_and_saveexec_b32 s11, s2
	s_cbranch_execnz .LBB297_11
	s_branch .LBB297_12
.LBB297_27:                             ;   in Loop: Header=BB297_4 Depth=1
	s_mov_b32 s2, -1
	s_mov_b32 s19, exec_lo
                                        ; implicit-def: $sgpr11
	v_cmpx_eq_u16_e32 0x80, v7
; %bb.28:                               ;   in Loop: Header=BB297_4 Depth=1
	s_mov_b32 s11, 0x7f800001
	s_xor_b32 s2, exec_lo, -1
; %bb.29:                               ;   in Loop: Header=BB297_4 Depth=1
	s_or_b32 exec_lo, exec_lo, s19
	s_delay_alu instid0(SALU_CYCLE_1)
	s_and_b32 s2, s2, exec_lo
                                        ; implicit-def: $vgpr7
	s_or_saveexec_b32 s18, s18
	v_mov_b32_e32 v5, s11
	s_xor_b32 exec_lo, exec_lo, s18
	s_cbranch_execz .LBB297_14
.LBB297_30:                             ;   in Loop: Header=BB297_4 Depth=1
	v_cmp_ne_u16_e32 vcc_lo, 0, v7
	v_and_b32_e32 v5, 0xffff, v7
	s_and_not1_b32 s2, s2, exec_lo
	s_and_b32 s11, vcc_lo, exec_lo
	s_delay_alu instid0(SALU_CYCLE_1)
	s_or_b32 s2, s2, s11
	s_or_b32 exec_lo, exec_lo, s18
	s_and_saveexec_b32 s11, s2
	s_cbranch_execnz .LBB297_15
	s_branch .LBB297_16
.LBB297_31:                             ;   in Loop: Header=BB297_4 Depth=1
	s_mov_b32 s2, -1
	s_mov_b32 s19, exec_lo
                                        ; implicit-def: $sgpr11
	v_cmpx_eq_u16_e32 0x80, v6
; %bb.32:                               ;   in Loop: Header=BB297_4 Depth=1
	s_mov_b32 s11, 0x7f800001
	s_xor_b32 s2, exec_lo, -1
; %bb.33:                               ;   in Loop: Header=BB297_4 Depth=1
	s_or_b32 exec_lo, exec_lo, s19
	s_delay_alu instid0(SALU_CYCLE_1)
	s_and_b32 s2, s2, exec_lo
	s_or_saveexec_b32 s18, s18
	v_mov_b32_e32 v7, s11
	s_xor_b32 exec_lo, exec_lo, s18
	s_cbranch_execz .LBB297_18
.LBB297_34:                             ;   in Loop: Header=BB297_4 Depth=1
	v_cmp_ne_u16_e32 vcc_lo, 0, v6
	v_and_b32_e32 v7, 0xffff, v6
	s_and_not1_b32 s2, s2, exec_lo
	s_and_b32 s11, vcc_lo, exec_lo
	s_delay_alu instid0(SALU_CYCLE_1)
	s_or_b32 s2, s2, s11
	s_or_b32 exec_lo, exec_lo, s18
	s_and_saveexec_b32 s11, s2
	s_cbranch_execz .LBB297_3
.LBB297_35:                             ;   in Loop: Header=BB297_4 Depth=1
	v_bfe_u32 v7, v4, 24, 3
	s_delay_alu instid0(VALU_DEP_1) | instskip(NEXT) | instid1(VALU_DEP_1)
	v_clz_i32_u32_e32 v8, v7
	v_min_u32_e32 v8, 32, v8
	s_delay_alu instid0(VALU_DEP_1) | instskip(SKIP_1) | instid1(VALU_DEP_2)
	v_subrev_nc_u32_e32 v13, 28, v8
	v_sub_nc_u32_e32 v8, 29, v8
	v_lshlrev_b32_e32 v6, v13, v6
	v_bfe_u32 v13, v4, 27, 4
	v_and_b32_e32 v4, 0x80000000, v4
	s_delay_alu instid0(VALU_DEP_3) | instskip(NEXT) | instid1(VALU_DEP_3)
	v_and_b32_e32 v6, 7, v6
	v_cmp_eq_u32_e32 vcc_lo, 0, v13
	v_cndmask_b32_e32 v8, v13, v8, vcc_lo
	s_delay_alu instid0(VALU_DEP_3) | instskip(NEXT) | instid1(VALU_DEP_2)
	v_cndmask_b32_e32 v6, v7, v6, vcc_lo
	v_lshl_add_u32 v7, v8, 23, 0x3b800000
	s_delay_alu instid0(VALU_DEP_2) | instskip(NEXT) | instid1(VALU_DEP_1)
	v_lshlrev_b32_e32 v6, 20, v6
	v_or3_b32 v7, v4, v7, v6
	s_branch .LBB297_3
.LBB297_36:
	s_or_b32 exec_lo, exec_lo, s16
	s_mov_b32 s16, 0
.LBB297_37:
	s_delay_alu instid0(SALU_CYCLE_1)
	s_and_not1_b32 vcc_lo, exec_lo, s16
	s_cbranch_vccnz .LBB297_89
; %bb.38:
	v_cmp_lt_i64_e64 s2, s[4:5], 1
	s_delay_alu instid0(VALU_DEP_1)
	s_and_b32 vcc_lo, exec_lo, s2
	s_cbranch_vccnz .LBB297_89
; %bb.39:
	s_load_b32 s0, s[0:1], 0xc5c
	v_cmp_gt_u64_e64 s1, 0x10000, s[4:5]
	v_add_co_u32 v1, s2, s8, v0
	v_dual_mov_b32 v2, 0 :: v_dual_lshlrev_b32 v3, 3, v0
	v_add_co_ci_u32_e64 v7, null, s9, 0, s2
	s_delay_alu instid0(VALU_DEP_3) | instskip(NEXT) | instid1(VALU_DEP_3)
	v_add_co_u32 v21, vcc_lo, s6, v1
	v_mov_b32_e32 v4, v2
	s_delay_alu instid0(VALU_DEP_3)
	v_add_co_ci_u32_e32 v22, vcc_lo, s7, v7, vcc_lo
                                        ; implicit-def: $vgpr37
                                        ; implicit-def: $vgpr38
                                        ; implicit-def: $vgpr39
                                        ; implicit-def: $vgpr40
	s_waitcnt lgkmcnt(0)
	s_and_b32 s0, s0, 0xffff
	s_and_b32 s1, s1, exec_lo
	v_add_co_u32 v23, s10, v0, s0
	s_mul_i32 s14, s0, 3
	s_cselect_b32 s3, s5, 0
	s_cselect_b32 s2, s4, 0x10000
	s_lshl_b32 s11, s0, 1
	s_lshl_b32 s1, s0, 2
	v_add_co_ci_u32_e64 v24, null, 0, 0, s10
	s_lshl_b32 s10, s0, 5
	s_add_u32 s15, s8, s14
	s_addc_u32 s16, s9, 0
	s_add_u32 s15, s6, s15
	s_addc_u32 s16, s7, s16
	;; [unrolled: 2-line block ×4, first 2 shown]
	v_mad_u64_u32 v[5:6], null, s0, 24, v[3:4]
	s_add_u32 s6, s6, s0
	s_addc_u32 s7, s7, 0
	s_lshl_b32 s0, s0, 4
	v_add_co_u32 v4, s15, s15, v0
	v_add_co_u32 v8, s0, s0, v3
	;; [unrolled: 1-line block ×4, first 2 shown]
	v_add_co_u32 v31, vcc_lo, s6, v1
	v_add_co_ci_u32_e64 v33, null, 0, 0, s0
	v_add_co_u32 v35, s0, s11, v0
	v_add_co_ci_u32_e64 v25, null, s16, 0, s15
	v_lshlrev_b32_e32 v26, 3, v23
	v_or_b32_e32 v5, 4, v5
	v_add_co_ci_u32_e64 v28, null, 0, 0, s14
	v_add_co_ci_u32_e64 v30, null, s9, 0, s8
	v_add_co_ci_u32_e32 v32, vcc_lo, s7, v7, vcc_lo
	v_or_b32_e32 v34, 4, v8
	v_add_co_ci_u32_e64 v36, null, 0, 0, s0
	s_mov_b64 s[6:7], 0
	s_branch .LBB297_41
.LBB297_40:                             ;   in Loop: Header=BB297_41 Depth=1
	s_or_b32 exec_lo, exec_lo, s0
	s_add_u32 s6, s6, s1
	s_addc_u32 s7, s7, 0
	s_delay_alu instid0(SALU_CYCLE_1) | instskip(SKIP_1) | instid1(VALU_DEP_1)
	v_cmp_ge_i64_e64 s0, s[6:7], s[4:5]
	v_cmp_lt_u64_e64 s8, 0xffff, s[6:7]
	s_or_b32 s0, s0, s8
	s_add_u32 s12, s12, s10
	s_addc_u32 s13, s13, 0
	s_and_b32 vcc_lo, exec_lo, s0
	s_cbranch_vccnz .LBB297_89
.LBB297_41:                             ; =>This Inner Loop Header: Depth=1
	v_add_co_u32 v7, s0, v0, s6
	s_delay_alu instid0(VALU_DEP_1) | instskip(NEXT) | instid1(VALU_DEP_1)
	v_add_co_ci_u32_e64 v8, null, 0, s7, s0
	v_cmp_gt_i64_e32 vcc_lo, s[4:5], v[7:8]
	v_cmp_gt_u64_e64 s0, 0x10000, v[7:8]
	s_delay_alu instid0(VALU_DEP_1) | instskip(NEXT) | instid1(SALU_CYCLE_1)
	s_and_b32 s8, vcc_lo, s0
	s_and_saveexec_b32 s0, s8
	s_cbranch_execz .LBB297_43
; %bb.42:                               ;   in Loop: Header=BB297_41 Depth=1
	v_add_co_u32 v9, vcc_lo, v21, s6
	v_add_co_ci_u32_e32 v10, vcc_lo, s7, v22, vcc_lo
	global_load_u8 v40, v[9:10], off
.LBB297_43:                             ;   in Loop: Header=BB297_41 Depth=1
	s_or_b32 exec_lo, exec_lo, s0
	v_add_co_u32 v9, vcc_lo, v23, s6
	v_add_co_ci_u32_e32 v10, vcc_lo, s7, v24, vcc_lo
	s_delay_alu instid0(VALU_DEP_1) | instskip(SKIP_1) | instid1(VALU_DEP_1)
	v_cmp_gt_i64_e32 vcc_lo, s[4:5], v[9:10]
	v_cmp_gt_u64_e64 s0, 0x10000, v[9:10]
	s_and_b32 s8, vcc_lo, s0
	s_delay_alu instid0(SALU_CYCLE_1)
	s_and_saveexec_b32 s0, s8
	s_cbranch_execz .LBB297_45
; %bb.44:                               ;   in Loop: Header=BB297_41 Depth=1
	v_add_co_u32 v11, vcc_lo, v31, s6
	v_add_co_ci_u32_e32 v12, vcc_lo, s7, v32, vcc_lo
	global_load_u8 v39, v[11:12], off
.LBB297_45:                             ;   in Loop: Header=BB297_41 Depth=1
	s_or_b32 exec_lo, exec_lo, s0
	v_add_co_u32 v11, vcc_lo, v35, s6
	v_add_co_ci_u32_e32 v12, vcc_lo, s7, v36, vcc_lo
	s_delay_alu instid0(VALU_DEP_1) | instskip(SKIP_1) | instid1(VALU_DEP_1)
	v_cmp_gt_i64_e32 vcc_lo, s[4:5], v[11:12]
	v_cmp_gt_u64_e64 s0, 0x10000, v[11:12]
	s_and_b32 s8, vcc_lo, s0
	s_delay_alu instid0(SALU_CYCLE_1)
	;; [unrolled: 15-line block ×3, first 2 shown]
	s_and_saveexec_b32 s0, s8
	s_cbranch_execz .LBB297_49
; %bb.48:                               ;   in Loop: Header=BB297_41 Depth=1
	v_add_co_u32 v15, vcc_lo, v4, s6
	v_add_co_ci_u32_e32 v16, vcc_lo, s7, v25, vcc_lo
	global_load_u8 v37, v[15:16], off
.LBB297_49:                             ;   in Loop: Header=BB297_41 Depth=1
	s_or_b32 exec_lo, exec_lo, s0
	s_waitcnt vmcnt(0)
	v_and_b32_e32 v15, 0xff, v40
	s_mov_b32 s0, 0
	s_mov_b32 s9, exec_lo
                                        ; implicit-def: $sgpr8
	s_delay_alu instid0(VALU_DEP_1)
	v_cmpx_lt_i16_e32 0x7f, v15
	s_xor_b32 s9, exec_lo, s9
	s_cbranch_execnz .LBB297_69
; %bb.50:                               ;   in Loop: Header=BB297_41 Depth=1
	s_or_saveexec_b32 s9, s9
	v_mov_b32_e32 v1, s8
	s_xor_b32 exec_lo, exec_lo, s9
	s_cbranch_execnz .LBB297_72
.LBB297_51:                             ;   in Loop: Header=BB297_41 Depth=1
	s_or_b32 exec_lo, exec_lo, s9
	s_and_saveexec_b32 s8, s0
	s_cbranch_execz .LBB297_53
.LBB297_52:                             ;   in Loop: Header=BB297_41 Depth=1
	v_and_b32_e32 v1, 7, v40
	v_lshrrev_b16 v17, 3, v40
	v_lshlrev_b32_e32 v18, 24, v40
	s_delay_alu instid0(VALU_DEP_3) | instskip(NEXT) | instid1(VALU_DEP_3)
	v_clz_i32_u32_e32 v15, v1
	v_and_b32_e32 v17, 15, v17
	s_delay_alu instid0(VALU_DEP_2) | instskip(NEXT) | instid1(VALU_DEP_2)
	v_min_u32_e32 v15, 32, v15
	v_cmp_eq_u32_e32 vcc_lo, 0, v17
	s_delay_alu instid0(VALU_DEP_2) | instskip(SKIP_1) | instid1(VALU_DEP_1)
	v_subrev_nc_u32_e32 v16, 28, v15
	v_sub_nc_u32_e32 v15, 29, v15
	v_dual_cndmask_b32 v15, v17, v15 :: v_dual_lshlrev_b32 v16, v16, v40
	s_delay_alu instid0(VALU_DEP_1) | instskip(NEXT) | instid1(VALU_DEP_2)
	v_and_b32_e32 v16, 7, v16
	v_lshl_add_u32 v15, v15, 23, 0x3b800000
	s_delay_alu instid0(VALU_DEP_2) | instskip(NEXT) | instid1(VALU_DEP_1)
	v_dual_cndmask_b32 v1, v1, v16 :: v_dual_and_b32 v16, 0x80000000, v18
	v_lshlrev_b32_e32 v1, 20, v1
	s_delay_alu instid0(VALU_DEP_1)
	v_or3_b32 v1, v16, v15, v1
.LBB297_53:                             ;   in Loop: Header=BB297_41 Depth=1
	s_or_b32 exec_lo, exec_lo, s8
	v_and_b32_e32 v16, 0xff, v39
	s_mov_b32 s0, 0
	s_mov_b32 s9, exec_lo
                                        ; implicit-def: $sgpr8
	s_delay_alu instid0(VALU_DEP_1)
	v_cmpx_lt_i16_e32 0x7f, v16
	s_xor_b32 s9, exec_lo, s9
	s_cbranch_execnz .LBB297_73
; %bb.54:                               ;   in Loop: Header=BB297_41 Depth=1
	s_or_saveexec_b32 s9, s9
	v_mov_b32_e32 v15, s8
	s_xor_b32 exec_lo, exec_lo, s9
	s_cbranch_execnz .LBB297_76
.LBB297_55:                             ;   in Loop: Header=BB297_41 Depth=1
	s_or_b32 exec_lo, exec_lo, s9
	s_and_saveexec_b32 s8, s0
	s_cbranch_execz .LBB297_57
.LBB297_56:                             ;   in Loop: Header=BB297_41 Depth=1
	v_lshrrev_b16 v18, 3, v39
	v_lshlrev_b32_e32 v19, 24, v39
	s_delay_alu instid0(VALU_DEP_2) | instskip(NEXT) | instid1(VALU_DEP_1)
	v_and_b32_e32 v18, 15, v18
	v_cmp_eq_u32_e32 vcc_lo, 0, v18
	v_and_b32_e32 v15, 7, v39
	s_delay_alu instid0(VALU_DEP_1) | instskip(NEXT) | instid1(VALU_DEP_1)
	v_clz_i32_u32_e32 v16, v15
	v_min_u32_e32 v16, 32, v16
	s_delay_alu instid0(VALU_DEP_1) | instskip(SKIP_1) | instid1(VALU_DEP_1)
	v_subrev_nc_u32_e32 v17, 28, v16
	v_sub_nc_u32_e32 v16, 29, v16
	v_dual_cndmask_b32 v16, v18, v16 :: v_dual_lshlrev_b32 v17, v17, v39
	s_delay_alu instid0(VALU_DEP_1) | instskip(NEXT) | instid1(VALU_DEP_2)
	v_and_b32_e32 v17, 7, v17
	v_lshl_add_u32 v16, v16, 23, 0x3b800000
	s_delay_alu instid0(VALU_DEP_2) | instskip(SKIP_1) | instid1(VALU_DEP_2)
	v_cndmask_b32_e32 v15, v15, v17, vcc_lo
	v_and_b32_e32 v17, 0x80000000, v19
	v_lshlrev_b32_e32 v15, 20, v15
	s_delay_alu instid0(VALU_DEP_1)
	v_or3_b32 v15, v17, v16, v15
.LBB297_57:                             ;   in Loop: Header=BB297_41 Depth=1
	s_or_b32 exec_lo, exec_lo, s8
	v_and_b32_e32 v16, 0xff, v38
	s_mov_b32 s0, 0
	s_mov_b32 s9, exec_lo
                                        ; implicit-def: $sgpr8
	s_delay_alu instid0(VALU_DEP_1)
	v_cmpx_lt_i16_e32 0x7f, v16
	s_xor_b32 s9, exec_lo, s9
	s_cbranch_execnz .LBB297_77
; %bb.58:                               ;   in Loop: Header=BB297_41 Depth=1
	s_or_saveexec_b32 s9, s9
	v_mov_b32_e32 v17, s8
	s_xor_b32 exec_lo, exec_lo, s9
	s_cbranch_execnz .LBB297_80
.LBB297_59:                             ;   in Loop: Header=BB297_41 Depth=1
	s_or_b32 exec_lo, exec_lo, s9
	s_and_saveexec_b32 s8, s0
	s_cbranch_execz .LBB297_61
.LBB297_60:                             ;   in Loop: Header=BB297_41 Depth=1
	v_lshrrev_b16 v19, 3, v38
	v_lshlrev_b32_e32 v20, 24, v38
	s_delay_alu instid0(VALU_DEP_2) | instskip(NEXT) | instid1(VALU_DEP_1)
	v_and_b32_e32 v19, 15, v19
	v_cmp_eq_u32_e32 vcc_lo, 0, v19
	v_and_b32_e32 v16, 7, v38
	s_delay_alu instid0(VALU_DEP_1) | instskip(NEXT) | instid1(VALU_DEP_1)
	v_clz_i32_u32_e32 v17, v16
	v_min_u32_e32 v17, 32, v17
	s_delay_alu instid0(VALU_DEP_1) | instskip(SKIP_1) | instid1(VALU_DEP_1)
	v_subrev_nc_u32_e32 v18, 28, v17
	v_sub_nc_u32_e32 v17, 29, v17
	v_dual_cndmask_b32 v17, v19, v17 :: v_dual_lshlrev_b32 v18, v18, v38
	s_delay_alu instid0(VALU_DEP_1) | instskip(NEXT) | instid1(VALU_DEP_2)
	v_and_b32_e32 v18, 7, v18
	v_lshl_add_u32 v17, v17, 23, 0x3b800000
	s_delay_alu instid0(VALU_DEP_2) | instskip(SKIP_1) | instid1(VALU_DEP_2)
	v_cndmask_b32_e32 v16, v16, v18, vcc_lo
	v_and_b32_e32 v18, 0x80000000, v20
	v_lshlrev_b32_e32 v16, 20, v16
	s_delay_alu instid0(VALU_DEP_1)
	v_or3_b32 v17, v18, v17, v16
.LBB297_61:                             ;   in Loop: Header=BB297_41 Depth=1
	s_or_b32 exec_lo, exec_lo, s8
	v_and_b32_e32 v16, 0xff, v37
	s_mov_b32 s0, 0
	s_mov_b32 s9, exec_lo
                                        ; implicit-def: $sgpr8
	s_delay_alu instid0(VALU_DEP_1)
	v_cmpx_lt_i16_e32 0x7f, v16
	s_xor_b32 s9, exec_lo, s9
	s_cbranch_execnz .LBB297_81
; %bb.62:                               ;   in Loop: Header=BB297_41 Depth=1
	s_or_saveexec_b32 s9, s9
	v_mov_b32_e32 v19, s8
	s_xor_b32 exec_lo, exec_lo, s9
	s_cbranch_execnz .LBB297_84
.LBB297_63:                             ;   in Loop: Header=BB297_41 Depth=1
	s_or_b32 exec_lo, exec_lo, s9
	s_and_saveexec_b32 s8, s0
	s_cbranch_execz .LBB297_65
.LBB297_64:                             ;   in Loop: Header=BB297_41 Depth=1
	v_and_b32_e32 v16, 7, v37
	v_lshrrev_b16 v20, 3, v37
	s_delay_alu instid0(VALU_DEP_2) | instskip(NEXT) | instid1(VALU_DEP_2)
	v_clz_i32_u32_e32 v18, v16
	v_and_b32_e32 v20, 15, v20
	s_delay_alu instid0(VALU_DEP_2) | instskip(NEXT) | instid1(VALU_DEP_2)
	v_min_u32_e32 v18, 32, v18
	v_cmp_eq_u32_e32 vcc_lo, 0, v20
	s_delay_alu instid0(VALU_DEP_2) | instskip(SKIP_1) | instid1(VALU_DEP_1)
	v_subrev_nc_u32_e32 v19, 28, v18
	v_sub_nc_u32_e32 v18, 29, v18
	v_dual_cndmask_b32 v18, v20, v18 :: v_dual_lshlrev_b32 v19, v19, v37
	s_delay_alu instid0(VALU_DEP_1) | instskip(SKIP_1) | instid1(VALU_DEP_3)
	v_and_b32_e32 v19, 7, v19
	v_lshlrev_b32_e32 v41, 24, v37
	v_lshl_add_u32 v18, v18, 23, 0x3b800000
	s_delay_alu instid0(VALU_DEP_2) | instskip(NEXT) | instid1(VALU_DEP_1)
	v_dual_cndmask_b32 v16, v16, v19 :: v_dual_and_b32 v19, 0x80000000, v41
	v_lshlrev_b32_e32 v16, 20, v16
	s_delay_alu instid0(VALU_DEP_1)
	v_or3_b32 v19, v19, v18, v16
.LBB297_65:                             ;   in Loop: Header=BB297_41 Depth=1
	s_or_b32 exec_lo, exec_lo, s8
	s_delay_alu instid0(SALU_CYCLE_1)
	s_mov_b32 s0, exec_lo
	v_cmpx_gt_u64_e64 s[2:3], v[7:8]
	s_xor_b32 s0, exec_lo, s0
	s_cbranch_execnz .LBB297_85
; %bb.66:                               ;   in Loop: Header=BB297_41 Depth=1
	s_or_b32 exec_lo, exec_lo, s0
	s_delay_alu instid0(SALU_CYCLE_1)
	s_mov_b32 s0, exec_lo
	v_cmpx_gt_u64_e64 s[2:3], v[9:10]
	s_cbranch_execnz .LBB297_86
.LBB297_67:                             ;   in Loop: Header=BB297_41 Depth=1
	s_or_b32 exec_lo, exec_lo, s0
	s_delay_alu instid0(SALU_CYCLE_1)
	s_mov_b32 s0, exec_lo
	v_cmpx_gt_u64_e64 s[2:3], v[11:12]
	s_cbranch_execnz .LBB297_87
.LBB297_68:                             ;   in Loop: Header=BB297_41 Depth=1
	s_or_b32 exec_lo, exec_lo, s0
	s_delay_alu instid0(SALU_CYCLE_1)
	s_mov_b32 s0, exec_lo
	v_cmpx_gt_u64_e64 s[2:3], v[13:14]
	s_cbranch_execz .LBB297_40
	s_branch .LBB297_88
.LBB297_69:                             ;   in Loop: Header=BB297_41 Depth=1
	s_mov_b32 s0, -1
	s_mov_b32 s11, exec_lo
                                        ; implicit-def: $sgpr8
	v_cmpx_eq_u16_e32 0x80, v15
; %bb.70:                               ;   in Loop: Header=BB297_41 Depth=1
	s_mov_b32 s8, 0x7f800001
	s_xor_b32 s0, exec_lo, -1
; %bb.71:                               ;   in Loop: Header=BB297_41 Depth=1
	s_or_b32 exec_lo, exec_lo, s11
	s_delay_alu instid0(SALU_CYCLE_1)
	s_and_b32 s0, s0, exec_lo
                                        ; implicit-def: $vgpr15
	s_or_saveexec_b32 s9, s9
	v_mov_b32_e32 v1, s8
	s_xor_b32 exec_lo, exec_lo, s9
	s_cbranch_execz .LBB297_51
.LBB297_72:                             ;   in Loop: Header=BB297_41 Depth=1
	v_cmp_ne_u16_e32 vcc_lo, 0, v15
	v_and_b32_e32 v1, 0xffff, v15
	s_and_not1_b32 s0, s0, exec_lo
	s_and_b32 s8, vcc_lo, exec_lo
	s_delay_alu instid0(SALU_CYCLE_1)
	s_or_b32 s0, s0, s8
	s_or_b32 exec_lo, exec_lo, s9
	s_and_saveexec_b32 s8, s0
	s_cbranch_execnz .LBB297_52
	s_branch .LBB297_53
.LBB297_73:                             ;   in Loop: Header=BB297_41 Depth=1
	s_mov_b32 s0, -1
	s_mov_b32 s11, exec_lo
                                        ; implicit-def: $sgpr8
	v_cmpx_eq_u16_e32 0x80, v16
; %bb.74:                               ;   in Loop: Header=BB297_41 Depth=1
	s_mov_b32 s8, 0x7f800001
	s_xor_b32 s0, exec_lo, -1
; %bb.75:                               ;   in Loop: Header=BB297_41 Depth=1
	s_or_b32 exec_lo, exec_lo, s11
	s_delay_alu instid0(SALU_CYCLE_1)
	s_and_b32 s0, s0, exec_lo
                                        ; implicit-def: $vgpr16
	s_or_saveexec_b32 s9, s9
	v_mov_b32_e32 v15, s8
	s_xor_b32 exec_lo, exec_lo, s9
	s_cbranch_execz .LBB297_55
.LBB297_76:                             ;   in Loop: Header=BB297_41 Depth=1
	v_cmp_ne_u16_e32 vcc_lo, 0, v16
	v_and_b32_e32 v15, 0xffff, v16
	s_and_not1_b32 s0, s0, exec_lo
	s_and_b32 s8, vcc_lo, exec_lo
	s_delay_alu instid0(SALU_CYCLE_1)
	s_or_b32 s0, s0, s8
	s_or_b32 exec_lo, exec_lo, s9
	s_and_saveexec_b32 s8, s0
	s_cbranch_execnz .LBB297_56
	s_branch .LBB297_57
.LBB297_77:                             ;   in Loop: Header=BB297_41 Depth=1
	s_mov_b32 s0, -1
	s_mov_b32 s11, exec_lo
                                        ; implicit-def: $sgpr8
	v_cmpx_eq_u16_e32 0x80, v16
; %bb.78:                               ;   in Loop: Header=BB297_41 Depth=1
	s_mov_b32 s8, 0x7f800001
	s_xor_b32 s0, exec_lo, -1
; %bb.79:                               ;   in Loop: Header=BB297_41 Depth=1
	s_or_b32 exec_lo, exec_lo, s11
	s_delay_alu instid0(SALU_CYCLE_1)
	s_and_b32 s0, s0, exec_lo
                                        ; implicit-def: $vgpr16
	s_or_saveexec_b32 s9, s9
	v_mov_b32_e32 v17, s8
	s_xor_b32 exec_lo, exec_lo, s9
	s_cbranch_execz .LBB297_59
.LBB297_80:                             ;   in Loop: Header=BB297_41 Depth=1
	v_cmp_ne_u16_e32 vcc_lo, 0, v16
	v_and_b32_e32 v17, 0xffff, v16
	s_and_not1_b32 s0, s0, exec_lo
	s_and_b32 s8, vcc_lo, exec_lo
	s_delay_alu instid0(SALU_CYCLE_1)
	s_or_b32 s0, s0, s8
	s_or_b32 exec_lo, exec_lo, s9
	s_and_saveexec_b32 s8, s0
	s_cbranch_execnz .LBB297_60
	s_branch .LBB297_61
.LBB297_81:                             ;   in Loop: Header=BB297_41 Depth=1
	s_mov_b32 s0, -1
	s_mov_b32 s11, exec_lo
                                        ; implicit-def: $sgpr8
	v_cmpx_eq_u16_e32 0x80, v16
; %bb.82:                               ;   in Loop: Header=BB297_41 Depth=1
	s_mov_b32 s8, 0x7f800001
	s_xor_b32 s0, exec_lo, -1
; %bb.83:                               ;   in Loop: Header=BB297_41 Depth=1
	s_or_b32 exec_lo, exec_lo, s11
	s_delay_alu instid0(SALU_CYCLE_1)
	s_and_b32 s0, s0, exec_lo
                                        ; implicit-def: $vgpr16
	s_or_saveexec_b32 s9, s9
	v_mov_b32_e32 v19, s8
	s_xor_b32 exec_lo, exec_lo, s9
	s_cbranch_execz .LBB297_63
.LBB297_84:                             ;   in Loop: Header=BB297_41 Depth=1
	v_cmp_ne_u16_e32 vcc_lo, 0, v16
	v_and_b32_e32 v19, 0xffff, v16
	s_and_not1_b32 s0, s0, exec_lo
	s_and_b32 s8, vcc_lo, exec_lo
	s_delay_alu instid0(SALU_CYCLE_1)
	s_or_b32 s0, s0, s8
	s_or_b32 exec_lo, exec_lo, s9
	s_and_saveexec_b32 s8, s0
	s_cbranch_execnz .LBB297_64
	s_branch .LBB297_65
.LBB297_85:                             ;   in Loop: Header=BB297_41 Depth=1
	v_add_co_u32 v7, s8, s12, v3
	s_delay_alu instid0(VALU_DEP_1) | instskip(SKIP_2) | instid1(SALU_CYCLE_1)
	v_add_co_ci_u32_e64 v8, null, s13, 0, s8
	global_store_b64 v[7:8], v[1:2], off
	s_or_b32 exec_lo, exec_lo, s0
	s_mov_b32 s0, exec_lo
	v_cmpx_gt_u64_e64 s[2:3], v[9:10]
	s_cbranch_execz .LBB297_67
.LBB297_86:                             ;   in Loop: Header=BB297_41 Depth=1
	v_add_co_u32 v7, s8, s12, v26
	s_delay_alu instid0(VALU_DEP_1) | instskip(SKIP_3) | instid1(SALU_CYCLE_1)
	v_add_co_ci_u32_e64 v8, null, s13, 0, s8
	v_mov_b32_e32 v16, v2
	global_store_b64 v[7:8], v[15:16], off
	s_or_b32 exec_lo, exec_lo, s0
	s_mov_b32 s0, exec_lo
	v_cmpx_gt_u64_e64 s[2:3], v[11:12]
	s_cbranch_execz .LBB297_68
.LBB297_87:                             ;   in Loop: Header=BB297_41 Depth=1
	v_add_co_u32 v7, vcc_lo, s12, v34
	v_add_co_ci_u32_e32 v8, vcc_lo, s13, v33, vcc_lo
	v_mov_b32_e32 v18, v2
	global_store_b64 v[7:8], v[17:18], off offset:-4
	s_or_b32 exec_lo, exec_lo, s0
	s_delay_alu instid0(SALU_CYCLE_1)
	s_mov_b32 s0, exec_lo
	v_cmpx_gt_u64_e64 s[2:3], v[13:14]
	s_cbranch_execz .LBB297_40
.LBB297_88:                             ;   in Loop: Header=BB297_41 Depth=1
	v_add_co_u32 v7, vcc_lo, s12, v5
	v_add_co_ci_u32_e32 v8, vcc_lo, s13, v6, vcc_lo
	v_mov_b32_e32 v20, v2
	global_store_b64 v[7:8], v[19:20], off offset:-4
	s_branch .LBB297_40
.LBB297_89:
	s_nop 0
	s_sendmsg sendmsg(MSG_DEALLOC_VGPRS)
	s_endpgm
	.section	.rodata,"a",@progbits
	.p2align	6, 0x0
	.amdhsa_kernel _ZN2at6native12_GLOBAL__N_125multi_tensor_apply_kernelINS1_18TensorListMetadataILi2EEENS1_11CopyFunctorIN3c107complexIfEENS6_15Float8_e4m3fnuzELi2ELi1ELi1EEEJNS0_4CopyIS8_S9_EEEEEvT_T0_DpT1_
		.amdhsa_group_segment_fixed_size 0
		.amdhsa_private_segment_fixed_size 0
		.amdhsa_kernarg_size 3408
		.amdhsa_user_sgpr_count 15
		.amdhsa_user_sgpr_dispatch_ptr 0
		.amdhsa_user_sgpr_queue_ptr 0
		.amdhsa_user_sgpr_kernarg_segment_ptr 1
		.amdhsa_user_sgpr_dispatch_id 0
		.amdhsa_user_sgpr_private_segment_size 0
		.amdhsa_wavefront_size32 1
		.amdhsa_uses_dynamic_stack 0
		.amdhsa_enable_private_segment 0
		.amdhsa_system_sgpr_workgroup_id_x 1
		.amdhsa_system_sgpr_workgroup_id_y 0
		.amdhsa_system_sgpr_workgroup_id_z 0
		.amdhsa_system_sgpr_workgroup_info 0
		.amdhsa_system_vgpr_workitem_id 0
		.amdhsa_next_free_vgpr 42
		.amdhsa_next_free_sgpr 22
		.amdhsa_reserve_vcc 1
		.amdhsa_float_round_mode_32 0
		.amdhsa_float_round_mode_16_64 0
		.amdhsa_float_denorm_mode_32 3
		.amdhsa_float_denorm_mode_16_64 3
		.amdhsa_dx10_clamp 1
		.amdhsa_ieee_mode 1
		.amdhsa_fp16_overflow 0
		.amdhsa_workgroup_processor_mode 1
		.amdhsa_memory_ordered 1
		.amdhsa_forward_progress 0
		.amdhsa_shared_vgpr_count 0
		.amdhsa_exception_fp_ieee_invalid_op 0
		.amdhsa_exception_fp_denorm_src 0
		.amdhsa_exception_fp_ieee_div_zero 0
		.amdhsa_exception_fp_ieee_overflow 0
		.amdhsa_exception_fp_ieee_underflow 0
		.amdhsa_exception_fp_ieee_inexact 0
		.amdhsa_exception_int_div_zero 0
	.end_amdhsa_kernel
	.section	.text._ZN2at6native12_GLOBAL__N_125multi_tensor_apply_kernelINS1_18TensorListMetadataILi2EEENS1_11CopyFunctorIN3c107complexIfEENS6_15Float8_e4m3fnuzELi2ELi1ELi1EEEJNS0_4CopyIS8_S9_EEEEEvT_T0_DpT1_,"axG",@progbits,_ZN2at6native12_GLOBAL__N_125multi_tensor_apply_kernelINS1_18TensorListMetadataILi2EEENS1_11CopyFunctorIN3c107complexIfEENS6_15Float8_e4m3fnuzELi2ELi1ELi1EEEJNS0_4CopyIS8_S9_EEEEEvT_T0_DpT1_,comdat
.Lfunc_end297:
	.size	_ZN2at6native12_GLOBAL__N_125multi_tensor_apply_kernelINS1_18TensorListMetadataILi2EEENS1_11CopyFunctorIN3c107complexIfEENS6_15Float8_e4m3fnuzELi2ELi1ELi1EEEJNS0_4CopyIS8_S9_EEEEEvT_T0_DpT1_, .Lfunc_end297-_ZN2at6native12_GLOBAL__N_125multi_tensor_apply_kernelINS1_18TensorListMetadataILi2EEENS1_11CopyFunctorIN3c107complexIfEENS6_15Float8_e4m3fnuzELi2ELi1ELi1EEEJNS0_4CopyIS8_S9_EEEEEvT_T0_DpT1_
                                        ; -- End function
	.section	.AMDGPU.csdata,"",@progbits
; Kernel info:
; codeLenInByte = 3612
; NumSgprs: 24
; NumVgprs: 42
; ScratchSize: 0
; MemoryBound: 0
; FloatMode: 240
; IeeeMode: 1
; LDSByteSize: 0 bytes/workgroup (compile time only)
; SGPRBlocks: 2
; VGPRBlocks: 5
; NumSGPRsForWavesPerEU: 24
; NumVGPRsForWavesPerEU: 42
; Occupancy: 16
; WaveLimiterHint : 0
; COMPUTE_PGM_RSRC2:SCRATCH_EN: 0
; COMPUTE_PGM_RSRC2:USER_SGPR: 15
; COMPUTE_PGM_RSRC2:TRAP_HANDLER: 0
; COMPUTE_PGM_RSRC2:TGID_X_EN: 1
; COMPUTE_PGM_RSRC2:TGID_Y_EN: 0
; COMPUTE_PGM_RSRC2:TGID_Z_EN: 0
; COMPUTE_PGM_RSRC2:TIDIG_COMP_CNT: 0
	.section	.text._ZN2at6native12_GLOBAL__N_125multi_tensor_apply_kernelINS1_18TensorListMetadataILi2EEENS1_11CopyFunctorIN3c107complexIfEENS6_11Float8_e5m2ELi2ELi1ELi1EEEJNS0_4CopyIS8_S9_EEEEEvT_T0_DpT1_,"axG",@progbits,_ZN2at6native12_GLOBAL__N_125multi_tensor_apply_kernelINS1_18TensorListMetadataILi2EEENS1_11CopyFunctorIN3c107complexIfEENS6_11Float8_e5m2ELi2ELi1ELi1EEEJNS0_4CopyIS8_S9_EEEEEvT_T0_DpT1_,comdat
	.globl	_ZN2at6native12_GLOBAL__N_125multi_tensor_apply_kernelINS1_18TensorListMetadataILi2EEENS1_11CopyFunctorIN3c107complexIfEENS6_11Float8_e5m2ELi2ELi1ELi1EEEJNS0_4CopyIS8_S9_EEEEEvT_T0_DpT1_ ; -- Begin function _ZN2at6native12_GLOBAL__N_125multi_tensor_apply_kernelINS1_18TensorListMetadataILi2EEENS1_11CopyFunctorIN3c107complexIfEENS6_11Float8_e5m2ELi2ELi1ELi1EEEJNS0_4CopyIS8_S9_EEEEEvT_T0_DpT1_
	.p2align	8
	.type	_ZN2at6native12_GLOBAL__N_125multi_tensor_apply_kernelINS1_18TensorListMetadataILi2EEENS1_11CopyFunctorIN3c107complexIfEENS6_11Float8_e5m2ELi2ELi1ELi1EEEJNS0_4CopyIS8_S9_EEEEEvT_T0_DpT1_,@function
_ZN2at6native12_GLOBAL__N_125multi_tensor_apply_kernelINS1_18TensorListMetadataILi2EEENS1_11CopyFunctorIN3c107complexIfEENS6_11Float8_e5m2ELi2ELi1ELi1EEEJNS0_4CopyIS8_S9_EEEEEvT_T0_DpT1_: ; @_ZN2at6native12_GLOBAL__N_125multi_tensor_apply_kernelINS1_18TensorListMetadataILi2EEENS1_11CopyFunctorIN3c107complexIfEENS6_11Float8_e5m2ELi2ELi1ELi1EEEJNS0_4CopyIS8_S9_EEEEEvT_T0_DpT1_
; %bb.0:
	v_mov_b32_e32 v1, s15
	s_add_u32 s2, s0, s15
	s_mul_hi_u32 s3, s15, 3
	s_mul_i32 s15, s15, 3
	s_addc_u32 s4, s1, 0
	global_load_u8 v1, v1, s[0:1] offset:1536
	s_add_u32 s2, s2, s15
	s_addc_u32 s3, s4, s3
	s_mov_b32 s19, 0
	s_load_b32 s4, s[2:3], 0x740
	s_mov_b32 s21, s19
	s_waitcnt vmcnt(0)
	v_readfirstlane_b32 s5, v1
	s_delay_alu instid0(VALU_DEP_1)
	s_lshl_b32 s5, s5, 3
	s_clause 0x2
	s_load_b64 s[6:7], s[0:1], s5 offset:0x0
	s_load_b64 s[2:3], s[0:1], s5 offset:0x200
	;; [unrolled: 1-line block ×3, first 2 shown]
	s_waitcnt lgkmcnt(0)
	s_ashr_i32 s5, s4, 31
	s_delay_alu instid0(SALU_CYCLE_1) | instskip(NEXT) | instid1(SALU_CYCLE_1)
	s_lshl_b64 s[8:9], s[4:5], 16
	s_add_u32 s14, s6, s8
	s_addc_u32 s15, s7, s9
	s_lshl_b64 s[10:11], s[4:5], 19
	s_mov_b32 s5, s19
	s_add_u32 s12, s2, s10
	s_addc_u32 s13, s3, s11
	s_and_b32 s20, s16, 3
	s_and_b32 s4, s12, 31
	;; [unrolled: 1-line block ×3, first 2 shown]
	s_or_b64 s[4:5], s[4:5], s[20:21]
	s_delay_alu instid0(SALU_CYCLE_1)
	s_or_b64 s[18:19], s[18:19], s[4:5]
	s_sub_u32 s4, s16, s8
	s_subb_u32 s5, s17, s9
	s_cmp_eq_u64 s[18:19], 0
	s_mov_b32 s16, -1
	s_cbranch_scc0 .LBB298_5
; %bb.1:
	v_dual_mov_b32 v2, 0 :: v_dual_lshlrev_b32 v1, 2, v0
	s_mov_b32 s16, exec_lo
	s_delay_alu instid0(VALU_DEP_1)
	v_cmpx_gt_i64_e64 s[4:5], v[1:2]
	s_cbranch_execz .LBB298_4
; %bb.2:
	s_load_b32 s17, s[0:1], 0xc5c
	v_dual_mov_b32 v8, v2 :: v_dual_lshlrev_b32 v3, 5, v0
	v_mov_b32_e32 v7, v1
	s_waitcnt lgkmcnt(0)
	s_and_b32 s18, s17, 0xffff
	s_delay_alu instid0(SALU_CYCLE_1) | instskip(SKIP_3) | instid1(VALU_DEP_1)
	s_lshl_b32 s17, s18, 2
	s_add_u32 s2, s2, s10
	s_addc_u32 s3, s3, s11
	v_add_co_u32 v5, s2, s2, v3
	v_add_co_ci_u32_e64 v6, null, s3, 0, s2
	s_mov_b32 s10, 0
	s_lshl_b32 s11, s18, 5
	s_mov_b32 s18, 0xfe00000
.LBB298_3:                              ; =>This Inner Loop Header: Depth=1
	v_add_co_u32 v3, vcc_lo, s14, v7
	v_add_co_ci_u32_e32 v4, vcc_lo, s15, v8, vcc_lo
	v_add_co_u32 v7, vcc_lo, s17, v7
	v_add_co_ci_u32_e32 v8, vcc_lo, 0, v8, vcc_lo
	global_load_b32 v1, v[3:4], off
	v_mov_b32_e32 v12, v2
	v_mov_b32_e32 v4, v2
	v_cmp_le_i64_e32 vcc_lo, s[4:5], v[7:8]
	v_cmp_lt_u64_e64 s2, 0xffff, v[7:8]
	v_mov_b32_e32 v10, v2
	s_delay_alu instid0(VALU_DEP_2) | instskip(NEXT) | instid1(SALU_CYCLE_1)
	s_or_b32 s2, vcc_lo, s2
	s_and_b32 s19, exec_lo, s2
	s_delay_alu instid0(SALU_CYCLE_1)
	s_or_b32 s10, s19, s10
	s_waitcnt vmcnt(0)
	v_lshlrev_b32_e32 v11, 17, v1
	v_lshlrev_b16 v3, 8, v1
	v_lshlrev_b32_e32 v13, 13, v1
	v_and_or_b32 v14, 0x7f00, v1, 0.5
	v_lshrrev_b32_e32 v16, 8, v1
	v_lshlrev_b32_e32 v9, 25, v1
	v_lshlrev_b32_e32 v18, 8, v1
	v_and_or_b32 v22, 0x7f00, v3, 0.5
	v_bfe_i32 v23, v3, 0, 16
	v_and_or_b32 v3, v13, s18, 0x70000000
	v_dual_add_f32 v13, -0.5, v14 :: v_dual_lshlrev_b32 v14, 17, v16
	v_and_or_b32 v16, 0x7f00, v16, 0.5
	v_lshlrev_b32_e32 v17, 5, v1
	v_lshrrev_b32_e32 v19, 16, v1
	v_lshrrev_b32_e32 v20, 3, v1
	;; [unrolled: 1-line block ×3, first 2 shown]
	v_add_f32_e32 v16, -0.5, v16
	v_and_or_b32 v17, v17, s18, 0x70000000
	v_lshlrev_b32_e32 v24, 17, v19
	v_and_or_b32 v20, v20, s18, 0x70000000
	v_and_or_b32 v19, 0x7f00, v19, 0.5
	v_or_b32_e32 v21, 0x70000000, v21
	v_mul_f32_e32 v17, 0x7800000, v17
	v_mul_f32_e32 v3, 0x7800000, v3
	v_cmp_gt_u32_e32 vcc_lo, 0x8000000, v14
	v_cmp_gt_u32_e64 s3, 0x8000000, v11
	v_dual_add_f32 v22, -0.5, v22 :: v_dual_lshlrev_b32 v15, 16, v1
	v_dual_add_f32 v14, -0.5, v19 :: v_dual_mul_f32 v19, 0x7800000, v20
	v_cmp_gt_u32_e64 s2, 0x8000000, v24
	v_mul_f32_e32 v11, 0x7800000, v21
	v_cndmask_b32_e64 v3, v3, v13, s3
	v_cndmask_b32_e32 v13, v17, v16, vcc_lo
	v_cmp_gt_u32_e32 vcc_lo, 0x8000000, v9
	v_cndmask_b32_e64 v14, v19, v14, s2
	s_delay_alu instid0(VALU_DEP_4) | instskip(SKIP_1) | instid1(VALU_DEP_3)
	v_and_or_b32 v3, 0x80000000, v15, v3
	v_cndmask_b32_e32 v16, v11, v22, vcc_lo
	v_and_or_b32 v11, 0x80000000, v1, v14
	v_and_or_b32 v9, 0x80000000, v18, v13
	s_delay_alu instid0(VALU_DEP_3)
	v_and_or_b32 v1, 0x80000000, v23, v16
	s_clause 0x1
	global_store_b128 v[5:6], v[1:4], off
	global_store_b128 v[5:6], v[9:12], off offset:16
	v_add_co_u32 v5, vcc_lo, v5, s11
	v_add_co_ci_u32_e32 v6, vcc_lo, 0, v6, vcc_lo
	s_and_not1_b32 exec_lo, exec_lo, s10
	s_cbranch_execnz .LBB298_3
.LBB298_4:
	s_or_b32 exec_lo, exec_lo, s16
	s_mov_b32 s16, 0
.LBB298_5:
	s_delay_alu instid0(SALU_CYCLE_1)
	s_and_not1_b32 vcc_lo, exec_lo, s16
	s_cbranch_vccnz .LBB298_25
; %bb.6:
	v_cmp_lt_i64_e64 s2, s[4:5], 1
	s_delay_alu instid0(VALU_DEP_1)
	s_and_b32 vcc_lo, exec_lo, s2
	s_cbranch_vccnz .LBB298_25
; %bb.7:
	s_load_b32 s0, s[0:1], 0xc5c
	v_cmp_gt_u64_e64 s1, 0x10000, s[4:5]
	v_add_co_u32 v1, s2, s8, v0
	v_dual_mov_b32 v2, 0 :: v_dual_lshlrev_b32 v3, 3, v0
	v_add_co_ci_u32_e64 v7, null, s9, 0, s2
	s_delay_alu instid0(VALU_DEP_3) | instskip(NEXT) | instid1(VALU_DEP_3)
	v_add_co_u32 v15, vcc_lo, s6, v1
	v_mov_b32_e32 v4, v2
	s_delay_alu instid0(VALU_DEP_3)
	v_add_co_ci_u32_e32 v16, vcc_lo, s7, v7, vcc_lo
                                        ; implicit-def: $vgpr31
                                        ; implicit-def: $vgpr32
                                        ; implicit-def: $vgpr33
                                        ; implicit-def: $vgpr34
	s_waitcnt lgkmcnt(0)
	s_and_b32 s0, s0, 0xffff
	s_and_b32 s1, s1, exec_lo
	v_add_co_u32 v17, s10, v0, s0
	s_mul_i32 s14, s0, 3
	s_cselect_b32 s3, s5, 0
	s_cselect_b32 s2, s4, 0x10000
	s_lshl_b32 s11, s0, 1
	s_lshl_b32 s1, s0, 2
	v_add_co_ci_u32_e64 v18, null, 0, 0, s10
	s_lshl_b32 s10, s0, 5
	s_add_u32 s15, s8, s14
	s_addc_u32 s16, s9, 0
	s_add_u32 s15, s6, s15
	s_addc_u32 s16, s7, s16
	;; [unrolled: 2-line block ×4, first 2 shown]
	v_mad_u64_u32 v[5:6], null, s0, 24, v[3:4]
	s_add_u32 s6, s6, s0
	s_addc_u32 s7, s7, 0
	s_lshl_b32 s0, s0, 4
	v_add_co_u32 v4, s15, s15, v0
	v_add_co_u32 v8, s0, s0, v3
	;; [unrolled: 1-line block ×4, first 2 shown]
	v_add_co_u32 v25, vcc_lo, s6, v1
	v_add_co_ci_u32_e64 v27, null, 0, 0, s0
	v_add_co_u32 v29, s0, s11, v0
	v_add_co_ci_u32_e64 v19, null, s16, 0, s15
	v_lshlrev_b32_e32 v20, 3, v17
	v_or_b32_e32 v5, 4, v5
	v_add_co_ci_u32_e64 v22, null, 0, 0, s14
	v_add_co_ci_u32_e64 v24, null, s9, 0, s8
	v_add_co_ci_u32_e32 v26, vcc_lo, s7, v7, vcc_lo
	v_or_b32_e32 v28, 4, v8
	v_add_co_ci_u32_e64 v30, null, 0, 0, s0
	s_mov_b64 s[6:7], 0
	s_branch .LBB298_9
.LBB298_8:                              ;   in Loop: Header=BB298_9 Depth=1
	s_or_b32 exec_lo, exec_lo, s0
	s_add_u32 s6, s6, s1
	s_addc_u32 s7, s7, 0
	s_delay_alu instid0(SALU_CYCLE_1) | instskip(SKIP_1) | instid1(VALU_DEP_1)
	v_cmp_ge_i64_e64 s0, s[6:7], s[4:5]
	v_cmp_lt_u64_e64 s8, 0xffff, s[6:7]
	s_or_b32 s0, s0, s8
	s_add_u32 s12, s12, s10
	s_addc_u32 s13, s13, 0
	s_and_b32 vcc_lo, exec_lo, s0
	s_cbranch_vccnz .LBB298_25
.LBB298_9:                              ; =>This Inner Loop Header: Depth=1
	v_add_co_u32 v13, s0, v0, s6
	s_delay_alu instid0(VALU_DEP_1) | instskip(NEXT) | instid1(VALU_DEP_1)
	v_add_co_ci_u32_e64 v14, null, 0, s7, s0
	v_cmp_gt_i64_e32 vcc_lo, s[4:5], v[13:14]
	v_cmp_gt_u64_e64 s0, 0x10000, v[13:14]
	s_delay_alu instid0(VALU_DEP_1) | instskip(NEXT) | instid1(SALU_CYCLE_1)
	s_and_b32 s8, vcc_lo, s0
	s_and_saveexec_b32 s0, s8
	s_cbranch_execz .LBB298_11
; %bb.10:                               ;   in Loop: Header=BB298_9 Depth=1
	v_add_co_u32 v7, vcc_lo, v15, s6
	v_add_co_ci_u32_e32 v8, vcc_lo, s7, v16, vcc_lo
	global_load_u8 v34, v[7:8], off
.LBB298_11:                             ;   in Loop: Header=BB298_9 Depth=1
	s_or_b32 exec_lo, exec_lo, s0
	v_add_co_u32 v11, vcc_lo, v17, s6
	v_add_co_ci_u32_e32 v12, vcc_lo, s7, v18, vcc_lo
	s_delay_alu instid0(VALU_DEP_1) | instskip(SKIP_1) | instid1(VALU_DEP_1)
	v_cmp_gt_i64_e32 vcc_lo, s[4:5], v[11:12]
	v_cmp_gt_u64_e64 s0, 0x10000, v[11:12]
	s_and_b32 s8, vcc_lo, s0
	s_delay_alu instid0(SALU_CYCLE_1)
	s_and_saveexec_b32 s0, s8
	s_cbranch_execz .LBB298_13
; %bb.12:                               ;   in Loop: Header=BB298_9 Depth=1
	v_add_co_u32 v7, vcc_lo, v25, s6
	v_add_co_ci_u32_e32 v8, vcc_lo, s7, v26, vcc_lo
	global_load_u8 v33, v[7:8], off
.LBB298_13:                             ;   in Loop: Header=BB298_9 Depth=1
	s_or_b32 exec_lo, exec_lo, s0
	v_add_co_u32 v9, vcc_lo, v29, s6
	v_add_co_ci_u32_e32 v10, vcc_lo, s7, v30, vcc_lo
	s_delay_alu instid0(VALU_DEP_1) | instskip(SKIP_1) | instid1(VALU_DEP_1)
	v_cmp_gt_i64_e32 vcc_lo, s[4:5], v[9:10]
	v_cmp_gt_u64_e64 s0, 0x10000, v[9:10]
	s_and_b32 s8, vcc_lo, s0
	s_delay_alu instid0(SALU_CYCLE_1)
	;; [unrolled: 15-line block ×3, first 2 shown]
	s_and_saveexec_b32 s0, s8
	s_cbranch_execnz .LBB298_20
; %bb.16:                               ;   in Loop: Header=BB298_9 Depth=1
	s_or_b32 exec_lo, exec_lo, s0
	s_delay_alu instid0(SALU_CYCLE_1)
	s_mov_b32 s0, exec_lo
	v_cmpx_gt_u64_e64 s[2:3], v[13:14]
	s_cbranch_execnz .LBB298_21
.LBB298_17:                             ;   in Loop: Header=BB298_9 Depth=1
	s_or_b32 exec_lo, exec_lo, s0
	s_delay_alu instid0(SALU_CYCLE_1)
	s_mov_b32 s0, exec_lo
	v_cmpx_gt_u64_e64 s[2:3], v[11:12]
	s_cbranch_execnz .LBB298_22
.LBB298_18:                             ;   in Loop: Header=BB298_9 Depth=1
	s_or_b32 exec_lo, exec_lo, s0
	s_delay_alu instid0(SALU_CYCLE_1)
	s_mov_b32 s0, exec_lo
	v_cmpx_gt_u64_e64 s[2:3], v[9:10]
	s_cbranch_execnz .LBB298_23
.LBB298_19:                             ;   in Loop: Header=BB298_9 Depth=1
	s_or_b32 exec_lo, exec_lo, s0
	s_delay_alu instid0(SALU_CYCLE_1)
	s_mov_b32 s0, exec_lo
	v_cmpx_gt_u64_e64 s[2:3], v[7:8]
	s_cbranch_execz .LBB298_8
	s_branch .LBB298_24
.LBB298_20:                             ;   in Loop: Header=BB298_9 Depth=1
	v_add_co_u32 v35, vcc_lo, v4, s6
	v_add_co_ci_u32_e32 v36, vcc_lo, s7, v19, vcc_lo
	global_load_u8 v31, v[35:36], off
	s_or_b32 exec_lo, exec_lo, s0
	s_delay_alu instid0(SALU_CYCLE_1)
	s_mov_b32 s0, exec_lo
	v_cmpx_gt_u64_e64 s[2:3], v[13:14]
	s_cbranch_execz .LBB298_17
.LBB298_21:                             ;   in Loop: Header=BB298_9 Depth=1
	s_waitcnt vmcnt(0)
	v_lshlrev_b32_e32 v1, 25, v34
	v_lshlrev_b16 v13, 8, v34
	s_delay_alu instid0(VALU_DEP_2) | instskip(NEXT) | instid1(VALU_DEP_2)
	v_lshrrev_b32_e32 v14, 4, v1
	v_and_or_b32 v35, 0x7f00, v13, 0.5
	v_cmp_gt_u32_e32 vcc_lo, 0x8000000, v1
	v_bfe_i32 v13, v13, 0, 16
	s_delay_alu instid0(VALU_DEP_4) | instskip(NEXT) | instid1(VALU_DEP_1)
	v_or_b32_e32 v14, 0x70000000, v14
	v_dual_add_f32 v35, -0.5, v35 :: v_dual_mul_f32 v14, 0x7800000, v14
	s_delay_alu instid0(VALU_DEP_1) | instskip(NEXT) | instid1(VALU_DEP_1)
	v_cndmask_b32_e32 v1, v14, v35, vcc_lo
	v_and_or_b32 v1, 0x80000000, v13, v1
	v_add_co_u32 v13, s8, s12, v3
	s_delay_alu instid0(VALU_DEP_1) | instskip(SKIP_2) | instid1(SALU_CYCLE_1)
	v_add_co_ci_u32_e64 v14, null, s13, 0, s8
	global_store_b64 v[13:14], v[1:2], off
	s_or_b32 exec_lo, exec_lo, s0
	s_mov_b32 s0, exec_lo
	v_cmpx_gt_u64_e64 s[2:3], v[11:12]
	s_cbranch_execz .LBB298_18
.LBB298_22:                             ;   in Loop: Header=BB298_9 Depth=1
	s_waitcnt vmcnt(0)
	v_lshlrev_b32_e32 v1, 25, v33
	v_lshlrev_b16 v11, 8, v33
	s_delay_alu instid0(VALU_DEP_2) | instskip(NEXT) | instid1(VALU_DEP_2)
	v_lshrrev_b32_e32 v12, 4, v1
	v_and_or_b32 v13, 0x7f00, v11, 0.5
	v_bfe_i32 v11, v11, 0, 16
	s_delay_alu instid0(VALU_DEP_3) | instskip(NEXT) | instid1(VALU_DEP_1)
	v_or_b32_e32 v12, 0x70000000, v12
	v_dual_add_f32 v13, -0.5, v13 :: v_dual_mul_f32 v12, 0x7800000, v12
	v_cmp_gt_u32_e32 vcc_lo, 0x8000000, v1
	s_delay_alu instid0(VALU_DEP_2) | instskip(NEXT) | instid1(VALU_DEP_1)
	v_cndmask_b32_e32 v1, v12, v13, vcc_lo
	v_and_or_b32 v1, 0x80000000, v11, v1
	v_add_co_u32 v11, s8, s12, v20
	s_delay_alu instid0(VALU_DEP_1) | instskip(SKIP_2) | instid1(SALU_CYCLE_1)
	v_add_co_ci_u32_e64 v12, null, s13, 0, s8
	global_store_b64 v[11:12], v[1:2], off
	s_or_b32 exec_lo, exec_lo, s0
	s_mov_b32 s0, exec_lo
	v_cmpx_gt_u64_e64 s[2:3], v[9:10]
	s_cbranch_execz .LBB298_19
.LBB298_23:                             ;   in Loop: Header=BB298_9 Depth=1
	s_waitcnt vmcnt(0)
	v_lshlrev_b32_e32 v1, 25, v32
	v_lshlrev_b16 v9, 8, v32
	s_delay_alu instid0(VALU_DEP_2) | instskip(NEXT) | instid1(VALU_DEP_2)
	v_lshrrev_b32_e32 v10, 4, v1
	v_and_or_b32 v11, 0x7f00, v9, 0.5
	v_bfe_i32 v9, v9, 0, 16
	s_delay_alu instid0(VALU_DEP_3) | instskip(NEXT) | instid1(VALU_DEP_1)
	v_or_b32_e32 v10, 0x70000000, v10
	v_dual_add_f32 v11, -0.5, v11 :: v_dual_mul_f32 v10, 0x7800000, v10
	v_cmp_gt_u32_e32 vcc_lo, 0x8000000, v1
	s_delay_alu instid0(VALU_DEP_2) | instskip(NEXT) | instid1(VALU_DEP_1)
	v_cndmask_b32_e32 v1, v10, v11, vcc_lo
	v_and_or_b32 v1, 0x80000000, v9, v1
	v_add_co_u32 v9, vcc_lo, s12, v28
	v_add_co_ci_u32_e32 v10, vcc_lo, s13, v27, vcc_lo
	global_store_b64 v[9:10], v[1:2], off offset:-4
	s_or_b32 exec_lo, exec_lo, s0
	s_delay_alu instid0(SALU_CYCLE_1)
	s_mov_b32 s0, exec_lo
	v_cmpx_gt_u64_e64 s[2:3], v[7:8]
	s_cbranch_execz .LBB298_8
.LBB298_24:                             ;   in Loop: Header=BB298_9 Depth=1
	s_waitcnt vmcnt(0)
	v_lshlrev_b32_e32 v1, 25, v31
	v_lshlrev_b16 v7, 8, v31
	s_delay_alu instid0(VALU_DEP_2) | instskip(NEXT) | instid1(VALU_DEP_2)
	v_lshrrev_b32_e32 v8, 4, v1
	v_and_or_b32 v9, 0x7f00, v7, 0.5
	v_bfe_i32 v7, v7, 0, 16
	s_delay_alu instid0(VALU_DEP_3) | instskip(NEXT) | instid1(VALU_DEP_1)
	v_or_b32_e32 v8, 0x70000000, v8
	v_dual_add_f32 v9, -0.5, v9 :: v_dual_mul_f32 v8, 0x7800000, v8
	v_cmp_gt_u32_e32 vcc_lo, 0x8000000, v1
	s_delay_alu instid0(VALU_DEP_2) | instskip(NEXT) | instid1(VALU_DEP_1)
	v_cndmask_b32_e32 v1, v8, v9, vcc_lo
	v_and_or_b32 v1, 0x80000000, v7, v1
	v_add_co_u32 v7, vcc_lo, s12, v5
	v_add_co_ci_u32_e32 v8, vcc_lo, s13, v6, vcc_lo
	global_store_b64 v[7:8], v[1:2], off offset:-4
	s_branch .LBB298_8
.LBB298_25:
	s_nop 0
	s_sendmsg sendmsg(MSG_DEALLOC_VGPRS)
	s_endpgm
	.section	.rodata,"a",@progbits
	.p2align	6, 0x0
	.amdhsa_kernel _ZN2at6native12_GLOBAL__N_125multi_tensor_apply_kernelINS1_18TensorListMetadataILi2EEENS1_11CopyFunctorIN3c107complexIfEENS6_11Float8_e5m2ELi2ELi1ELi1EEEJNS0_4CopyIS8_S9_EEEEEvT_T0_DpT1_
		.amdhsa_group_segment_fixed_size 0
		.amdhsa_private_segment_fixed_size 0
		.amdhsa_kernarg_size 3408
		.amdhsa_user_sgpr_count 15
		.amdhsa_user_sgpr_dispatch_ptr 0
		.amdhsa_user_sgpr_queue_ptr 0
		.amdhsa_user_sgpr_kernarg_segment_ptr 1
		.amdhsa_user_sgpr_dispatch_id 0
		.amdhsa_user_sgpr_private_segment_size 0
		.amdhsa_wavefront_size32 1
		.amdhsa_uses_dynamic_stack 0
		.amdhsa_enable_private_segment 0
		.amdhsa_system_sgpr_workgroup_id_x 1
		.amdhsa_system_sgpr_workgroup_id_y 0
		.amdhsa_system_sgpr_workgroup_id_z 0
		.amdhsa_system_sgpr_workgroup_info 0
		.amdhsa_system_vgpr_workitem_id 0
		.amdhsa_next_free_vgpr 37
		.amdhsa_next_free_sgpr 22
		.amdhsa_reserve_vcc 1
		.amdhsa_float_round_mode_32 0
		.amdhsa_float_round_mode_16_64 0
		.amdhsa_float_denorm_mode_32 3
		.amdhsa_float_denorm_mode_16_64 3
		.amdhsa_dx10_clamp 1
		.amdhsa_ieee_mode 1
		.amdhsa_fp16_overflow 0
		.amdhsa_workgroup_processor_mode 1
		.amdhsa_memory_ordered 1
		.amdhsa_forward_progress 0
		.amdhsa_shared_vgpr_count 0
		.amdhsa_exception_fp_ieee_invalid_op 0
		.amdhsa_exception_fp_denorm_src 0
		.amdhsa_exception_fp_ieee_div_zero 0
		.amdhsa_exception_fp_ieee_overflow 0
		.amdhsa_exception_fp_ieee_underflow 0
		.amdhsa_exception_fp_ieee_inexact 0
		.amdhsa_exception_int_div_zero 0
	.end_amdhsa_kernel
	.section	.text._ZN2at6native12_GLOBAL__N_125multi_tensor_apply_kernelINS1_18TensorListMetadataILi2EEENS1_11CopyFunctorIN3c107complexIfEENS6_11Float8_e5m2ELi2ELi1ELi1EEEJNS0_4CopyIS8_S9_EEEEEvT_T0_DpT1_,"axG",@progbits,_ZN2at6native12_GLOBAL__N_125multi_tensor_apply_kernelINS1_18TensorListMetadataILi2EEENS1_11CopyFunctorIN3c107complexIfEENS6_11Float8_e5m2ELi2ELi1ELi1EEEJNS0_4CopyIS8_S9_EEEEEvT_T0_DpT1_,comdat
.Lfunc_end298:
	.size	_ZN2at6native12_GLOBAL__N_125multi_tensor_apply_kernelINS1_18TensorListMetadataILi2EEENS1_11CopyFunctorIN3c107complexIfEENS6_11Float8_e5m2ELi2ELi1ELi1EEEJNS0_4CopyIS8_S9_EEEEEvT_T0_DpT1_, .Lfunc_end298-_ZN2at6native12_GLOBAL__N_125multi_tensor_apply_kernelINS1_18TensorListMetadataILi2EEENS1_11CopyFunctorIN3c107complexIfEENS6_11Float8_e5m2ELi2ELi1ELi1EEEJNS0_4CopyIS8_S9_EEEEEvT_T0_DpT1_
                                        ; -- End function
	.section	.AMDGPU.csdata,"",@progbits
; Kernel info:
; codeLenInByte = 2096
; NumSgprs: 24
; NumVgprs: 37
; ScratchSize: 0
; MemoryBound: 0
; FloatMode: 240
; IeeeMode: 1
; LDSByteSize: 0 bytes/workgroup (compile time only)
; SGPRBlocks: 2
; VGPRBlocks: 4
; NumSGPRsForWavesPerEU: 24
; NumVGPRsForWavesPerEU: 37
; Occupancy: 16
; WaveLimiterHint : 0
; COMPUTE_PGM_RSRC2:SCRATCH_EN: 0
; COMPUTE_PGM_RSRC2:USER_SGPR: 15
; COMPUTE_PGM_RSRC2:TRAP_HANDLER: 0
; COMPUTE_PGM_RSRC2:TGID_X_EN: 1
; COMPUTE_PGM_RSRC2:TGID_Y_EN: 0
; COMPUTE_PGM_RSRC2:TGID_Z_EN: 0
; COMPUTE_PGM_RSRC2:TIDIG_COMP_CNT: 0
	.section	.text._ZN2at6native12_GLOBAL__N_125multi_tensor_apply_kernelINS1_18TensorListMetadataILi2EEENS1_11CopyFunctorIN3c107complexIfEENS6_15Float8_e5m2fnuzELi2ELi1ELi1EEEJNS0_4CopyIS8_S9_EEEEEvT_T0_DpT1_,"axG",@progbits,_ZN2at6native12_GLOBAL__N_125multi_tensor_apply_kernelINS1_18TensorListMetadataILi2EEENS1_11CopyFunctorIN3c107complexIfEENS6_15Float8_e5m2fnuzELi2ELi1ELi1EEEJNS0_4CopyIS8_S9_EEEEEvT_T0_DpT1_,comdat
	.globl	_ZN2at6native12_GLOBAL__N_125multi_tensor_apply_kernelINS1_18TensorListMetadataILi2EEENS1_11CopyFunctorIN3c107complexIfEENS6_15Float8_e5m2fnuzELi2ELi1ELi1EEEJNS0_4CopyIS8_S9_EEEEEvT_T0_DpT1_ ; -- Begin function _ZN2at6native12_GLOBAL__N_125multi_tensor_apply_kernelINS1_18TensorListMetadataILi2EEENS1_11CopyFunctorIN3c107complexIfEENS6_15Float8_e5m2fnuzELi2ELi1ELi1EEEJNS0_4CopyIS8_S9_EEEEEvT_T0_DpT1_
	.p2align	8
	.type	_ZN2at6native12_GLOBAL__N_125multi_tensor_apply_kernelINS1_18TensorListMetadataILi2EEENS1_11CopyFunctorIN3c107complexIfEENS6_15Float8_e5m2fnuzELi2ELi1ELi1EEEJNS0_4CopyIS8_S9_EEEEEvT_T0_DpT1_,@function
_ZN2at6native12_GLOBAL__N_125multi_tensor_apply_kernelINS1_18TensorListMetadataILi2EEENS1_11CopyFunctorIN3c107complexIfEENS6_15Float8_e5m2fnuzELi2ELi1ELi1EEEJNS0_4CopyIS8_S9_EEEEEvT_T0_DpT1_: ; @_ZN2at6native12_GLOBAL__N_125multi_tensor_apply_kernelINS1_18TensorListMetadataILi2EEENS1_11CopyFunctorIN3c107complexIfEENS6_15Float8_e5m2fnuzELi2ELi1ELi1EEEJNS0_4CopyIS8_S9_EEEEEvT_T0_DpT1_
; %bb.0:
	v_mov_b32_e32 v1, s15
	s_add_u32 s2, s0, s15
	s_mul_hi_u32 s3, s15, 3
	s_mul_i32 s15, s15, 3
	s_addc_u32 s4, s1, 0
	global_load_u8 v1, v1, s[0:1] offset:1536
	s_add_u32 s2, s2, s15
	s_addc_u32 s3, s4, s3
	s_mov_b32 s19, 0
	s_load_b32 s4, s[2:3], 0x740
	s_mov_b32 s21, s19
	s_waitcnt vmcnt(0)
	v_readfirstlane_b32 s5, v1
	s_delay_alu instid0(VALU_DEP_1)
	s_lshl_b32 s5, s5, 3
	s_clause 0x2
	s_load_b64 s[6:7], s[0:1], s5 offset:0x0
	s_load_b64 s[2:3], s[0:1], s5 offset:0x200
	;; [unrolled: 1-line block ×3, first 2 shown]
	s_waitcnt lgkmcnt(0)
	s_ashr_i32 s5, s4, 31
	s_delay_alu instid0(SALU_CYCLE_1) | instskip(NEXT) | instid1(SALU_CYCLE_1)
	s_lshl_b64 s[8:9], s[4:5], 16
	s_add_u32 s14, s6, s8
	s_addc_u32 s15, s7, s9
	s_lshl_b64 s[10:11], s[4:5], 19
	s_mov_b32 s5, s19
	s_add_u32 s12, s2, s10
	s_addc_u32 s13, s3, s11
	s_and_b32 s20, s16, 3
	s_and_b32 s4, s12, 31
	;; [unrolled: 1-line block ×3, first 2 shown]
	s_or_b64 s[4:5], s[4:5], s[20:21]
	s_delay_alu instid0(SALU_CYCLE_1)
	s_or_b64 s[18:19], s[18:19], s[4:5]
	s_sub_u32 s4, s16, s8
	s_subb_u32 s5, s17, s9
	s_cmp_eq_u64 s[18:19], 0
	s_mov_b32 s16, -1
	s_cbranch_scc0 .LBB299_37
; %bb.1:
	v_dual_mov_b32 v2, 0 :: v_dual_lshlrev_b32 v1, 2, v0
	s_mov_b32 s16, exec_lo
	s_delay_alu instid0(VALU_DEP_1)
	v_cmpx_gt_i64_e64 s[4:5], v[1:2]
	s_cbranch_execz .LBB299_36
; %bb.2:
	s_load_b32 s17, s[0:1], 0xc5c
	v_dual_mov_b32 v12, v2 :: v_dual_lshlrev_b32 v3, 5, v0
	v_mov_b32_e32 v11, v1
	s_waitcnt lgkmcnt(0)
	s_and_b32 s18, s17, 0xffff
	s_delay_alu instid0(SALU_CYCLE_1) | instskip(SKIP_3) | instid1(VALU_DEP_1)
	s_lshl_b32 s17, s18, 2
	s_add_u32 s2, s2, s10
	s_addc_u32 s3, s3, s11
	v_add_co_u32 v9, s2, s2, v3
	v_add_co_ci_u32_e64 v10, null, s3, 0, s2
	s_mov_b32 s3, 0
	s_lshl_b32 s10, s18, 5
	s_branch .LBB299_4
.LBB299_3:                              ;   in Loop: Header=BB299_4 Depth=1
	s_or_b32 exec_lo, exec_lo, s11
	v_add_co_u32 v11, vcc_lo, s17, v11
	v_add_co_ci_u32_e32 v12, vcc_lo, 0, v12, vcc_lo
	v_mov_b32_e32 v4, v2
	v_mov_b32_e32 v6, v2
	;; [unrolled: 1-line block ×3, first 2 shown]
	s_delay_alu instid0(VALU_DEP_4)
	v_cmp_le_i64_e32 vcc_lo, s[4:5], v[11:12]
	v_cmp_lt_u64_e64 s2, 0xffff, v[11:12]
	s_clause 0x1
	global_store_b128 v[9:10], v[1:4], off
	global_store_b128 v[9:10], v[5:8], off offset:16
	s_or_b32 s2, vcc_lo, s2
	v_add_co_u32 v9, vcc_lo, v9, s10
	v_add_co_ci_u32_e32 v10, vcc_lo, 0, v10, vcc_lo
	s_and_b32 s2, exec_lo, s2
	s_delay_alu instid0(SALU_CYCLE_1) | instskip(NEXT) | instid1(SALU_CYCLE_1)
	s_or_b32 s3, s2, s3
	s_and_not1_b32 exec_lo, exec_lo, s3
	s_cbranch_execz .LBB299_36
.LBB299_4:                              ; =>This Inner Loop Header: Depth=1
	v_add_co_u32 v3, vcc_lo, s14, v11
	v_add_co_ci_u32_e32 v4, vcc_lo, s15, v12, vcc_lo
	s_mov_b32 s2, 0
	s_mov_b32 s18, exec_lo
                                        ; implicit-def: $sgpr11
	global_load_b32 v4, v[3:4], off
	s_waitcnt vmcnt(0)
	v_and_b32_e32 v3, 0xff, v4
	s_delay_alu instid0(VALU_DEP_1)
	v_cmpx_lt_i16_e32 0x7f, v3
	s_xor_b32 s18, exec_lo, s18
	s_cbranch_execnz .LBB299_19
; %bb.5:                                ;   in Loop: Header=BB299_4 Depth=1
	s_or_saveexec_b32 s18, s18
	v_mov_b32_e32 v1, s11
	s_xor_b32 exec_lo, exec_lo, s18
	s_cbranch_execnz .LBB299_22
.LBB299_6:                              ;   in Loop: Header=BB299_4 Depth=1
	s_or_b32 exec_lo, exec_lo, s18
	s_and_saveexec_b32 s11, s2
	s_cbranch_execz .LBB299_8
.LBB299_7:                              ;   in Loop: Header=BB299_4 Depth=1
	v_and_b32_e32 v1, 3, v4
	v_bfe_u32 v6, v4, 2, 5
	v_lshlrev_b32_e32 v7, 24, v4
	s_delay_alu instid0(VALU_DEP_3) | instskip(NEXT) | instid1(VALU_DEP_3)
	v_clz_i32_u32_e32 v3, v1
	v_cmp_eq_u32_e32 vcc_lo, 0, v6
	s_delay_alu instid0(VALU_DEP_2) | instskip(NEXT) | instid1(VALU_DEP_1)
	v_min_u32_e32 v3, 32, v3
	v_subrev_nc_u32_e32 v5, 29, v3
	v_sub_nc_u32_e32 v3, 30, v3
	s_delay_alu instid0(VALU_DEP_2) | instskip(NEXT) | instid1(VALU_DEP_2)
	v_lshlrev_b32_e32 v5, v5, v4
	v_cndmask_b32_e32 v3, v6, v3, vcc_lo
	s_delay_alu instid0(VALU_DEP_2) | instskip(NEXT) | instid1(VALU_DEP_2)
	v_and_b32_e32 v5, 3, v5
	v_lshl_add_u32 v3, v3, 23, 0x37800000
	s_delay_alu instid0(VALU_DEP_2) | instskip(SKIP_1) | instid1(VALU_DEP_2)
	v_cndmask_b32_e32 v1, v1, v5, vcc_lo
	v_and_b32_e32 v5, 0x80000000, v7
	v_lshlrev_b32_e32 v1, 21, v1
	s_delay_alu instid0(VALU_DEP_1)
	v_or3_b32 v1, v5, v3, v1
.LBB299_8:                              ;   in Loop: Header=BB299_4 Depth=1
	s_or_b32 exec_lo, exec_lo, s11
	v_lshrrev_b32_e32 v5, 8, v4
	s_mov_b32 s2, 0
	s_mov_b32 s18, exec_lo
                                        ; implicit-def: $sgpr11
	s_delay_alu instid0(VALU_DEP_1) | instskip(NEXT) | instid1(VALU_DEP_1)
	v_and_b32_e32 v6, 0xff, v5
	v_cmpx_lt_i16_e32 0x7f, v6
	s_xor_b32 s18, exec_lo, s18
	s_cbranch_execnz .LBB299_23
; %bb.9:                                ;   in Loop: Header=BB299_4 Depth=1
	s_or_saveexec_b32 s18, s18
	v_mov_b32_e32 v3, s11
	s_xor_b32 exec_lo, exec_lo, s18
	s_cbranch_execnz .LBB299_26
.LBB299_10:                             ;   in Loop: Header=BB299_4 Depth=1
	s_or_b32 exec_lo, exec_lo, s18
	s_and_saveexec_b32 s11, s2
	s_cbranch_execz .LBB299_12
.LBB299_11:                             ;   in Loop: Header=BB299_4 Depth=1
	v_bfe_u32 v3, v4, 8, 2
	v_bfe_u32 v8, v4, 10, 5
	s_delay_alu instid0(VALU_DEP_2) | instskip(NEXT) | instid1(VALU_DEP_2)
	v_clz_i32_u32_e32 v6, v3
	v_cmp_eq_u32_e32 vcc_lo, 0, v8
	s_delay_alu instid0(VALU_DEP_2) | instskip(NEXT) | instid1(VALU_DEP_1)
	v_min_u32_e32 v6, 32, v6
	v_subrev_nc_u32_e32 v7, 29, v6
	v_sub_nc_u32_e32 v6, 30, v6
	s_delay_alu instid0(VALU_DEP_1) | instskip(SKIP_1) | instid1(VALU_DEP_2)
	v_dual_cndmask_b32 v6, v8, v6 :: v_dual_lshlrev_b32 v7, v7, v5
	v_lshlrev_b32_e32 v5, 24, v5
	v_and_b32_e32 v7, 3, v7
	s_delay_alu instid0(VALU_DEP_3) | instskip(NEXT) | instid1(VALU_DEP_3)
	v_lshl_add_u32 v6, v6, 23, 0x37800000
	v_and_b32_e32 v5, 0x80000000, v5
	s_delay_alu instid0(VALU_DEP_3) | instskip(NEXT) | instid1(VALU_DEP_1)
	v_cndmask_b32_e32 v3, v3, v7, vcc_lo
	v_lshlrev_b32_e32 v3, 21, v3
	s_delay_alu instid0(VALU_DEP_1)
	v_or3_b32 v3, v5, v6, v3
.LBB299_12:                             ;   in Loop: Header=BB299_4 Depth=1
	s_or_b32 exec_lo, exec_lo, s11
	v_lshrrev_b32_e32 v6, 16, v4
	s_mov_b32 s2, 0
	s_mov_b32 s18, exec_lo
                                        ; implicit-def: $sgpr11
	s_delay_alu instid0(VALU_DEP_1) | instskip(NEXT) | instid1(VALU_DEP_1)
	v_and_b32_e32 v7, 0xff, v6
	v_cmpx_lt_i16_e32 0x7f, v7
	s_xor_b32 s18, exec_lo, s18
	s_cbranch_execnz .LBB299_27
; %bb.13:                               ;   in Loop: Header=BB299_4 Depth=1
	s_or_saveexec_b32 s18, s18
	v_mov_b32_e32 v5, s11
	s_xor_b32 exec_lo, exec_lo, s18
	s_cbranch_execnz .LBB299_30
.LBB299_14:                             ;   in Loop: Header=BB299_4 Depth=1
	s_or_b32 exec_lo, exec_lo, s18
	s_and_saveexec_b32 s11, s2
	s_cbranch_execz .LBB299_16
.LBB299_15:                             ;   in Loop: Header=BB299_4 Depth=1
	v_bfe_u32 v5, v4, 16, 2
	v_bfe_u32 v13, v4, 18, 5
	s_delay_alu instid0(VALU_DEP_2) | instskip(NEXT) | instid1(VALU_DEP_2)
	v_clz_i32_u32_e32 v7, v5
	v_cmp_eq_u32_e32 vcc_lo, 0, v13
	s_delay_alu instid0(VALU_DEP_2) | instskip(NEXT) | instid1(VALU_DEP_1)
	v_min_u32_e32 v7, 32, v7
	v_subrev_nc_u32_e32 v8, 29, v7
	v_sub_nc_u32_e32 v7, 30, v7
	s_delay_alu instid0(VALU_DEP_1) | instskip(NEXT) | instid1(VALU_DEP_1)
	v_dual_cndmask_b32 v7, v13, v7 :: v_dual_lshlrev_b32 v8, v8, v6
	v_and_b32_e32 v8, 3, v8
	v_lshlrev_b32_e32 v6, 24, v6
	s_delay_alu instid0(VALU_DEP_3) | instskip(NEXT) | instid1(VALU_DEP_2)
	v_lshl_add_u32 v7, v7, 23, 0x37800000
	v_dual_cndmask_b32 v5, v5, v8 :: v_dual_and_b32 v6, 0x80000000, v6
	s_delay_alu instid0(VALU_DEP_1) | instskip(NEXT) | instid1(VALU_DEP_1)
	v_lshlrev_b32_e32 v5, 21, v5
	v_or3_b32 v5, v6, v7, v5
.LBB299_16:                             ;   in Loop: Header=BB299_4 Depth=1
	s_or_b32 exec_lo, exec_lo, s11
	v_lshrrev_b32_e32 v6, 24, v4
	s_mov_b32 s2, 0
	s_mov_b32 s18, exec_lo
                                        ; implicit-def: $sgpr11
	s_delay_alu instid0(VALU_DEP_1)
	v_cmpx_lt_i16_e32 0x7f, v6
	s_xor_b32 s18, exec_lo, s18
	s_cbranch_execnz .LBB299_31
; %bb.17:                               ;   in Loop: Header=BB299_4 Depth=1
	s_or_saveexec_b32 s18, s18
	v_mov_b32_e32 v7, s11
	s_xor_b32 exec_lo, exec_lo, s18
	s_cbranch_execnz .LBB299_34
.LBB299_18:                             ;   in Loop: Header=BB299_4 Depth=1
	s_or_b32 exec_lo, exec_lo, s18
	s_and_saveexec_b32 s11, s2
	s_cbranch_execz .LBB299_3
	s_branch .LBB299_35
.LBB299_19:                             ;   in Loop: Header=BB299_4 Depth=1
	s_mov_b32 s2, -1
	s_mov_b32 s19, exec_lo
                                        ; implicit-def: $sgpr11
	v_cmpx_eq_u16_e32 0x80, v3
; %bb.20:                               ;   in Loop: Header=BB299_4 Depth=1
	s_mov_b32 s11, 0x7f800001
	s_xor_b32 s2, exec_lo, -1
; %bb.21:                               ;   in Loop: Header=BB299_4 Depth=1
	s_or_b32 exec_lo, exec_lo, s19
	s_delay_alu instid0(SALU_CYCLE_1)
	s_and_b32 s2, s2, exec_lo
                                        ; implicit-def: $vgpr3
	s_or_saveexec_b32 s18, s18
	v_mov_b32_e32 v1, s11
	s_xor_b32 exec_lo, exec_lo, s18
	s_cbranch_execz .LBB299_6
.LBB299_22:                             ;   in Loop: Header=BB299_4 Depth=1
	v_cmp_ne_u16_e32 vcc_lo, 0, v3
	v_and_b32_e32 v1, 0xffff, v3
	s_and_not1_b32 s2, s2, exec_lo
	s_and_b32 s11, vcc_lo, exec_lo
	s_delay_alu instid0(SALU_CYCLE_1)
	s_or_b32 s2, s2, s11
	s_or_b32 exec_lo, exec_lo, s18
	s_and_saveexec_b32 s11, s2
	s_cbranch_execnz .LBB299_7
	s_branch .LBB299_8
.LBB299_23:                             ;   in Loop: Header=BB299_4 Depth=1
	s_mov_b32 s2, -1
	s_mov_b32 s19, exec_lo
                                        ; implicit-def: $sgpr11
	v_cmpx_eq_u16_e32 0x80, v6
; %bb.24:                               ;   in Loop: Header=BB299_4 Depth=1
	s_mov_b32 s11, 0x7f800001
	s_xor_b32 s2, exec_lo, -1
; %bb.25:                               ;   in Loop: Header=BB299_4 Depth=1
	s_or_b32 exec_lo, exec_lo, s19
	s_delay_alu instid0(SALU_CYCLE_1)
	s_and_b32 s2, s2, exec_lo
                                        ; implicit-def: $vgpr6
	s_or_saveexec_b32 s18, s18
	v_mov_b32_e32 v3, s11
	s_xor_b32 exec_lo, exec_lo, s18
	s_cbranch_execz .LBB299_10
.LBB299_26:                             ;   in Loop: Header=BB299_4 Depth=1
	v_cmp_ne_u16_e32 vcc_lo, 0, v6
	v_and_b32_e32 v3, 0xffff, v6
	s_and_not1_b32 s2, s2, exec_lo
	s_and_b32 s11, vcc_lo, exec_lo
	s_delay_alu instid0(SALU_CYCLE_1)
	s_or_b32 s2, s2, s11
	s_or_b32 exec_lo, exec_lo, s18
	s_and_saveexec_b32 s11, s2
	s_cbranch_execnz .LBB299_11
	s_branch .LBB299_12
.LBB299_27:                             ;   in Loop: Header=BB299_4 Depth=1
	s_mov_b32 s2, -1
	s_mov_b32 s19, exec_lo
                                        ; implicit-def: $sgpr11
	v_cmpx_eq_u16_e32 0x80, v7
; %bb.28:                               ;   in Loop: Header=BB299_4 Depth=1
	s_mov_b32 s11, 0x7f800001
	s_xor_b32 s2, exec_lo, -1
; %bb.29:                               ;   in Loop: Header=BB299_4 Depth=1
	s_or_b32 exec_lo, exec_lo, s19
	s_delay_alu instid0(SALU_CYCLE_1)
	s_and_b32 s2, s2, exec_lo
                                        ; implicit-def: $vgpr7
	s_or_saveexec_b32 s18, s18
	v_mov_b32_e32 v5, s11
	s_xor_b32 exec_lo, exec_lo, s18
	s_cbranch_execz .LBB299_14
.LBB299_30:                             ;   in Loop: Header=BB299_4 Depth=1
	v_cmp_ne_u16_e32 vcc_lo, 0, v7
	v_and_b32_e32 v5, 0xffff, v7
	s_and_not1_b32 s2, s2, exec_lo
	s_and_b32 s11, vcc_lo, exec_lo
	s_delay_alu instid0(SALU_CYCLE_1)
	s_or_b32 s2, s2, s11
	s_or_b32 exec_lo, exec_lo, s18
	s_and_saveexec_b32 s11, s2
	s_cbranch_execnz .LBB299_15
	s_branch .LBB299_16
.LBB299_31:                             ;   in Loop: Header=BB299_4 Depth=1
	s_mov_b32 s2, -1
	s_mov_b32 s19, exec_lo
                                        ; implicit-def: $sgpr11
	v_cmpx_eq_u16_e32 0x80, v6
; %bb.32:                               ;   in Loop: Header=BB299_4 Depth=1
	s_mov_b32 s11, 0x7f800001
	s_xor_b32 s2, exec_lo, -1
; %bb.33:                               ;   in Loop: Header=BB299_4 Depth=1
	s_or_b32 exec_lo, exec_lo, s19
	s_delay_alu instid0(SALU_CYCLE_1)
	s_and_b32 s2, s2, exec_lo
	s_or_saveexec_b32 s18, s18
	v_mov_b32_e32 v7, s11
	s_xor_b32 exec_lo, exec_lo, s18
	s_cbranch_execz .LBB299_18
.LBB299_34:                             ;   in Loop: Header=BB299_4 Depth=1
	v_cmp_ne_u16_e32 vcc_lo, 0, v6
	v_and_b32_e32 v7, 0xffff, v6
	s_and_not1_b32 s2, s2, exec_lo
	s_and_b32 s11, vcc_lo, exec_lo
	s_delay_alu instid0(SALU_CYCLE_1)
	s_or_b32 s2, s2, s11
	s_or_b32 exec_lo, exec_lo, s18
	s_and_saveexec_b32 s11, s2
	s_cbranch_execz .LBB299_3
.LBB299_35:                             ;   in Loop: Header=BB299_4 Depth=1
	v_bfe_u32 v7, v4, 24, 2
	s_delay_alu instid0(VALU_DEP_1) | instskip(NEXT) | instid1(VALU_DEP_1)
	v_clz_i32_u32_e32 v8, v7
	v_min_u32_e32 v8, 32, v8
	s_delay_alu instid0(VALU_DEP_1) | instskip(SKIP_1) | instid1(VALU_DEP_2)
	v_subrev_nc_u32_e32 v13, 29, v8
	v_sub_nc_u32_e32 v8, 30, v8
	v_lshlrev_b32_e32 v6, v13, v6
	v_bfe_u32 v13, v4, 26, 5
	v_and_b32_e32 v4, 0x80000000, v4
	s_delay_alu instid0(VALU_DEP_3) | instskip(NEXT) | instid1(VALU_DEP_3)
	v_and_b32_e32 v6, 3, v6
	v_cmp_eq_u32_e32 vcc_lo, 0, v13
	v_cndmask_b32_e32 v8, v13, v8, vcc_lo
	s_delay_alu instid0(VALU_DEP_3) | instskip(NEXT) | instid1(VALU_DEP_2)
	v_cndmask_b32_e32 v6, v7, v6, vcc_lo
	v_lshl_add_u32 v7, v8, 23, 0x37800000
	s_delay_alu instid0(VALU_DEP_2) | instskip(NEXT) | instid1(VALU_DEP_1)
	v_lshlrev_b32_e32 v6, 21, v6
	v_or3_b32 v7, v4, v7, v6
	s_branch .LBB299_3
.LBB299_36:
	s_or_b32 exec_lo, exec_lo, s16
	s_mov_b32 s16, 0
.LBB299_37:
	s_delay_alu instid0(SALU_CYCLE_1)
	s_and_not1_b32 vcc_lo, exec_lo, s16
	s_cbranch_vccnz .LBB299_89
; %bb.38:
	v_cmp_lt_i64_e64 s2, s[4:5], 1
	s_delay_alu instid0(VALU_DEP_1)
	s_and_b32 vcc_lo, exec_lo, s2
	s_cbranch_vccnz .LBB299_89
; %bb.39:
	s_load_b32 s0, s[0:1], 0xc5c
	v_cmp_gt_u64_e64 s1, 0x10000, s[4:5]
	v_add_co_u32 v1, s2, s8, v0
	v_dual_mov_b32 v2, 0 :: v_dual_lshlrev_b32 v3, 3, v0
	v_add_co_ci_u32_e64 v7, null, s9, 0, s2
	s_delay_alu instid0(VALU_DEP_3) | instskip(NEXT) | instid1(VALU_DEP_3)
	v_add_co_u32 v21, vcc_lo, s6, v1
	v_mov_b32_e32 v4, v2
	s_delay_alu instid0(VALU_DEP_3)
	v_add_co_ci_u32_e32 v22, vcc_lo, s7, v7, vcc_lo
                                        ; implicit-def: $vgpr37
                                        ; implicit-def: $vgpr38
                                        ; implicit-def: $vgpr39
                                        ; implicit-def: $vgpr40
	s_waitcnt lgkmcnt(0)
	s_and_b32 s0, s0, 0xffff
	s_and_b32 s1, s1, exec_lo
	v_add_co_u32 v23, s10, v0, s0
	s_mul_i32 s14, s0, 3
	s_cselect_b32 s3, s5, 0
	s_cselect_b32 s2, s4, 0x10000
	s_lshl_b32 s11, s0, 1
	s_lshl_b32 s1, s0, 2
	v_add_co_ci_u32_e64 v24, null, 0, 0, s10
	s_lshl_b32 s10, s0, 5
	s_add_u32 s15, s8, s14
	s_addc_u32 s16, s9, 0
	s_add_u32 s15, s6, s15
	s_addc_u32 s16, s7, s16
	;; [unrolled: 2-line block ×4, first 2 shown]
	v_mad_u64_u32 v[5:6], null, s0, 24, v[3:4]
	s_add_u32 s6, s6, s0
	s_addc_u32 s7, s7, 0
	s_lshl_b32 s0, s0, 4
	v_add_co_u32 v4, s15, s15, v0
	v_add_co_u32 v8, s0, s0, v3
	;; [unrolled: 1-line block ×4, first 2 shown]
	v_add_co_u32 v31, vcc_lo, s6, v1
	v_add_co_ci_u32_e64 v33, null, 0, 0, s0
	v_add_co_u32 v35, s0, s11, v0
	v_add_co_ci_u32_e64 v25, null, s16, 0, s15
	v_lshlrev_b32_e32 v26, 3, v23
	v_or_b32_e32 v5, 4, v5
	v_add_co_ci_u32_e64 v28, null, 0, 0, s14
	v_add_co_ci_u32_e64 v30, null, s9, 0, s8
	v_add_co_ci_u32_e32 v32, vcc_lo, s7, v7, vcc_lo
	v_or_b32_e32 v34, 4, v8
	v_add_co_ci_u32_e64 v36, null, 0, 0, s0
	s_mov_b64 s[6:7], 0
	s_branch .LBB299_41
.LBB299_40:                             ;   in Loop: Header=BB299_41 Depth=1
	s_or_b32 exec_lo, exec_lo, s0
	s_add_u32 s6, s6, s1
	s_addc_u32 s7, s7, 0
	s_delay_alu instid0(SALU_CYCLE_1) | instskip(SKIP_1) | instid1(VALU_DEP_1)
	v_cmp_ge_i64_e64 s0, s[6:7], s[4:5]
	v_cmp_lt_u64_e64 s8, 0xffff, s[6:7]
	s_or_b32 s0, s0, s8
	s_add_u32 s12, s12, s10
	s_addc_u32 s13, s13, 0
	s_and_b32 vcc_lo, exec_lo, s0
	s_cbranch_vccnz .LBB299_89
.LBB299_41:                             ; =>This Inner Loop Header: Depth=1
	v_add_co_u32 v7, s0, v0, s6
	s_delay_alu instid0(VALU_DEP_1) | instskip(NEXT) | instid1(VALU_DEP_1)
	v_add_co_ci_u32_e64 v8, null, 0, s7, s0
	v_cmp_gt_i64_e32 vcc_lo, s[4:5], v[7:8]
	v_cmp_gt_u64_e64 s0, 0x10000, v[7:8]
	s_delay_alu instid0(VALU_DEP_1) | instskip(NEXT) | instid1(SALU_CYCLE_1)
	s_and_b32 s8, vcc_lo, s0
	s_and_saveexec_b32 s0, s8
	s_cbranch_execz .LBB299_43
; %bb.42:                               ;   in Loop: Header=BB299_41 Depth=1
	v_add_co_u32 v9, vcc_lo, v21, s6
	v_add_co_ci_u32_e32 v10, vcc_lo, s7, v22, vcc_lo
	global_load_u8 v40, v[9:10], off
.LBB299_43:                             ;   in Loop: Header=BB299_41 Depth=1
	s_or_b32 exec_lo, exec_lo, s0
	v_add_co_u32 v9, vcc_lo, v23, s6
	v_add_co_ci_u32_e32 v10, vcc_lo, s7, v24, vcc_lo
	s_delay_alu instid0(VALU_DEP_1) | instskip(SKIP_1) | instid1(VALU_DEP_1)
	v_cmp_gt_i64_e32 vcc_lo, s[4:5], v[9:10]
	v_cmp_gt_u64_e64 s0, 0x10000, v[9:10]
	s_and_b32 s8, vcc_lo, s0
	s_delay_alu instid0(SALU_CYCLE_1)
	s_and_saveexec_b32 s0, s8
	s_cbranch_execz .LBB299_45
; %bb.44:                               ;   in Loop: Header=BB299_41 Depth=1
	v_add_co_u32 v11, vcc_lo, v31, s6
	v_add_co_ci_u32_e32 v12, vcc_lo, s7, v32, vcc_lo
	global_load_u8 v39, v[11:12], off
.LBB299_45:                             ;   in Loop: Header=BB299_41 Depth=1
	s_or_b32 exec_lo, exec_lo, s0
	v_add_co_u32 v11, vcc_lo, v35, s6
	v_add_co_ci_u32_e32 v12, vcc_lo, s7, v36, vcc_lo
	s_delay_alu instid0(VALU_DEP_1) | instskip(SKIP_1) | instid1(VALU_DEP_1)
	v_cmp_gt_i64_e32 vcc_lo, s[4:5], v[11:12]
	v_cmp_gt_u64_e64 s0, 0x10000, v[11:12]
	s_and_b32 s8, vcc_lo, s0
	s_delay_alu instid0(SALU_CYCLE_1)
	;; [unrolled: 15-line block ×3, first 2 shown]
	s_and_saveexec_b32 s0, s8
	s_cbranch_execz .LBB299_49
; %bb.48:                               ;   in Loop: Header=BB299_41 Depth=1
	v_add_co_u32 v15, vcc_lo, v4, s6
	v_add_co_ci_u32_e32 v16, vcc_lo, s7, v25, vcc_lo
	global_load_u8 v37, v[15:16], off
.LBB299_49:                             ;   in Loop: Header=BB299_41 Depth=1
	s_or_b32 exec_lo, exec_lo, s0
	s_waitcnt vmcnt(0)
	v_and_b32_e32 v15, 0xff, v40
	s_mov_b32 s0, 0
	s_mov_b32 s9, exec_lo
                                        ; implicit-def: $sgpr8
	s_delay_alu instid0(VALU_DEP_1)
	v_cmpx_lt_i16_e32 0x7f, v15
	s_xor_b32 s9, exec_lo, s9
	s_cbranch_execnz .LBB299_69
; %bb.50:                               ;   in Loop: Header=BB299_41 Depth=1
	s_or_saveexec_b32 s9, s9
	v_mov_b32_e32 v1, s8
	s_xor_b32 exec_lo, exec_lo, s9
	s_cbranch_execnz .LBB299_72
.LBB299_51:                             ;   in Loop: Header=BB299_41 Depth=1
	s_or_b32 exec_lo, exec_lo, s9
	s_and_saveexec_b32 s8, s0
	s_cbranch_execz .LBB299_53
.LBB299_52:                             ;   in Loop: Header=BB299_41 Depth=1
	v_and_b32_e32 v1, 3, v40
	v_lshrrev_b16 v17, 2, v40
	v_lshlrev_b32_e32 v18, 24, v40
	s_delay_alu instid0(VALU_DEP_3) | instskip(NEXT) | instid1(VALU_DEP_3)
	v_clz_i32_u32_e32 v15, v1
	v_and_b32_e32 v17, 31, v17
	s_delay_alu instid0(VALU_DEP_2) | instskip(NEXT) | instid1(VALU_DEP_2)
	v_min_u32_e32 v15, 32, v15
	v_cmp_eq_u32_e32 vcc_lo, 0, v17
	s_delay_alu instid0(VALU_DEP_2) | instskip(SKIP_1) | instid1(VALU_DEP_1)
	v_subrev_nc_u32_e32 v16, 29, v15
	v_sub_nc_u32_e32 v15, 30, v15
	v_dual_cndmask_b32 v15, v17, v15 :: v_dual_lshlrev_b32 v16, v16, v40
	s_delay_alu instid0(VALU_DEP_1) | instskip(NEXT) | instid1(VALU_DEP_2)
	v_and_b32_e32 v16, 3, v16
	v_lshl_add_u32 v15, v15, 23, 0x37800000
	s_delay_alu instid0(VALU_DEP_2) | instskip(NEXT) | instid1(VALU_DEP_1)
	v_dual_cndmask_b32 v1, v1, v16 :: v_dual_and_b32 v16, 0x80000000, v18
	v_lshlrev_b32_e32 v1, 21, v1
	s_delay_alu instid0(VALU_DEP_1)
	v_or3_b32 v1, v16, v15, v1
.LBB299_53:                             ;   in Loop: Header=BB299_41 Depth=1
	s_or_b32 exec_lo, exec_lo, s8
	v_and_b32_e32 v16, 0xff, v39
	s_mov_b32 s0, 0
	s_mov_b32 s9, exec_lo
                                        ; implicit-def: $sgpr8
	s_delay_alu instid0(VALU_DEP_1)
	v_cmpx_lt_i16_e32 0x7f, v16
	s_xor_b32 s9, exec_lo, s9
	s_cbranch_execnz .LBB299_73
; %bb.54:                               ;   in Loop: Header=BB299_41 Depth=1
	s_or_saveexec_b32 s9, s9
	v_mov_b32_e32 v15, s8
	s_xor_b32 exec_lo, exec_lo, s9
	s_cbranch_execnz .LBB299_76
.LBB299_55:                             ;   in Loop: Header=BB299_41 Depth=1
	s_or_b32 exec_lo, exec_lo, s9
	s_and_saveexec_b32 s8, s0
	s_cbranch_execz .LBB299_57
.LBB299_56:                             ;   in Loop: Header=BB299_41 Depth=1
	v_lshrrev_b16 v18, 2, v39
	v_lshlrev_b32_e32 v19, 24, v39
	s_delay_alu instid0(VALU_DEP_2) | instskip(NEXT) | instid1(VALU_DEP_1)
	v_and_b32_e32 v18, 31, v18
	v_cmp_eq_u32_e32 vcc_lo, 0, v18
	v_and_b32_e32 v15, 3, v39
	s_delay_alu instid0(VALU_DEP_1) | instskip(NEXT) | instid1(VALU_DEP_1)
	v_clz_i32_u32_e32 v16, v15
	v_min_u32_e32 v16, 32, v16
	s_delay_alu instid0(VALU_DEP_1) | instskip(SKIP_1) | instid1(VALU_DEP_1)
	v_subrev_nc_u32_e32 v17, 29, v16
	v_sub_nc_u32_e32 v16, 30, v16
	v_dual_cndmask_b32 v16, v18, v16 :: v_dual_lshlrev_b32 v17, v17, v39
	s_delay_alu instid0(VALU_DEP_1) | instskip(NEXT) | instid1(VALU_DEP_2)
	v_and_b32_e32 v17, 3, v17
	v_lshl_add_u32 v16, v16, 23, 0x37800000
	s_delay_alu instid0(VALU_DEP_2) | instskip(SKIP_1) | instid1(VALU_DEP_2)
	v_cndmask_b32_e32 v15, v15, v17, vcc_lo
	v_and_b32_e32 v17, 0x80000000, v19
	v_lshlrev_b32_e32 v15, 21, v15
	s_delay_alu instid0(VALU_DEP_1)
	v_or3_b32 v15, v17, v16, v15
.LBB299_57:                             ;   in Loop: Header=BB299_41 Depth=1
	s_or_b32 exec_lo, exec_lo, s8
	v_and_b32_e32 v16, 0xff, v38
	s_mov_b32 s0, 0
	s_mov_b32 s9, exec_lo
                                        ; implicit-def: $sgpr8
	s_delay_alu instid0(VALU_DEP_1)
	v_cmpx_lt_i16_e32 0x7f, v16
	s_xor_b32 s9, exec_lo, s9
	s_cbranch_execnz .LBB299_77
; %bb.58:                               ;   in Loop: Header=BB299_41 Depth=1
	s_or_saveexec_b32 s9, s9
	v_mov_b32_e32 v17, s8
	s_xor_b32 exec_lo, exec_lo, s9
	s_cbranch_execnz .LBB299_80
.LBB299_59:                             ;   in Loop: Header=BB299_41 Depth=1
	s_or_b32 exec_lo, exec_lo, s9
	s_and_saveexec_b32 s8, s0
	s_cbranch_execz .LBB299_61
.LBB299_60:                             ;   in Loop: Header=BB299_41 Depth=1
	v_lshrrev_b16 v19, 2, v38
	v_lshlrev_b32_e32 v20, 24, v38
	s_delay_alu instid0(VALU_DEP_2) | instskip(NEXT) | instid1(VALU_DEP_1)
	v_and_b32_e32 v19, 31, v19
	v_cmp_eq_u32_e32 vcc_lo, 0, v19
	v_and_b32_e32 v16, 3, v38
	s_delay_alu instid0(VALU_DEP_1) | instskip(NEXT) | instid1(VALU_DEP_1)
	v_clz_i32_u32_e32 v17, v16
	v_min_u32_e32 v17, 32, v17
	s_delay_alu instid0(VALU_DEP_1) | instskip(SKIP_1) | instid1(VALU_DEP_1)
	v_subrev_nc_u32_e32 v18, 29, v17
	v_sub_nc_u32_e32 v17, 30, v17
	v_dual_cndmask_b32 v17, v19, v17 :: v_dual_lshlrev_b32 v18, v18, v38
	s_delay_alu instid0(VALU_DEP_1) | instskip(NEXT) | instid1(VALU_DEP_2)
	v_and_b32_e32 v18, 3, v18
	v_lshl_add_u32 v17, v17, 23, 0x37800000
	s_delay_alu instid0(VALU_DEP_2) | instskip(SKIP_1) | instid1(VALU_DEP_2)
	v_cndmask_b32_e32 v16, v16, v18, vcc_lo
	v_and_b32_e32 v18, 0x80000000, v20
	v_lshlrev_b32_e32 v16, 21, v16
	s_delay_alu instid0(VALU_DEP_1)
	v_or3_b32 v17, v18, v17, v16
.LBB299_61:                             ;   in Loop: Header=BB299_41 Depth=1
	s_or_b32 exec_lo, exec_lo, s8
	v_and_b32_e32 v16, 0xff, v37
	s_mov_b32 s0, 0
	s_mov_b32 s9, exec_lo
                                        ; implicit-def: $sgpr8
	s_delay_alu instid0(VALU_DEP_1)
	v_cmpx_lt_i16_e32 0x7f, v16
	s_xor_b32 s9, exec_lo, s9
	s_cbranch_execnz .LBB299_81
; %bb.62:                               ;   in Loop: Header=BB299_41 Depth=1
	s_or_saveexec_b32 s9, s9
	v_mov_b32_e32 v19, s8
	s_xor_b32 exec_lo, exec_lo, s9
	s_cbranch_execnz .LBB299_84
.LBB299_63:                             ;   in Loop: Header=BB299_41 Depth=1
	s_or_b32 exec_lo, exec_lo, s9
	s_and_saveexec_b32 s8, s0
	s_cbranch_execz .LBB299_65
.LBB299_64:                             ;   in Loop: Header=BB299_41 Depth=1
	v_and_b32_e32 v16, 3, v37
	v_lshrrev_b16 v20, 2, v37
	s_delay_alu instid0(VALU_DEP_2) | instskip(NEXT) | instid1(VALU_DEP_2)
	v_clz_i32_u32_e32 v18, v16
	v_and_b32_e32 v20, 31, v20
	s_delay_alu instid0(VALU_DEP_2) | instskip(NEXT) | instid1(VALU_DEP_2)
	v_min_u32_e32 v18, 32, v18
	v_cmp_eq_u32_e32 vcc_lo, 0, v20
	s_delay_alu instid0(VALU_DEP_2) | instskip(SKIP_1) | instid1(VALU_DEP_1)
	v_subrev_nc_u32_e32 v19, 29, v18
	v_sub_nc_u32_e32 v18, 30, v18
	v_dual_cndmask_b32 v18, v20, v18 :: v_dual_lshlrev_b32 v19, v19, v37
	s_delay_alu instid0(VALU_DEP_1) | instskip(SKIP_1) | instid1(VALU_DEP_3)
	v_and_b32_e32 v19, 3, v19
	v_lshlrev_b32_e32 v41, 24, v37
	v_lshl_add_u32 v18, v18, 23, 0x37800000
	s_delay_alu instid0(VALU_DEP_2) | instskip(NEXT) | instid1(VALU_DEP_1)
	v_dual_cndmask_b32 v16, v16, v19 :: v_dual_and_b32 v19, 0x80000000, v41
	v_lshlrev_b32_e32 v16, 21, v16
	s_delay_alu instid0(VALU_DEP_1)
	v_or3_b32 v19, v19, v18, v16
.LBB299_65:                             ;   in Loop: Header=BB299_41 Depth=1
	s_or_b32 exec_lo, exec_lo, s8
	s_delay_alu instid0(SALU_CYCLE_1)
	s_mov_b32 s0, exec_lo
	v_cmpx_gt_u64_e64 s[2:3], v[7:8]
	s_xor_b32 s0, exec_lo, s0
	s_cbranch_execnz .LBB299_85
; %bb.66:                               ;   in Loop: Header=BB299_41 Depth=1
	s_or_b32 exec_lo, exec_lo, s0
	s_delay_alu instid0(SALU_CYCLE_1)
	s_mov_b32 s0, exec_lo
	v_cmpx_gt_u64_e64 s[2:3], v[9:10]
	s_cbranch_execnz .LBB299_86
.LBB299_67:                             ;   in Loop: Header=BB299_41 Depth=1
	s_or_b32 exec_lo, exec_lo, s0
	s_delay_alu instid0(SALU_CYCLE_1)
	s_mov_b32 s0, exec_lo
	v_cmpx_gt_u64_e64 s[2:3], v[11:12]
	s_cbranch_execnz .LBB299_87
.LBB299_68:                             ;   in Loop: Header=BB299_41 Depth=1
	s_or_b32 exec_lo, exec_lo, s0
	s_delay_alu instid0(SALU_CYCLE_1)
	s_mov_b32 s0, exec_lo
	v_cmpx_gt_u64_e64 s[2:3], v[13:14]
	s_cbranch_execz .LBB299_40
	s_branch .LBB299_88
.LBB299_69:                             ;   in Loop: Header=BB299_41 Depth=1
	s_mov_b32 s0, -1
	s_mov_b32 s11, exec_lo
                                        ; implicit-def: $sgpr8
	v_cmpx_eq_u16_e32 0x80, v15
; %bb.70:                               ;   in Loop: Header=BB299_41 Depth=1
	s_mov_b32 s8, 0x7f800001
	s_xor_b32 s0, exec_lo, -1
; %bb.71:                               ;   in Loop: Header=BB299_41 Depth=1
	s_or_b32 exec_lo, exec_lo, s11
	s_delay_alu instid0(SALU_CYCLE_1)
	s_and_b32 s0, s0, exec_lo
                                        ; implicit-def: $vgpr15
	s_or_saveexec_b32 s9, s9
	v_mov_b32_e32 v1, s8
	s_xor_b32 exec_lo, exec_lo, s9
	s_cbranch_execz .LBB299_51
.LBB299_72:                             ;   in Loop: Header=BB299_41 Depth=1
	v_cmp_ne_u16_e32 vcc_lo, 0, v15
	v_and_b32_e32 v1, 0xffff, v15
	s_and_not1_b32 s0, s0, exec_lo
	s_and_b32 s8, vcc_lo, exec_lo
	s_delay_alu instid0(SALU_CYCLE_1)
	s_or_b32 s0, s0, s8
	s_or_b32 exec_lo, exec_lo, s9
	s_and_saveexec_b32 s8, s0
	s_cbranch_execnz .LBB299_52
	s_branch .LBB299_53
.LBB299_73:                             ;   in Loop: Header=BB299_41 Depth=1
	s_mov_b32 s0, -1
	s_mov_b32 s11, exec_lo
                                        ; implicit-def: $sgpr8
	v_cmpx_eq_u16_e32 0x80, v16
; %bb.74:                               ;   in Loop: Header=BB299_41 Depth=1
	s_mov_b32 s8, 0x7f800001
	s_xor_b32 s0, exec_lo, -1
; %bb.75:                               ;   in Loop: Header=BB299_41 Depth=1
	s_or_b32 exec_lo, exec_lo, s11
	s_delay_alu instid0(SALU_CYCLE_1)
	s_and_b32 s0, s0, exec_lo
                                        ; implicit-def: $vgpr16
	s_or_saveexec_b32 s9, s9
	v_mov_b32_e32 v15, s8
	s_xor_b32 exec_lo, exec_lo, s9
	s_cbranch_execz .LBB299_55
.LBB299_76:                             ;   in Loop: Header=BB299_41 Depth=1
	v_cmp_ne_u16_e32 vcc_lo, 0, v16
	v_and_b32_e32 v15, 0xffff, v16
	s_and_not1_b32 s0, s0, exec_lo
	s_and_b32 s8, vcc_lo, exec_lo
	s_delay_alu instid0(SALU_CYCLE_1)
	s_or_b32 s0, s0, s8
	s_or_b32 exec_lo, exec_lo, s9
	s_and_saveexec_b32 s8, s0
	s_cbranch_execnz .LBB299_56
	s_branch .LBB299_57
.LBB299_77:                             ;   in Loop: Header=BB299_41 Depth=1
	s_mov_b32 s0, -1
	s_mov_b32 s11, exec_lo
                                        ; implicit-def: $sgpr8
	v_cmpx_eq_u16_e32 0x80, v16
; %bb.78:                               ;   in Loop: Header=BB299_41 Depth=1
	s_mov_b32 s8, 0x7f800001
	s_xor_b32 s0, exec_lo, -1
; %bb.79:                               ;   in Loop: Header=BB299_41 Depth=1
	s_or_b32 exec_lo, exec_lo, s11
	s_delay_alu instid0(SALU_CYCLE_1)
	s_and_b32 s0, s0, exec_lo
                                        ; implicit-def: $vgpr16
	s_or_saveexec_b32 s9, s9
	v_mov_b32_e32 v17, s8
	s_xor_b32 exec_lo, exec_lo, s9
	s_cbranch_execz .LBB299_59
.LBB299_80:                             ;   in Loop: Header=BB299_41 Depth=1
	v_cmp_ne_u16_e32 vcc_lo, 0, v16
	v_and_b32_e32 v17, 0xffff, v16
	s_and_not1_b32 s0, s0, exec_lo
	s_and_b32 s8, vcc_lo, exec_lo
	s_delay_alu instid0(SALU_CYCLE_1)
	s_or_b32 s0, s0, s8
	s_or_b32 exec_lo, exec_lo, s9
	s_and_saveexec_b32 s8, s0
	s_cbranch_execnz .LBB299_60
	s_branch .LBB299_61
.LBB299_81:                             ;   in Loop: Header=BB299_41 Depth=1
	s_mov_b32 s0, -1
	s_mov_b32 s11, exec_lo
                                        ; implicit-def: $sgpr8
	v_cmpx_eq_u16_e32 0x80, v16
; %bb.82:                               ;   in Loop: Header=BB299_41 Depth=1
	s_mov_b32 s8, 0x7f800001
	s_xor_b32 s0, exec_lo, -1
; %bb.83:                               ;   in Loop: Header=BB299_41 Depth=1
	s_or_b32 exec_lo, exec_lo, s11
	s_delay_alu instid0(SALU_CYCLE_1)
	s_and_b32 s0, s0, exec_lo
                                        ; implicit-def: $vgpr16
	s_or_saveexec_b32 s9, s9
	v_mov_b32_e32 v19, s8
	s_xor_b32 exec_lo, exec_lo, s9
	s_cbranch_execz .LBB299_63
.LBB299_84:                             ;   in Loop: Header=BB299_41 Depth=1
	v_cmp_ne_u16_e32 vcc_lo, 0, v16
	v_and_b32_e32 v19, 0xffff, v16
	s_and_not1_b32 s0, s0, exec_lo
	s_and_b32 s8, vcc_lo, exec_lo
	s_delay_alu instid0(SALU_CYCLE_1)
	s_or_b32 s0, s0, s8
	s_or_b32 exec_lo, exec_lo, s9
	s_and_saveexec_b32 s8, s0
	s_cbranch_execnz .LBB299_64
	s_branch .LBB299_65
.LBB299_85:                             ;   in Loop: Header=BB299_41 Depth=1
	v_add_co_u32 v7, s8, s12, v3
	s_delay_alu instid0(VALU_DEP_1) | instskip(SKIP_2) | instid1(SALU_CYCLE_1)
	v_add_co_ci_u32_e64 v8, null, s13, 0, s8
	global_store_b64 v[7:8], v[1:2], off
	s_or_b32 exec_lo, exec_lo, s0
	s_mov_b32 s0, exec_lo
	v_cmpx_gt_u64_e64 s[2:3], v[9:10]
	s_cbranch_execz .LBB299_67
.LBB299_86:                             ;   in Loop: Header=BB299_41 Depth=1
	v_add_co_u32 v7, s8, s12, v26
	s_delay_alu instid0(VALU_DEP_1) | instskip(SKIP_3) | instid1(SALU_CYCLE_1)
	v_add_co_ci_u32_e64 v8, null, s13, 0, s8
	v_mov_b32_e32 v16, v2
	global_store_b64 v[7:8], v[15:16], off
	s_or_b32 exec_lo, exec_lo, s0
	s_mov_b32 s0, exec_lo
	v_cmpx_gt_u64_e64 s[2:3], v[11:12]
	s_cbranch_execz .LBB299_68
.LBB299_87:                             ;   in Loop: Header=BB299_41 Depth=1
	v_add_co_u32 v7, vcc_lo, s12, v34
	v_add_co_ci_u32_e32 v8, vcc_lo, s13, v33, vcc_lo
	v_mov_b32_e32 v18, v2
	global_store_b64 v[7:8], v[17:18], off offset:-4
	s_or_b32 exec_lo, exec_lo, s0
	s_delay_alu instid0(SALU_CYCLE_1)
	s_mov_b32 s0, exec_lo
	v_cmpx_gt_u64_e64 s[2:3], v[13:14]
	s_cbranch_execz .LBB299_40
.LBB299_88:                             ;   in Loop: Header=BB299_41 Depth=1
	v_add_co_u32 v7, vcc_lo, s12, v5
	v_add_co_ci_u32_e32 v8, vcc_lo, s13, v6, vcc_lo
	v_mov_b32_e32 v20, v2
	global_store_b64 v[7:8], v[19:20], off offset:-4
	s_branch .LBB299_40
.LBB299_89:
	s_nop 0
	s_sendmsg sendmsg(MSG_DEALLOC_VGPRS)
	s_endpgm
	.section	.rodata,"a",@progbits
	.p2align	6, 0x0
	.amdhsa_kernel _ZN2at6native12_GLOBAL__N_125multi_tensor_apply_kernelINS1_18TensorListMetadataILi2EEENS1_11CopyFunctorIN3c107complexIfEENS6_15Float8_e5m2fnuzELi2ELi1ELi1EEEJNS0_4CopyIS8_S9_EEEEEvT_T0_DpT1_
		.amdhsa_group_segment_fixed_size 0
		.amdhsa_private_segment_fixed_size 0
		.amdhsa_kernarg_size 3408
		.amdhsa_user_sgpr_count 15
		.amdhsa_user_sgpr_dispatch_ptr 0
		.amdhsa_user_sgpr_queue_ptr 0
		.amdhsa_user_sgpr_kernarg_segment_ptr 1
		.amdhsa_user_sgpr_dispatch_id 0
		.amdhsa_user_sgpr_private_segment_size 0
		.amdhsa_wavefront_size32 1
		.amdhsa_uses_dynamic_stack 0
		.amdhsa_enable_private_segment 0
		.amdhsa_system_sgpr_workgroup_id_x 1
		.amdhsa_system_sgpr_workgroup_id_y 0
		.amdhsa_system_sgpr_workgroup_id_z 0
		.amdhsa_system_sgpr_workgroup_info 0
		.amdhsa_system_vgpr_workitem_id 0
		.amdhsa_next_free_vgpr 42
		.amdhsa_next_free_sgpr 22
		.amdhsa_reserve_vcc 1
		.amdhsa_float_round_mode_32 0
		.amdhsa_float_round_mode_16_64 0
		.amdhsa_float_denorm_mode_32 3
		.amdhsa_float_denorm_mode_16_64 3
		.amdhsa_dx10_clamp 1
		.amdhsa_ieee_mode 1
		.amdhsa_fp16_overflow 0
		.amdhsa_workgroup_processor_mode 1
		.amdhsa_memory_ordered 1
		.amdhsa_forward_progress 0
		.amdhsa_shared_vgpr_count 0
		.amdhsa_exception_fp_ieee_invalid_op 0
		.amdhsa_exception_fp_denorm_src 0
		.amdhsa_exception_fp_ieee_div_zero 0
		.amdhsa_exception_fp_ieee_overflow 0
		.amdhsa_exception_fp_ieee_underflow 0
		.amdhsa_exception_fp_ieee_inexact 0
		.amdhsa_exception_int_div_zero 0
	.end_amdhsa_kernel
	.section	.text._ZN2at6native12_GLOBAL__N_125multi_tensor_apply_kernelINS1_18TensorListMetadataILi2EEENS1_11CopyFunctorIN3c107complexIfEENS6_15Float8_e5m2fnuzELi2ELi1ELi1EEEJNS0_4CopyIS8_S9_EEEEEvT_T0_DpT1_,"axG",@progbits,_ZN2at6native12_GLOBAL__N_125multi_tensor_apply_kernelINS1_18TensorListMetadataILi2EEENS1_11CopyFunctorIN3c107complexIfEENS6_15Float8_e5m2fnuzELi2ELi1ELi1EEEJNS0_4CopyIS8_S9_EEEEEvT_T0_DpT1_,comdat
.Lfunc_end299:
	.size	_ZN2at6native12_GLOBAL__N_125multi_tensor_apply_kernelINS1_18TensorListMetadataILi2EEENS1_11CopyFunctorIN3c107complexIfEENS6_15Float8_e5m2fnuzELi2ELi1ELi1EEEJNS0_4CopyIS8_S9_EEEEEvT_T0_DpT1_, .Lfunc_end299-_ZN2at6native12_GLOBAL__N_125multi_tensor_apply_kernelINS1_18TensorListMetadataILi2EEENS1_11CopyFunctorIN3c107complexIfEENS6_15Float8_e5m2fnuzELi2ELi1ELi1EEEJNS0_4CopyIS8_S9_EEEEEvT_T0_DpT1_
                                        ; -- End function
	.section	.AMDGPU.csdata,"",@progbits
; Kernel info:
; codeLenInByte = 3612
; NumSgprs: 24
; NumVgprs: 42
; ScratchSize: 0
; MemoryBound: 0
; FloatMode: 240
; IeeeMode: 1
; LDSByteSize: 0 bytes/workgroup (compile time only)
; SGPRBlocks: 2
; VGPRBlocks: 5
; NumSGPRsForWavesPerEU: 24
; NumVGPRsForWavesPerEU: 42
; Occupancy: 16
; WaveLimiterHint : 0
; COMPUTE_PGM_RSRC2:SCRATCH_EN: 0
; COMPUTE_PGM_RSRC2:USER_SGPR: 15
; COMPUTE_PGM_RSRC2:TRAP_HANDLER: 0
; COMPUTE_PGM_RSRC2:TGID_X_EN: 1
; COMPUTE_PGM_RSRC2:TGID_Y_EN: 0
; COMPUTE_PGM_RSRC2:TGID_Z_EN: 0
; COMPUTE_PGM_RSRC2:TIDIG_COMP_CNT: 0
	.section	.text._ZN2at6native12_GLOBAL__N_125multi_tensor_apply_kernelINS1_18TensorListMetadataILi2EEENS1_11CopyFunctorIN3c104HalfEhLi2ELi1ELi1EEEJNS0_4CopyIS7_hEEEEEvT_T0_DpT1_,"axG",@progbits,_ZN2at6native12_GLOBAL__N_125multi_tensor_apply_kernelINS1_18TensorListMetadataILi2EEENS1_11CopyFunctorIN3c104HalfEhLi2ELi1ELi1EEEJNS0_4CopyIS7_hEEEEEvT_T0_DpT1_,comdat
	.globl	_ZN2at6native12_GLOBAL__N_125multi_tensor_apply_kernelINS1_18TensorListMetadataILi2EEENS1_11CopyFunctorIN3c104HalfEhLi2ELi1ELi1EEEJNS0_4CopyIS7_hEEEEEvT_T0_DpT1_ ; -- Begin function _ZN2at6native12_GLOBAL__N_125multi_tensor_apply_kernelINS1_18TensorListMetadataILi2EEENS1_11CopyFunctorIN3c104HalfEhLi2ELi1ELi1EEEJNS0_4CopyIS7_hEEEEEvT_T0_DpT1_
	.p2align	8
	.type	_ZN2at6native12_GLOBAL__N_125multi_tensor_apply_kernelINS1_18TensorListMetadataILi2EEENS1_11CopyFunctorIN3c104HalfEhLi2ELi1ELi1EEEJNS0_4CopyIS7_hEEEEEvT_T0_DpT1_,@function
_ZN2at6native12_GLOBAL__N_125multi_tensor_apply_kernelINS1_18TensorListMetadataILi2EEENS1_11CopyFunctorIN3c104HalfEhLi2ELi1ELi1EEEJNS0_4CopyIS7_hEEEEEvT_T0_DpT1_: ; @_ZN2at6native12_GLOBAL__N_125multi_tensor_apply_kernelINS1_18TensorListMetadataILi2EEENS1_11CopyFunctorIN3c104HalfEhLi2ELi1ELi1EEEJNS0_4CopyIS7_hEEEEEvT_T0_DpT1_
; %bb.0:
	v_mov_b32_e32 v1, s15
	s_add_u32 s2, s0, s15
	s_mul_hi_u32 s3, s15, 3
	s_mul_i32 s15, s15, 3
	s_addc_u32 s5, s1, 0
	global_load_u8 v1, v1, s[0:1] offset:1536
	s_add_u32 s2, s2, s15
	s_addc_u32 s3, s5, s3
	s_mov_b32 s5, 0
	s_delay_alu instid0(SALU_CYCLE_1) | instskip(SKIP_2) | instid1(VALU_DEP_1)
	s_mov_b32 s15, s5
	s_waitcnt vmcnt(0)
	v_readfirstlane_b32 s4, v1
	s_lshl_b32 s4, s4, 3
	s_clause 0x3
	s_load_b32 s10, s[2:3], 0x740
	s_load_b64 s[12:13], s[0:1], s4 offset:0x200
	s_load_b64 s[2:3], s[0:1], s4 offset:0x400
	;; [unrolled: 1-line block ×3, first 2 shown]
	s_waitcnt lgkmcnt(0)
	s_ashr_i32 s11, s10, 31
	s_and_b32 s8, s12, 7
	s_and_b32 s9, s2, 3
	;; [unrolled: 1-line block ×3, first 2 shown]
	s_or_b32 s14, s9, s8
	s_lshl_b64 s[8:9], s[10:11], 16
	s_or_b64 s[14:15], s[4:5], s[14:15]
	s_sub_u32 s4, s2, s8
	s_subb_u32 s5, s3, s9
	s_cmp_eq_u64 s[14:15], 0
	s_mov_b32 s2, -1
	s_cbranch_scc0 .LBB300_5
; %bb.1:
	v_dual_mov_b32 v2, 0 :: v_dual_lshlrev_b32 v1, 2, v0
	s_mov_b32 s3, exec_lo
	s_delay_alu instid0(VALU_DEP_1)
	v_cmpx_gt_i64_e64 s[4:5], v[1:2]
	s_cbranch_execz .LBB300_4
; %bb.2:
	s_load_b32 s2, s[0:1], 0xc5c
	v_lshlrev_b32_e32 v3, 3, v0
	s_waitcnt lgkmcnt(0)
	s_and_b32 s2, s2, 0xffff
	s_delay_alu instid0(SALU_CYCLE_1)
	s_lshl_b32 s14, s2, 2
	s_add_u32 s15, s8, s6
	s_addc_u32 s16, s9, s7
	s_add_u32 s15, s15, 2
	s_addc_u32 s16, s16, 0
	s_lshl_b64 s[18:19], s[10:11], 17
	s_delay_alu instid0(SALU_CYCLE_1) | instskip(SKIP_2) | instid1(VALU_DEP_1)
	s_add_u32 s17, s12, s18
	s_addc_u32 s18, s13, s19
	v_add_co_u32 v3, s17, s17, v3
	v_add_co_ci_u32_e64 v4, null, s18, 0, s17
	s_mov_b32 s17, 0
	s_delay_alu instid0(VALU_DEP_2) | instskip(NEXT) | instid1(VALU_DEP_2)
	v_add_co_u32 v3, vcc_lo, v3, 4
	v_add_co_ci_u32_e32 v4, vcc_lo, 0, v4, vcc_lo
	s_lshl_b32 s18, s2, 3
	s_set_inst_prefetch_distance 0x1
	.p2align	6
.LBB300_3:                              ; =>This Inner Loop Header: Depth=1
	v_add_co_u32 v5, vcc_lo, s15, v1
	v_add_co_ci_u32_e32 v6, vcc_lo, s16, v2, vcc_lo
	v_add_co_u32 v1, vcc_lo, s14, v1
	v_add_co_ci_u32_e32 v2, vcc_lo, 0, v2, vcc_lo
	global_load_b32 v5, v[5:6], off offset:-2
	v_cmp_le_i64_e32 vcc_lo, s[4:5], v[1:2]
	v_cmp_lt_u64_e64 s2, 0xffff, v[1:2]
	s_delay_alu instid0(VALU_DEP_1) | instskip(NEXT) | instid1(SALU_CYCLE_1)
	s_or_b32 s2, vcc_lo, s2
	s_and_b32 s2, exec_lo, s2
	s_delay_alu instid0(SALU_CYCLE_1)
	s_or_b32 s17, s2, s17
	s_waitcnt vmcnt(0)
	v_lshrrev_b32_e32 v6, 16, v5
	v_lshrrev_b32_e32 v7, 8, v5
	v_and_b32_e32 v8, 0xff, v5
	v_lshrrev_b32_e32 v5, 24, v5
	s_delay_alu instid0(VALU_DEP_4) | instskip(NEXT) | instid1(VALU_DEP_4)
	v_and_b32_e32 v6, 0xff, v6
	v_and_b32_e32 v7, 0xff, v7
	s_delay_alu instid0(VALU_DEP_4) | instskip(NEXT) | instid1(VALU_DEP_4)
	v_cvt_f16_u16_e32 v8, v8
	v_cvt_f16_u16_e32 v5, v5
	s_delay_alu instid0(VALU_DEP_4) | instskip(NEXT) | instid1(VALU_DEP_4)
	v_cvt_f16_u16_e32 v6, v6
	v_cvt_f16_u16_e32 v7, v7
	s_delay_alu instid0(VALU_DEP_2) | instskip(NEXT) | instid1(VALU_DEP_2)
	v_pack_b32_f16 v6, v6, v5
	v_pack_b32_f16 v5, v8, v7
	global_store_b64 v[3:4], v[5:6], off offset:-4
	v_add_co_u32 v3, vcc_lo, v3, s18
	v_add_co_ci_u32_e32 v4, vcc_lo, 0, v4, vcc_lo
	s_and_not1_b32 exec_lo, exec_lo, s17
	s_cbranch_execnz .LBB300_3
.LBB300_4:
	s_set_inst_prefetch_distance 0x2
	s_or_b32 exec_lo, exec_lo, s3
	s_mov_b32 s2, 0
.LBB300_5:
	s_delay_alu instid0(SALU_CYCLE_1)
	s_and_not1_b32 vcc_lo, exec_lo, s2
	s_cbranch_vccnz .LBB300_25
; %bb.6:
	v_cmp_lt_i64_e64 s2, s[4:5], 1
	s_delay_alu instid0(VALU_DEP_1)
	s_and_b32 vcc_lo, exec_lo, s2
	s_cbranch_vccnz .LBB300_25
; %bb.7:
	s_load_b32 s0, s[0:1], 0xc5c
	v_cmp_gt_u64_e64 s1, 0x10000, s[4:5]
	v_add_co_u32 v3, s2, s8, v0
	v_lshlrev_b32_e32 v1, 1, v0
	v_add_co_ci_u32_e64 v4, null, s9, 0, s2
	s_delay_alu instid0(VALU_DEP_3) | instskip(NEXT) | instid1(VALU_DEP_2)
	v_add_co_u32 v13, vcc_lo, s6, v3
                                        ; implicit-def: $vgpr27
                                        ; implicit-def: $vgpr28
                                        ; implicit-def: $vgpr29
                                        ; implicit-def: $vgpr30
	v_add_co_ci_u32_e32 v14, vcc_lo, s7, v4, vcc_lo
	s_waitcnt lgkmcnt(0)
	s_and_b32 s0, s0, 0xffff
	s_and_b32 s1, s1, exec_lo
	s_cselect_b32 s3, s5, 0
	s_cselect_b32 s2, s4, 0x10000
	s_lshl_b64 s[10:11], s[10:11], 17
	s_lshl_b32 s14, s0, 1
	s_lshl_b32 s1, s0, 2
	s_add_u32 s12, s12, s10
	s_mul_i32 s15, s0, 3
	s_addc_u32 s11, s13, s11
	s_lshl_b32 s10, s0, 3
	v_add_co_u32 v1, s16, s12, v1
	s_add_u32 s13, s8, s15
	v_add_co_ci_u32_e64 v2, null, s11, 0, s16
	s_addc_u32 s16, s9, 0
	s_add_u32 s13, s6, s13
	s_addc_u32 s16, s7, s16
	s_add_u32 s8, s8, s14
	;; [unrolled: 2-line block ×3, first 2 shown]
	s_addc_u32 s9, s7, s9
	v_add_co_u32 v19, s8, s8, v0
	s_delay_alu instid0(VALU_DEP_1) | instskip(SKIP_1) | instid1(VALU_DEP_1)
	v_add_co_ci_u32_e64 v20, null, s9, 0, s8
	v_add_co_u32 v21, s8, s14, v0
	v_add_co_ci_u32_e64 v22, null, 0, 0, s8
	v_add_co_u32 v23, s8, v0, s0
	v_add_co_u32 v15, s13, s13, v0
	s_add_u32 s6, s6, s0
	s_delay_alu instid0(VALU_DEP_2)
	v_lshlrev_b32_e32 v5, 1, v23
	v_add_co_ci_u32_e64 v16, null, s16, 0, s13
	v_add_co_u32 v17, s13, s15, v0
	s_addc_u32 s7, s7, 0
	v_add_co_u32 v25, vcc_lo, s6, v3
	v_add_co_u32 v3, s6, s12, v5
	v_add_co_ci_u32_e64 v18, null, 0, 0, s13
	v_add_co_ci_u32_e64 v24, null, 0, 0, s8
	v_add_co_ci_u32_e32 v26, vcc_lo, s7, v4, vcc_lo
	v_add_co_ci_u32_e64 v4, null, s11, 0, s6
	s_mul_i32 s8, s0, 6
	s_mov_b64 s[6:7], 0
	s_branch .LBB300_9
.LBB300_8:                              ;   in Loop: Header=BB300_9 Depth=1
	s_or_b32 exec_lo, exec_lo, s0
	s_add_u32 s6, s6, s1
	s_addc_u32 s7, s7, 0
	v_add_co_u32 v1, vcc_lo, v1, s10
	v_cmp_ge_i64_e64 s0, s[6:7], s[4:5]
	v_cmp_lt_u64_e64 s9, 0xffff, s[6:7]
	v_add_co_ci_u32_e32 v2, vcc_lo, 0, v2, vcc_lo
	v_add_co_u32 v3, vcc_lo, v3, s10
	v_add_co_ci_u32_e32 v4, vcc_lo, 0, v4, vcc_lo
	s_delay_alu instid0(VALU_DEP_4) | instskip(NEXT) | instid1(SALU_CYCLE_1)
	s_or_b32 s0, s0, s9
	s_and_b32 vcc_lo, exec_lo, s0
	s_cbranch_vccnz .LBB300_25
.LBB300_9:                              ; =>This Inner Loop Header: Depth=1
	v_add_co_u32 v5, s0, v0, s6
	s_delay_alu instid0(VALU_DEP_1) | instskip(NEXT) | instid1(VALU_DEP_1)
	v_add_co_ci_u32_e64 v6, null, 0, s7, s0
	v_cmp_gt_i64_e32 vcc_lo, s[4:5], v[5:6]
	v_cmp_gt_u64_e64 s0, 0x10000, v[5:6]
	s_delay_alu instid0(VALU_DEP_1) | instskip(NEXT) | instid1(SALU_CYCLE_1)
	s_and_b32 s9, vcc_lo, s0
	s_and_saveexec_b32 s0, s9
	s_cbranch_execz .LBB300_11
; %bb.10:                               ;   in Loop: Header=BB300_9 Depth=1
	v_add_co_u32 v7, vcc_lo, v13, s6
	v_add_co_ci_u32_e32 v8, vcc_lo, s7, v14, vcc_lo
	global_load_u8 v27, v[7:8], off
.LBB300_11:                             ;   in Loop: Header=BB300_9 Depth=1
	s_or_b32 exec_lo, exec_lo, s0
	v_add_co_u32 v7, vcc_lo, v23, s6
	v_add_co_ci_u32_e32 v8, vcc_lo, s7, v24, vcc_lo
	s_delay_alu instid0(VALU_DEP_1) | instskip(SKIP_1) | instid1(VALU_DEP_1)
	v_cmp_gt_i64_e32 vcc_lo, s[4:5], v[7:8]
	v_cmp_gt_u64_e64 s0, 0x10000, v[7:8]
	s_and_b32 s9, vcc_lo, s0
	s_delay_alu instid0(SALU_CYCLE_1)
	s_and_saveexec_b32 s0, s9
	s_cbranch_execz .LBB300_13
; %bb.12:                               ;   in Loop: Header=BB300_9 Depth=1
	v_add_co_u32 v9, vcc_lo, v25, s6
	v_add_co_ci_u32_e32 v10, vcc_lo, s7, v26, vcc_lo
	global_load_u8 v28, v[9:10], off
.LBB300_13:                             ;   in Loop: Header=BB300_9 Depth=1
	s_or_b32 exec_lo, exec_lo, s0
	v_add_co_u32 v9, vcc_lo, v21, s6
	v_add_co_ci_u32_e32 v10, vcc_lo, s7, v22, vcc_lo
	s_delay_alu instid0(VALU_DEP_1) | instskip(SKIP_1) | instid1(VALU_DEP_1)
	v_cmp_gt_i64_e32 vcc_lo, s[4:5], v[9:10]
	v_cmp_gt_u64_e64 s0, 0x10000, v[9:10]
	s_and_b32 s9, vcc_lo, s0
	s_delay_alu instid0(SALU_CYCLE_1)
	;; [unrolled: 15-line block ×3, first 2 shown]
	s_and_saveexec_b32 s0, s9
	s_cbranch_execnz .LBB300_20
; %bb.16:                               ;   in Loop: Header=BB300_9 Depth=1
	s_or_b32 exec_lo, exec_lo, s0
	s_delay_alu instid0(SALU_CYCLE_1)
	s_mov_b32 s0, exec_lo
	v_cmpx_gt_u64_e64 s[2:3], v[5:6]
	s_cbranch_execnz .LBB300_21
.LBB300_17:                             ;   in Loop: Header=BB300_9 Depth=1
	s_or_b32 exec_lo, exec_lo, s0
	s_delay_alu instid0(SALU_CYCLE_1)
	s_mov_b32 s0, exec_lo
	v_cmpx_gt_u64_e64 s[2:3], v[7:8]
	s_cbranch_execnz .LBB300_22
.LBB300_18:                             ;   in Loop: Header=BB300_9 Depth=1
	s_or_b32 exec_lo, exec_lo, s0
	s_delay_alu instid0(SALU_CYCLE_1)
	s_mov_b32 s0, exec_lo
	v_cmpx_gt_u64_e64 s[2:3], v[9:10]
	s_cbranch_execnz .LBB300_23
.LBB300_19:                             ;   in Loop: Header=BB300_9 Depth=1
	s_or_b32 exec_lo, exec_lo, s0
	s_delay_alu instid0(SALU_CYCLE_1)
	s_mov_b32 s0, exec_lo
	v_cmpx_gt_u64_e64 s[2:3], v[11:12]
	s_cbranch_execz .LBB300_8
	s_branch .LBB300_24
.LBB300_20:                             ;   in Loop: Header=BB300_9 Depth=1
	s_waitcnt vmcnt(0)
	v_add_co_u32 v30, vcc_lo, v15, s6
	v_add_co_ci_u32_e32 v31, vcc_lo, s7, v16, vcc_lo
	global_load_u8 v30, v[30:31], off
	s_or_b32 exec_lo, exec_lo, s0
	s_delay_alu instid0(SALU_CYCLE_1)
	s_mov_b32 s0, exec_lo
	v_cmpx_gt_u64_e64 s[2:3], v[5:6]
	s_cbranch_execz .LBB300_17
.LBB300_21:                             ;   in Loop: Header=BB300_9 Depth=1
	s_waitcnt vmcnt(0)
	v_and_b32_e32 v5, 0xff, v27
	s_delay_alu instid0(VALU_DEP_1) | instskip(SKIP_2) | instid1(SALU_CYCLE_1)
	v_cvt_f16_u16_e32 v5, v5
	global_store_b16 v[1:2], v5, off
	s_or_b32 exec_lo, exec_lo, s0
	s_mov_b32 s0, exec_lo
	v_cmpx_gt_u64_e64 s[2:3], v[7:8]
	s_cbranch_execz .LBB300_18
.LBB300_22:                             ;   in Loop: Header=BB300_9 Depth=1
	s_waitcnt vmcnt(0)
	v_and_b32_e32 v5, 0xff, v28
	s_delay_alu instid0(VALU_DEP_1) | instskip(SKIP_2) | instid1(SALU_CYCLE_1)
	v_cvt_f16_u16_e32 v5, v5
	global_store_b16 v[3:4], v5, off
	s_or_b32 exec_lo, exec_lo, s0
	s_mov_b32 s0, exec_lo
	v_cmpx_gt_u64_e64 s[2:3], v[9:10]
	s_cbranch_execz .LBB300_19
.LBB300_23:                             ;   in Loop: Header=BB300_9 Depth=1
	s_waitcnt vmcnt(0)
	v_and_b32_e32 v5, 0xff, v29
	s_delay_alu instid0(VALU_DEP_1) | instskip(SKIP_4) | instid1(SALU_CYCLE_1)
	v_cvt_f16_u16_e32 v7, v5
	v_add_co_u32 v5, vcc_lo, v1, s1
	v_add_co_ci_u32_e32 v6, vcc_lo, 0, v2, vcc_lo
	global_store_b16 v[5:6], v7, off
	s_or_b32 exec_lo, exec_lo, s0
	s_mov_b32 s0, exec_lo
	v_cmpx_gt_u64_e64 s[2:3], v[11:12]
	s_cbranch_execz .LBB300_8
.LBB300_24:                             ;   in Loop: Header=BB300_9 Depth=1
	s_waitcnt vmcnt(0)
	v_and_b32_e32 v5, 0xff, v30
	s_delay_alu instid0(VALU_DEP_1)
	v_cvt_f16_u16_e32 v7, v5
	v_add_co_u32 v5, vcc_lo, v1, s8
	v_add_co_ci_u32_e32 v6, vcc_lo, 0, v2, vcc_lo
	global_store_b16 v[5:6], v7, off
	s_branch .LBB300_8
.LBB300_25:
	s_nop 0
	s_sendmsg sendmsg(MSG_DEALLOC_VGPRS)
	s_endpgm
	.section	.rodata,"a",@progbits
	.p2align	6, 0x0
	.amdhsa_kernel _ZN2at6native12_GLOBAL__N_125multi_tensor_apply_kernelINS1_18TensorListMetadataILi2EEENS1_11CopyFunctorIN3c104HalfEhLi2ELi1ELi1EEEJNS0_4CopyIS7_hEEEEEvT_T0_DpT1_
		.amdhsa_group_segment_fixed_size 0
		.amdhsa_private_segment_fixed_size 0
		.amdhsa_kernarg_size 3408
		.amdhsa_user_sgpr_count 15
		.amdhsa_user_sgpr_dispatch_ptr 0
		.amdhsa_user_sgpr_queue_ptr 0
		.amdhsa_user_sgpr_kernarg_segment_ptr 1
		.amdhsa_user_sgpr_dispatch_id 0
		.amdhsa_user_sgpr_private_segment_size 0
		.amdhsa_wavefront_size32 1
		.amdhsa_uses_dynamic_stack 0
		.amdhsa_enable_private_segment 0
		.amdhsa_system_sgpr_workgroup_id_x 1
		.amdhsa_system_sgpr_workgroup_id_y 0
		.amdhsa_system_sgpr_workgroup_id_z 0
		.amdhsa_system_sgpr_workgroup_info 0
		.amdhsa_system_vgpr_workitem_id 0
		.amdhsa_next_free_vgpr 32
		.amdhsa_next_free_sgpr 20
		.amdhsa_reserve_vcc 1
		.amdhsa_float_round_mode_32 0
		.amdhsa_float_round_mode_16_64 0
		.amdhsa_float_denorm_mode_32 3
		.amdhsa_float_denorm_mode_16_64 3
		.amdhsa_dx10_clamp 1
		.amdhsa_ieee_mode 1
		.amdhsa_fp16_overflow 0
		.amdhsa_workgroup_processor_mode 1
		.amdhsa_memory_ordered 1
		.amdhsa_forward_progress 0
		.amdhsa_shared_vgpr_count 0
		.amdhsa_exception_fp_ieee_invalid_op 0
		.amdhsa_exception_fp_denorm_src 0
		.amdhsa_exception_fp_ieee_div_zero 0
		.amdhsa_exception_fp_ieee_overflow 0
		.amdhsa_exception_fp_ieee_underflow 0
		.amdhsa_exception_fp_ieee_inexact 0
		.amdhsa_exception_int_div_zero 0
	.end_amdhsa_kernel
	.section	.text._ZN2at6native12_GLOBAL__N_125multi_tensor_apply_kernelINS1_18TensorListMetadataILi2EEENS1_11CopyFunctorIN3c104HalfEhLi2ELi1ELi1EEEJNS0_4CopyIS7_hEEEEEvT_T0_DpT1_,"axG",@progbits,_ZN2at6native12_GLOBAL__N_125multi_tensor_apply_kernelINS1_18TensorListMetadataILi2EEENS1_11CopyFunctorIN3c104HalfEhLi2ELi1ELi1EEEJNS0_4CopyIS7_hEEEEEvT_T0_DpT1_,comdat
.Lfunc_end300:
	.size	_ZN2at6native12_GLOBAL__N_125multi_tensor_apply_kernelINS1_18TensorListMetadataILi2EEENS1_11CopyFunctorIN3c104HalfEhLi2ELi1ELi1EEEJNS0_4CopyIS7_hEEEEEvT_T0_DpT1_, .Lfunc_end300-_ZN2at6native12_GLOBAL__N_125multi_tensor_apply_kernelINS1_18TensorListMetadataILi2EEENS1_11CopyFunctorIN3c104HalfEhLi2ELi1ELi1EEEJNS0_4CopyIS7_hEEEEEvT_T0_DpT1_
                                        ; -- End function
	.section	.AMDGPU.csdata,"",@progbits
; Kernel info:
; codeLenInByte = 1512
; NumSgprs: 22
; NumVgprs: 32
; ScratchSize: 0
; MemoryBound: 0
; FloatMode: 240
; IeeeMode: 1
; LDSByteSize: 0 bytes/workgroup (compile time only)
; SGPRBlocks: 2
; VGPRBlocks: 3
; NumSGPRsForWavesPerEU: 22
; NumVGPRsForWavesPerEU: 32
; Occupancy: 16
; WaveLimiterHint : 0
; COMPUTE_PGM_RSRC2:SCRATCH_EN: 0
; COMPUTE_PGM_RSRC2:USER_SGPR: 15
; COMPUTE_PGM_RSRC2:TRAP_HANDLER: 0
; COMPUTE_PGM_RSRC2:TGID_X_EN: 1
; COMPUTE_PGM_RSRC2:TGID_Y_EN: 0
; COMPUTE_PGM_RSRC2:TGID_Z_EN: 0
; COMPUTE_PGM_RSRC2:TIDIG_COMP_CNT: 0
	.section	.text._ZN2at6native12_GLOBAL__N_125multi_tensor_apply_kernelINS1_18TensorListMetadataILi2EEENS1_11CopyFunctorIN3c104HalfEaLi2ELi1ELi1EEEJNS0_4CopyIS7_aEEEEEvT_T0_DpT1_,"axG",@progbits,_ZN2at6native12_GLOBAL__N_125multi_tensor_apply_kernelINS1_18TensorListMetadataILi2EEENS1_11CopyFunctorIN3c104HalfEaLi2ELi1ELi1EEEJNS0_4CopyIS7_aEEEEEvT_T0_DpT1_,comdat
	.globl	_ZN2at6native12_GLOBAL__N_125multi_tensor_apply_kernelINS1_18TensorListMetadataILi2EEENS1_11CopyFunctorIN3c104HalfEaLi2ELi1ELi1EEEJNS0_4CopyIS7_aEEEEEvT_T0_DpT1_ ; -- Begin function _ZN2at6native12_GLOBAL__N_125multi_tensor_apply_kernelINS1_18TensorListMetadataILi2EEENS1_11CopyFunctorIN3c104HalfEaLi2ELi1ELi1EEEJNS0_4CopyIS7_aEEEEEvT_T0_DpT1_
	.p2align	8
	.type	_ZN2at6native12_GLOBAL__N_125multi_tensor_apply_kernelINS1_18TensorListMetadataILi2EEENS1_11CopyFunctorIN3c104HalfEaLi2ELi1ELi1EEEJNS0_4CopyIS7_aEEEEEvT_T0_DpT1_,@function
_ZN2at6native12_GLOBAL__N_125multi_tensor_apply_kernelINS1_18TensorListMetadataILi2EEENS1_11CopyFunctorIN3c104HalfEaLi2ELi1ELi1EEEJNS0_4CopyIS7_aEEEEEvT_T0_DpT1_: ; @_ZN2at6native12_GLOBAL__N_125multi_tensor_apply_kernelINS1_18TensorListMetadataILi2EEENS1_11CopyFunctorIN3c104HalfEaLi2ELi1ELi1EEEJNS0_4CopyIS7_aEEEEEvT_T0_DpT1_
; %bb.0:
	v_mov_b32_e32 v1, s15
	s_add_u32 s2, s0, s15
	s_mul_hi_u32 s3, s15, 3
	s_mul_i32 s15, s15, 3
	s_addc_u32 s5, s1, 0
	global_load_u8 v1, v1, s[0:1] offset:1536
	s_add_u32 s2, s2, s15
	s_addc_u32 s3, s5, s3
	s_mov_b32 s5, 0
	s_delay_alu instid0(SALU_CYCLE_1) | instskip(SKIP_2) | instid1(VALU_DEP_1)
	s_mov_b32 s15, s5
	s_waitcnt vmcnt(0)
	v_readfirstlane_b32 s4, v1
	s_lshl_b32 s4, s4, 3
	s_clause 0x3
	s_load_b32 s10, s[2:3], 0x740
	s_load_b64 s[12:13], s[0:1], s4 offset:0x200
	s_load_b64 s[2:3], s[0:1], s4 offset:0x400
	;; [unrolled: 1-line block ×3, first 2 shown]
	s_waitcnt lgkmcnt(0)
	s_ashr_i32 s11, s10, 31
	s_and_b32 s8, s12, 7
	s_and_b32 s9, s2, 3
	;; [unrolled: 1-line block ×3, first 2 shown]
	s_or_b32 s14, s9, s8
	s_lshl_b64 s[8:9], s[10:11], 16
	s_or_b64 s[14:15], s[4:5], s[14:15]
	s_sub_u32 s4, s2, s8
	s_subb_u32 s5, s3, s9
	s_cmp_eq_u64 s[14:15], 0
	s_mov_b32 s2, -1
	s_cbranch_scc0 .LBB301_5
; %bb.1:
	v_dual_mov_b32 v2, 0 :: v_dual_lshlrev_b32 v1, 2, v0
	s_mov_b32 s3, exec_lo
	s_delay_alu instid0(VALU_DEP_1)
	v_cmpx_gt_i64_e64 s[4:5], v[1:2]
	s_cbranch_execz .LBB301_4
; %bb.2:
	s_load_b32 s2, s[0:1], 0xc5c
	v_lshlrev_b32_e32 v3, 3, v0
	s_waitcnt lgkmcnt(0)
	s_and_b32 s2, s2, 0xffff
	s_delay_alu instid0(SALU_CYCLE_1)
	s_lshl_b32 s14, s2, 2
	s_add_u32 s15, s8, s6
	s_addc_u32 s16, s9, s7
	s_add_u32 s15, s15, 2
	s_addc_u32 s16, s16, 0
	s_lshl_b64 s[18:19], s[10:11], 17
	s_delay_alu instid0(SALU_CYCLE_1) | instskip(SKIP_2) | instid1(VALU_DEP_1)
	s_add_u32 s17, s12, s18
	s_addc_u32 s18, s13, s19
	v_add_co_u32 v3, s17, s17, v3
	v_add_co_ci_u32_e64 v4, null, s18, 0, s17
	s_mov_b32 s17, 0
	s_delay_alu instid0(VALU_DEP_2) | instskip(NEXT) | instid1(VALU_DEP_2)
	v_add_co_u32 v3, vcc_lo, v3, 4
	v_add_co_ci_u32_e32 v4, vcc_lo, 0, v4, vcc_lo
	s_lshl_b32 s18, s2, 3
	s_set_inst_prefetch_distance 0x1
	.p2align	6
.LBB301_3:                              ; =>This Inner Loop Header: Depth=1
	v_add_co_u32 v5, vcc_lo, s15, v1
	v_add_co_ci_u32_e32 v6, vcc_lo, s16, v2, vcc_lo
	v_add_co_u32 v1, vcc_lo, s14, v1
	v_add_co_ci_u32_e32 v2, vcc_lo, 0, v2, vcc_lo
	global_load_b32 v5, v[5:6], off offset:-2
	v_cmp_le_i64_e32 vcc_lo, s[4:5], v[1:2]
	v_cmp_lt_u64_e64 s2, 0xffff, v[1:2]
	s_delay_alu instid0(VALU_DEP_1) | instskip(NEXT) | instid1(SALU_CYCLE_1)
	s_or_b32 s2, vcc_lo, s2
	s_and_b32 s2, exec_lo, s2
	s_delay_alu instid0(SALU_CYCLE_1)
	s_or_b32 s17, s2, s17
	s_waitcnt vmcnt(0)
	v_lshrrev_b32_e32 v6, 24, v5
	v_lshrrev_b32_e32 v7, 16, v5
	;; [unrolled: 1-line block ×3, first 2 shown]
	v_bfe_i32 v5, v5, 0, 8
	s_delay_alu instid0(VALU_DEP_4) | instskip(NEXT) | instid1(VALU_DEP_4)
	v_bfe_i32 v6, v6, 0, 8
	v_bfe_i32 v7, v7, 0, 8
	s_delay_alu instid0(VALU_DEP_4) | instskip(NEXT) | instid1(VALU_DEP_4)
	v_bfe_i32 v8, v8, 0, 8
	v_cvt_f16_i16_e32 v5, v5
	s_delay_alu instid0(VALU_DEP_4) | instskip(NEXT) | instid1(VALU_DEP_4)
	v_cvt_f16_i16_e32 v6, v6
	v_cvt_f16_i16_e32 v7, v7
	s_delay_alu instid0(VALU_DEP_4) | instskip(NEXT) | instid1(VALU_DEP_2)
	v_cvt_f16_i16_e32 v8, v8
	v_pack_b32_f16 v6, v7, v6
	s_delay_alu instid0(VALU_DEP_2)
	v_pack_b32_f16 v5, v5, v8
	global_store_b64 v[3:4], v[5:6], off offset:-4
	v_add_co_u32 v3, vcc_lo, v3, s18
	v_add_co_ci_u32_e32 v4, vcc_lo, 0, v4, vcc_lo
	s_and_not1_b32 exec_lo, exec_lo, s17
	s_cbranch_execnz .LBB301_3
.LBB301_4:
	s_set_inst_prefetch_distance 0x2
	s_or_b32 exec_lo, exec_lo, s3
	s_mov_b32 s2, 0
.LBB301_5:
	s_delay_alu instid0(SALU_CYCLE_1)
	s_and_not1_b32 vcc_lo, exec_lo, s2
	s_cbranch_vccnz .LBB301_25
; %bb.6:
	v_cmp_lt_i64_e64 s2, s[4:5], 1
	s_delay_alu instid0(VALU_DEP_1)
	s_and_b32 vcc_lo, exec_lo, s2
	s_cbranch_vccnz .LBB301_25
; %bb.7:
	s_load_b32 s0, s[0:1], 0xc5c
	v_cmp_gt_u64_e64 s1, 0x10000, s[4:5]
	v_add_co_u32 v3, s2, s8, v0
	v_lshlrev_b32_e32 v1, 1, v0
	v_add_co_ci_u32_e64 v4, null, s9, 0, s2
	s_delay_alu instid0(VALU_DEP_3) | instskip(NEXT) | instid1(VALU_DEP_2)
	v_add_co_u32 v13, vcc_lo, s6, v3
                                        ; implicit-def: $vgpr27
                                        ; implicit-def: $vgpr28
                                        ; implicit-def: $vgpr29
                                        ; implicit-def: $vgpr30
	v_add_co_ci_u32_e32 v14, vcc_lo, s7, v4, vcc_lo
	s_waitcnt lgkmcnt(0)
	s_and_b32 s0, s0, 0xffff
	s_and_b32 s1, s1, exec_lo
	s_cselect_b32 s3, s5, 0
	s_cselect_b32 s2, s4, 0x10000
	s_lshl_b64 s[10:11], s[10:11], 17
	s_lshl_b32 s14, s0, 1
	s_lshl_b32 s1, s0, 2
	s_add_u32 s12, s12, s10
	s_mul_i32 s15, s0, 3
	s_addc_u32 s11, s13, s11
	s_lshl_b32 s10, s0, 3
	v_add_co_u32 v1, s16, s12, v1
	s_add_u32 s13, s8, s15
	v_add_co_ci_u32_e64 v2, null, s11, 0, s16
	s_addc_u32 s16, s9, 0
	s_add_u32 s13, s6, s13
	s_addc_u32 s16, s7, s16
	s_add_u32 s8, s8, s14
	;; [unrolled: 2-line block ×3, first 2 shown]
	s_addc_u32 s9, s7, s9
	v_add_co_u32 v19, s8, s8, v0
	s_delay_alu instid0(VALU_DEP_1) | instskip(SKIP_1) | instid1(VALU_DEP_1)
	v_add_co_ci_u32_e64 v20, null, s9, 0, s8
	v_add_co_u32 v21, s8, s14, v0
	v_add_co_ci_u32_e64 v22, null, 0, 0, s8
	v_add_co_u32 v23, s8, v0, s0
	v_add_co_u32 v15, s13, s13, v0
	s_add_u32 s6, s6, s0
	s_delay_alu instid0(VALU_DEP_2)
	v_lshlrev_b32_e32 v5, 1, v23
	v_add_co_ci_u32_e64 v16, null, s16, 0, s13
	v_add_co_u32 v17, s13, s15, v0
	s_addc_u32 s7, s7, 0
	v_add_co_u32 v25, vcc_lo, s6, v3
	v_add_co_u32 v3, s6, s12, v5
	v_add_co_ci_u32_e64 v18, null, 0, 0, s13
	v_add_co_ci_u32_e64 v24, null, 0, 0, s8
	v_add_co_ci_u32_e32 v26, vcc_lo, s7, v4, vcc_lo
	v_add_co_ci_u32_e64 v4, null, s11, 0, s6
	s_mul_i32 s8, s0, 6
	s_mov_b64 s[6:7], 0
	s_branch .LBB301_9
.LBB301_8:                              ;   in Loop: Header=BB301_9 Depth=1
	s_or_b32 exec_lo, exec_lo, s0
	s_add_u32 s6, s6, s1
	s_addc_u32 s7, s7, 0
	v_add_co_u32 v1, vcc_lo, v1, s10
	v_cmp_ge_i64_e64 s0, s[6:7], s[4:5]
	v_cmp_lt_u64_e64 s9, 0xffff, s[6:7]
	v_add_co_ci_u32_e32 v2, vcc_lo, 0, v2, vcc_lo
	v_add_co_u32 v3, vcc_lo, v3, s10
	v_add_co_ci_u32_e32 v4, vcc_lo, 0, v4, vcc_lo
	s_delay_alu instid0(VALU_DEP_4) | instskip(NEXT) | instid1(SALU_CYCLE_1)
	s_or_b32 s0, s0, s9
	s_and_b32 vcc_lo, exec_lo, s0
	s_cbranch_vccnz .LBB301_25
.LBB301_9:                              ; =>This Inner Loop Header: Depth=1
	v_add_co_u32 v5, s0, v0, s6
	s_delay_alu instid0(VALU_DEP_1) | instskip(NEXT) | instid1(VALU_DEP_1)
	v_add_co_ci_u32_e64 v6, null, 0, s7, s0
	v_cmp_gt_i64_e32 vcc_lo, s[4:5], v[5:6]
	v_cmp_gt_u64_e64 s0, 0x10000, v[5:6]
	s_delay_alu instid0(VALU_DEP_1) | instskip(NEXT) | instid1(SALU_CYCLE_1)
	s_and_b32 s9, vcc_lo, s0
	s_and_saveexec_b32 s0, s9
	s_cbranch_execz .LBB301_11
; %bb.10:                               ;   in Loop: Header=BB301_9 Depth=1
	v_add_co_u32 v7, vcc_lo, v13, s6
	v_add_co_ci_u32_e32 v8, vcc_lo, s7, v14, vcc_lo
	global_load_u8 v27, v[7:8], off
.LBB301_11:                             ;   in Loop: Header=BB301_9 Depth=1
	s_or_b32 exec_lo, exec_lo, s0
	v_add_co_u32 v7, vcc_lo, v23, s6
	v_add_co_ci_u32_e32 v8, vcc_lo, s7, v24, vcc_lo
	s_delay_alu instid0(VALU_DEP_1) | instskip(SKIP_1) | instid1(VALU_DEP_1)
	v_cmp_gt_i64_e32 vcc_lo, s[4:5], v[7:8]
	v_cmp_gt_u64_e64 s0, 0x10000, v[7:8]
	s_and_b32 s9, vcc_lo, s0
	s_delay_alu instid0(SALU_CYCLE_1)
	s_and_saveexec_b32 s0, s9
	s_cbranch_execz .LBB301_13
; %bb.12:                               ;   in Loop: Header=BB301_9 Depth=1
	v_add_co_u32 v9, vcc_lo, v25, s6
	v_add_co_ci_u32_e32 v10, vcc_lo, s7, v26, vcc_lo
	global_load_u8 v28, v[9:10], off
.LBB301_13:                             ;   in Loop: Header=BB301_9 Depth=1
	s_or_b32 exec_lo, exec_lo, s0
	v_add_co_u32 v9, vcc_lo, v21, s6
	v_add_co_ci_u32_e32 v10, vcc_lo, s7, v22, vcc_lo
	s_delay_alu instid0(VALU_DEP_1) | instskip(SKIP_1) | instid1(VALU_DEP_1)
	v_cmp_gt_i64_e32 vcc_lo, s[4:5], v[9:10]
	v_cmp_gt_u64_e64 s0, 0x10000, v[9:10]
	s_and_b32 s9, vcc_lo, s0
	s_delay_alu instid0(SALU_CYCLE_1)
	;; [unrolled: 15-line block ×3, first 2 shown]
	s_and_saveexec_b32 s0, s9
	s_cbranch_execnz .LBB301_20
; %bb.16:                               ;   in Loop: Header=BB301_9 Depth=1
	s_or_b32 exec_lo, exec_lo, s0
	s_delay_alu instid0(SALU_CYCLE_1)
	s_mov_b32 s0, exec_lo
	v_cmpx_gt_u64_e64 s[2:3], v[5:6]
	s_cbranch_execnz .LBB301_21
.LBB301_17:                             ;   in Loop: Header=BB301_9 Depth=1
	s_or_b32 exec_lo, exec_lo, s0
	s_delay_alu instid0(SALU_CYCLE_1)
	s_mov_b32 s0, exec_lo
	v_cmpx_gt_u64_e64 s[2:3], v[7:8]
	s_cbranch_execnz .LBB301_22
.LBB301_18:                             ;   in Loop: Header=BB301_9 Depth=1
	s_or_b32 exec_lo, exec_lo, s0
	s_delay_alu instid0(SALU_CYCLE_1)
	s_mov_b32 s0, exec_lo
	v_cmpx_gt_u64_e64 s[2:3], v[9:10]
	s_cbranch_execnz .LBB301_23
.LBB301_19:                             ;   in Loop: Header=BB301_9 Depth=1
	s_or_b32 exec_lo, exec_lo, s0
	s_delay_alu instid0(SALU_CYCLE_1)
	s_mov_b32 s0, exec_lo
	v_cmpx_gt_u64_e64 s[2:3], v[11:12]
	s_cbranch_execz .LBB301_8
	s_branch .LBB301_24
.LBB301_20:                             ;   in Loop: Header=BB301_9 Depth=1
	s_waitcnt vmcnt(0)
	v_add_co_u32 v30, vcc_lo, v15, s6
	v_add_co_ci_u32_e32 v31, vcc_lo, s7, v16, vcc_lo
	global_load_u8 v30, v[30:31], off
	s_or_b32 exec_lo, exec_lo, s0
	s_delay_alu instid0(SALU_CYCLE_1)
	s_mov_b32 s0, exec_lo
	v_cmpx_gt_u64_e64 s[2:3], v[5:6]
	s_cbranch_execz .LBB301_17
.LBB301_21:                             ;   in Loop: Header=BB301_9 Depth=1
	s_waitcnt vmcnt(0)
	v_bfe_i32 v5, v27, 0, 8
	s_delay_alu instid0(VALU_DEP_1) | instskip(SKIP_2) | instid1(SALU_CYCLE_1)
	v_cvt_f16_i16_e32 v5, v5
	global_store_b16 v[1:2], v5, off
	s_or_b32 exec_lo, exec_lo, s0
	s_mov_b32 s0, exec_lo
	v_cmpx_gt_u64_e64 s[2:3], v[7:8]
	s_cbranch_execz .LBB301_18
.LBB301_22:                             ;   in Loop: Header=BB301_9 Depth=1
	s_waitcnt vmcnt(0)
	v_bfe_i32 v5, v28, 0, 8
	s_delay_alu instid0(VALU_DEP_1) | instskip(SKIP_2) | instid1(SALU_CYCLE_1)
	v_cvt_f16_i16_e32 v5, v5
	global_store_b16 v[3:4], v5, off
	s_or_b32 exec_lo, exec_lo, s0
	s_mov_b32 s0, exec_lo
	v_cmpx_gt_u64_e64 s[2:3], v[9:10]
	s_cbranch_execz .LBB301_19
.LBB301_23:                             ;   in Loop: Header=BB301_9 Depth=1
	s_waitcnt vmcnt(0)
	v_bfe_i32 v5, v29, 0, 8
	s_delay_alu instid0(VALU_DEP_1) | instskip(SKIP_4) | instid1(SALU_CYCLE_1)
	v_cvt_f16_i16_e32 v7, v5
	v_add_co_u32 v5, vcc_lo, v1, s1
	v_add_co_ci_u32_e32 v6, vcc_lo, 0, v2, vcc_lo
	global_store_b16 v[5:6], v7, off
	s_or_b32 exec_lo, exec_lo, s0
	s_mov_b32 s0, exec_lo
	v_cmpx_gt_u64_e64 s[2:3], v[11:12]
	s_cbranch_execz .LBB301_8
.LBB301_24:                             ;   in Loop: Header=BB301_9 Depth=1
	s_waitcnt vmcnt(0)
	v_bfe_i32 v5, v30, 0, 8
	s_delay_alu instid0(VALU_DEP_1)
	v_cvt_f16_i16_e32 v7, v5
	v_add_co_u32 v5, vcc_lo, v1, s8
	v_add_co_ci_u32_e32 v6, vcc_lo, 0, v2, vcc_lo
	global_store_b16 v[5:6], v7, off
	s_branch .LBB301_8
.LBB301_25:
	s_nop 0
	s_sendmsg sendmsg(MSG_DEALLOC_VGPRS)
	s_endpgm
	.section	.rodata,"a",@progbits
	.p2align	6, 0x0
	.amdhsa_kernel _ZN2at6native12_GLOBAL__N_125multi_tensor_apply_kernelINS1_18TensorListMetadataILi2EEENS1_11CopyFunctorIN3c104HalfEaLi2ELi1ELi1EEEJNS0_4CopyIS7_aEEEEEvT_T0_DpT1_
		.amdhsa_group_segment_fixed_size 0
		.amdhsa_private_segment_fixed_size 0
		.amdhsa_kernarg_size 3408
		.amdhsa_user_sgpr_count 15
		.amdhsa_user_sgpr_dispatch_ptr 0
		.amdhsa_user_sgpr_queue_ptr 0
		.amdhsa_user_sgpr_kernarg_segment_ptr 1
		.amdhsa_user_sgpr_dispatch_id 0
		.amdhsa_user_sgpr_private_segment_size 0
		.amdhsa_wavefront_size32 1
		.amdhsa_uses_dynamic_stack 0
		.amdhsa_enable_private_segment 0
		.amdhsa_system_sgpr_workgroup_id_x 1
		.amdhsa_system_sgpr_workgroup_id_y 0
		.amdhsa_system_sgpr_workgroup_id_z 0
		.amdhsa_system_sgpr_workgroup_info 0
		.amdhsa_system_vgpr_workitem_id 0
		.amdhsa_next_free_vgpr 32
		.amdhsa_next_free_sgpr 20
		.amdhsa_reserve_vcc 1
		.amdhsa_float_round_mode_32 0
		.amdhsa_float_round_mode_16_64 0
		.amdhsa_float_denorm_mode_32 3
		.amdhsa_float_denorm_mode_16_64 3
		.amdhsa_dx10_clamp 1
		.amdhsa_ieee_mode 1
		.amdhsa_fp16_overflow 0
		.amdhsa_workgroup_processor_mode 1
		.amdhsa_memory_ordered 1
		.amdhsa_forward_progress 0
		.amdhsa_shared_vgpr_count 0
		.amdhsa_exception_fp_ieee_invalid_op 0
		.amdhsa_exception_fp_denorm_src 0
		.amdhsa_exception_fp_ieee_div_zero 0
		.amdhsa_exception_fp_ieee_overflow 0
		.amdhsa_exception_fp_ieee_underflow 0
		.amdhsa_exception_fp_ieee_inexact 0
		.amdhsa_exception_int_div_zero 0
	.end_amdhsa_kernel
	.section	.text._ZN2at6native12_GLOBAL__N_125multi_tensor_apply_kernelINS1_18TensorListMetadataILi2EEENS1_11CopyFunctorIN3c104HalfEaLi2ELi1ELi1EEEJNS0_4CopyIS7_aEEEEEvT_T0_DpT1_,"axG",@progbits,_ZN2at6native12_GLOBAL__N_125multi_tensor_apply_kernelINS1_18TensorListMetadataILi2EEENS1_11CopyFunctorIN3c104HalfEaLi2ELi1ELi1EEEJNS0_4CopyIS7_aEEEEEvT_T0_DpT1_,comdat
.Lfunc_end301:
	.size	_ZN2at6native12_GLOBAL__N_125multi_tensor_apply_kernelINS1_18TensorListMetadataILi2EEENS1_11CopyFunctorIN3c104HalfEaLi2ELi1ELi1EEEJNS0_4CopyIS7_aEEEEEvT_T0_DpT1_, .Lfunc_end301-_ZN2at6native12_GLOBAL__N_125multi_tensor_apply_kernelINS1_18TensorListMetadataILi2EEENS1_11CopyFunctorIN3c104HalfEaLi2ELi1ELi1EEEJNS0_4CopyIS7_aEEEEEvT_T0_DpT1_
                                        ; -- End function
	.section	.AMDGPU.csdata,"",@progbits
; Kernel info:
; codeLenInByte = 1524
; NumSgprs: 22
; NumVgprs: 32
; ScratchSize: 0
; MemoryBound: 0
; FloatMode: 240
; IeeeMode: 1
; LDSByteSize: 0 bytes/workgroup (compile time only)
; SGPRBlocks: 2
; VGPRBlocks: 3
; NumSGPRsForWavesPerEU: 22
; NumVGPRsForWavesPerEU: 32
; Occupancy: 16
; WaveLimiterHint : 0
; COMPUTE_PGM_RSRC2:SCRATCH_EN: 0
; COMPUTE_PGM_RSRC2:USER_SGPR: 15
; COMPUTE_PGM_RSRC2:TRAP_HANDLER: 0
; COMPUTE_PGM_RSRC2:TGID_X_EN: 1
; COMPUTE_PGM_RSRC2:TGID_Y_EN: 0
; COMPUTE_PGM_RSRC2:TGID_Z_EN: 0
; COMPUTE_PGM_RSRC2:TIDIG_COMP_CNT: 0
	.section	.text._ZN2at6native12_GLOBAL__N_125multi_tensor_apply_kernelINS1_18TensorListMetadataILi2EEENS1_11CopyFunctorIN3c104HalfElLi2ELi1ELi1EEEJNS0_4CopyIS7_lEEEEEvT_T0_DpT1_,"axG",@progbits,_ZN2at6native12_GLOBAL__N_125multi_tensor_apply_kernelINS1_18TensorListMetadataILi2EEENS1_11CopyFunctorIN3c104HalfElLi2ELi1ELi1EEEJNS0_4CopyIS7_lEEEEEvT_T0_DpT1_,comdat
	.globl	_ZN2at6native12_GLOBAL__N_125multi_tensor_apply_kernelINS1_18TensorListMetadataILi2EEENS1_11CopyFunctorIN3c104HalfElLi2ELi1ELi1EEEJNS0_4CopyIS7_lEEEEEvT_T0_DpT1_ ; -- Begin function _ZN2at6native12_GLOBAL__N_125multi_tensor_apply_kernelINS1_18TensorListMetadataILi2EEENS1_11CopyFunctorIN3c104HalfElLi2ELi1ELi1EEEJNS0_4CopyIS7_lEEEEEvT_T0_DpT1_
	.p2align	8
	.type	_ZN2at6native12_GLOBAL__N_125multi_tensor_apply_kernelINS1_18TensorListMetadataILi2EEENS1_11CopyFunctorIN3c104HalfElLi2ELi1ELi1EEEJNS0_4CopyIS7_lEEEEEvT_T0_DpT1_,@function
_ZN2at6native12_GLOBAL__N_125multi_tensor_apply_kernelINS1_18TensorListMetadataILi2EEENS1_11CopyFunctorIN3c104HalfElLi2ELi1ELi1EEEJNS0_4CopyIS7_lEEEEEvT_T0_DpT1_: ; @_ZN2at6native12_GLOBAL__N_125multi_tensor_apply_kernelINS1_18TensorListMetadataILi2EEENS1_11CopyFunctorIN3c104HalfElLi2ELi1ELi1EEEJNS0_4CopyIS7_lEEEEEvT_T0_DpT1_
; %bb.0:
	v_mov_b32_e32 v1, s15
	s_add_u32 s2, s0, s15
	s_mul_hi_u32 s3, s15, 3
	s_mul_i32 s15, s15, 3
	s_addc_u32 s4, s1, 0
	global_load_u8 v1, v1, s[0:1] offset:1536
	s_add_u32 s2, s2, s15
	s_addc_u32 s3, s4, s3
	s_mov_b32 s15, 0
	s_load_b32 s8, s[2:3], 0x740
	s_waitcnt lgkmcnt(0)
	s_ashr_i32 s9, s8, 31
	s_delay_alu instid0(SALU_CYCLE_1) | instskip(SKIP_3) | instid1(VALU_DEP_1)
	s_lshl_b64 s[10:11], s[8:9], 19
	s_lshl_b64 s[16:17], s[8:9], 16
	s_waitcnt vmcnt(0)
	v_readfirstlane_b32 s5, v1
	s_lshl_b32 s4, s5, 3
	s_clause 0x2
	s_load_b64 s[2:3], s[0:1], s4 offset:0x0
	s_load_b64 s[6:7], s[0:1], s4 offset:0x200
	s_load_b64 s[4:5], s[0:1], s4 offset:0x400
	s_waitcnt lgkmcnt(0)
	s_add_u32 s12, s2, s10
	s_addc_u32 s13, s3, s11
	s_and_b32 s18, s6, 7
	s_and_b32 s19, s4, 3
	;; [unrolled: 1-line block ×3, first 2 shown]
	s_or_b32 s18, s19, s18
	s_mov_b32 s19, s15
	s_delay_alu instid0(SALU_CYCLE_1)
	s_or_b64 s[14:15], s[14:15], s[18:19]
	s_sub_u32 s4, s4, s16
	s_subb_u32 s5, s5, s17
	s_cmp_eq_u64 s[14:15], 0
	s_mov_b32 s14, -1
	s_cbranch_scc0 .LBB302_5
; %bb.1:
	v_dual_mov_b32 v2, 0 :: v_dual_lshlrev_b32 v1, 2, v0
	s_mov_b32 s14, exec_lo
	s_delay_alu instid0(VALU_DEP_1)
	v_cmpx_gt_i64_e64 s[4:5], v[1:2]
	s_cbranch_execz .LBB302_4
; %bb.2:
	s_load_b32 s15, s[0:1], 0xc5c
	v_lshlrev_b32_e32 v3, 5, v0
	v_lshlrev_b32_e32 v4, 3, v0
	s_waitcnt lgkmcnt(0)
	s_and_b32 s16, s15, 0xffff
	s_delay_alu instid0(SALU_CYCLE_1)
	s_lshl_b32 s15, s16, 2
	s_add_u32 s17, s2, s10
	s_addc_u32 s11, s3, s11
	s_lshl_b64 s[2:3], s[8:9], 17
	s_lshl_b32 s10, s16, 5
	v_add_co_u32 v3, s17, s17, v3
	s_add_u32 s2, s6, s2
	v_add_co_ci_u32_e64 v5, null, s11, 0, s17
	s_addc_u32 s3, s7, s3
	v_add_co_u32 v6, s2, s2, v4
	s_delay_alu instid0(VALU_DEP_1) | instskip(SKIP_2) | instid1(VALU_DEP_4)
	v_add_co_ci_u32_e64 v7, null, s3, 0, s2
	v_add_co_u32 v3, vcc_lo, v3, 16
	v_add_co_ci_u32_e32 v4, vcc_lo, 0, v5, vcc_lo
	v_add_co_u32 v5, vcc_lo, v6, 4
	v_add_lshl_u32 v1, v0, s16, 2
	v_add_co_ci_u32_e32 v6, vcc_lo, 0, v7, vcc_lo
	s_mov_b32 s11, 0
	s_lshl_b32 s16, s16, 3
.LBB302_3:                              ; =>This Inner Loop Header: Depth=1
	s_clause 0x1
	global_load_b128 v[7:10], v[3:4], off offset:-16
	global_load_b128 v[11:14], v[3:4], off
	v_cmp_le_i64_e32 vcc_lo, s[4:5], v[1:2]
	v_cmp_lt_u64_e64 s2, 0xffff, v[1:2]
	v_add_co_u32 v1, s3, v1, s15
	s_delay_alu instid0(VALU_DEP_1) | instskip(SKIP_1) | instid1(VALU_DEP_4)
	v_add_co_ci_u32_e64 v2, s3, 0, v2, s3
	v_add_co_u32 v3, s3, v3, s10
	s_or_b32 s2, vcc_lo, s2
	v_add_co_ci_u32_e64 v4, s3, 0, v4, s3
	s_and_b32 s2, exec_lo, s2
	s_delay_alu instid0(SALU_CYCLE_1)
	s_or_b32 s11, s2, s11
	s_waitcnt vmcnt(1)
	v_xor_b32_e32 v16, v7, v8
	v_xor_b32_e32 v18, v9, v10
	s_waitcnt vmcnt(0)
	v_xor_b32_e32 v20, v11, v12
	v_xor_b32_e32 v22, v13, v14
	v_cls_i32_e32 v15, v8
	v_cls_i32_e32 v17, v10
	v_cls_i32_e32 v19, v12
	v_cls_i32_e32 v21, v14
	v_ashrrev_i32_e32 v16, 31, v16
	v_ashrrev_i32_e32 v18, 31, v18
	;; [unrolled: 1-line block ×4, first 2 shown]
	v_add_nc_u32_e32 v15, -1, v15
	v_add_nc_u32_e32 v17, -1, v17
	;; [unrolled: 1-line block ×4, first 2 shown]
	v_add_nc_u32_e32 v16, 32, v16
	v_add_nc_u32_e32 v18, 32, v18
	;; [unrolled: 1-line block ×4, first 2 shown]
	s_delay_alu instid0(VALU_DEP_4) | instskip(NEXT) | instid1(VALU_DEP_4)
	v_min_u32_e32 v15, v15, v16
	v_min_u32_e32 v16, v17, v18
	s_delay_alu instid0(VALU_DEP_4) | instskip(NEXT) | instid1(VALU_DEP_4)
	v_min_u32_e32 v17, v21, v22
	v_min_u32_e32 v18, v19, v20
	s_delay_alu instid0(VALU_DEP_4) | instskip(NEXT) | instid1(VALU_DEP_4)
	v_lshlrev_b64 v[7:8], v15, v[7:8]
	v_lshlrev_b64 v[9:10], v16, v[9:10]
	s_delay_alu instid0(VALU_DEP_4) | instskip(NEXT) | instid1(VALU_DEP_4)
	v_lshlrev_b64 v[13:14], v17, v[13:14]
	v_lshlrev_b64 v[11:12], v18, v[11:12]
	v_sub_nc_u32_e32 v15, 32, v15
	v_sub_nc_u32_e32 v16, 32, v16
	v_min_u32_e32 v7, 1, v7
	v_min_u32_e32 v9, 1, v9
	;; [unrolled: 1-line block ×4, first 2 shown]
	v_sub_nc_u32_e32 v18, 32, v18
	v_or_b32_e32 v7, v8, v7
	v_or_b32_e32 v9, v10, v9
	;; [unrolled: 1-line block ×4, first 2 shown]
	v_sub_nc_u32_e32 v17, 32, v17
	v_cvt_f32_i32_e32 v7, v7
	v_cvt_f32_i32_e32 v8, v9
	;; [unrolled: 1-line block ×4, first 2 shown]
	s_delay_alu instid0(VALU_DEP_4) | instskip(NEXT) | instid1(VALU_DEP_4)
	v_ldexp_f32 v7, v7, v15
	v_ldexp_f32 v8, v8, v16
	s_delay_alu instid0(VALU_DEP_4) | instskip(NEXT) | instid1(VALU_DEP_4)
	v_ldexp_f32 v9, v9, v17
	v_ldexp_f32 v10, v10, v18
	s_delay_alu instid0(VALU_DEP_4) | instskip(NEXT) | instid1(VALU_DEP_4)
	v_cvt_f16_f32_e32 v7, v7
	v_cvt_f16_f32_e32 v11, v8
	s_delay_alu instid0(VALU_DEP_4) | instskip(NEXT) | instid1(VALU_DEP_4)
	v_cvt_f16_f32_e32 v8, v9
	v_cvt_f16_f32_e32 v9, v10
	s_delay_alu instid0(VALU_DEP_3) | instskip(NEXT) | instid1(VALU_DEP_2)
	v_pack_b32_f16 v7, v7, v11
	v_pack_b32_f16 v8, v9, v8
	global_store_b64 v[5:6], v[7:8], off offset:-4
	v_add_co_u32 v5, vcc_lo, v5, s16
	v_add_co_ci_u32_e32 v6, vcc_lo, 0, v6, vcc_lo
	s_and_not1_b32 exec_lo, exec_lo, s11
	s_cbranch_execnz .LBB302_3
.LBB302_4:
	s_or_b32 exec_lo, exec_lo, s14
	s_mov_b32 s14, 0
.LBB302_5:
	s_delay_alu instid0(SALU_CYCLE_1)
	s_and_not1_b32 vcc_lo, exec_lo, s14
	s_cbranch_vccnz .LBB302_25
; %bb.6:
	v_cmp_lt_i64_e64 s2, s[4:5], 1
	s_delay_alu instid0(VALU_DEP_1)
	s_and_b32 vcc_lo, exec_lo, s2
	s_cbranch_vccnz .LBB302_25
; %bb.7:
	s_load_b32 s0, s[0:1], 0xc5c
	v_cmp_gt_u64_e64 s1, 0x10000, s[4:5]
	v_dual_mov_b32 v2, 0 :: v_dual_lshlrev_b32 v5, 1, v0
	v_lshlrev_b32_e32 v1, 3, v0
                                        ; implicit-def: $vgpr9_vgpr10
                                        ; implicit-def: $vgpr11_vgpr12
                                        ; implicit-def: $vgpr13_vgpr14
                                        ; implicit-def: $vgpr15_vgpr16
	s_waitcnt lgkmcnt(0)
	s_and_b32 s0, s0, 0xffff
	s_delay_alu instid0(VALU_DEP_3)
	s_and_b32 s1, s1, exec_lo
	s_cselect_b32 s3, s5, 0
	s_cselect_b32 s2, s4, 0x10000
	s_lshl_b64 s[8:9], s[8:9], 17
	s_lshl_b32 s11, s0, 1
	s_lshl_b32 s1, s0, 2
	;; [unrolled: 1-line block ×3, first 2 shown]
	s_add_u32 s6, s6, s8
	s_addc_u32 s7, s7, s9
	v_add_co_u32 v5, s9, s6, v5
	s_delay_alu instid0(VALU_DEP_1) | instskip(SKIP_4) | instid1(VALU_DEP_3)
	v_add_co_ci_u32_e64 v6, null, s7, 0, s9
	v_add_co_u32 v26, s9, v0, s0
	s_mul_i32 s14, s0, 3
	v_mad_u64_u32 v[3:4], null, s0, 24, v[1:2]
	v_add_co_u32 v2, s8, s14, v0
	v_lshlrev_b32_e32 v7, 1, v26
	v_add_co_ci_u32_e64 v25, null, 0, 0, s8
	s_lshl_b32 s8, s0, 4
	v_add_co_ci_u32_e64 v29, null, 0, 0, s9
	v_add_co_u32 v27, s8, s8, v1
	s_delay_alu instid0(VALU_DEP_1)
	v_add_co_ci_u32_e64 v28, null, 0, 0, s8
	v_add_co_u32 v30, s8, s11, v0
	v_add_co_u32 v7, s6, s6, v7
	v_add_co_ci_u32_e64 v31, null, 0, 0, s8
	v_lshlrev_b32_e32 v32, 3, v26
	v_add_co_ci_u32_e64 v8, null, s7, 0, s6
	s_lshl_b32 s8, s0, 3
	s_mul_i32 s9, s0, 6
	s_mov_b64 s[6:7], 0
	s_branch .LBB302_9
.LBB302_8:                              ;   in Loop: Header=BB302_9 Depth=1
	s_or_b32 exec_lo, exec_lo, s0
	s_add_u32 s6, s6, s1
	s_addc_u32 s7, s7, 0
	v_add_co_u32 v5, vcc_lo, v5, s8
	v_cmp_ge_i64_e64 s0, s[6:7], s[4:5]
	v_cmp_lt_u64_e64 s11, 0xffff, s[6:7]
	v_add_co_ci_u32_e32 v6, vcc_lo, 0, v6, vcc_lo
	v_add_co_u32 v7, vcc_lo, v7, s8
	v_add_co_ci_u32_e32 v8, vcc_lo, 0, v8, vcc_lo
	s_delay_alu instid0(VALU_DEP_4)
	s_or_b32 s0, s0, s11
	s_add_u32 s12, s12, s10
	s_addc_u32 s13, s13, 0
	s_and_b32 vcc_lo, exec_lo, s0
	s_cbranch_vccnz .LBB302_25
.LBB302_9:                              ; =>This Inner Loop Header: Depth=1
	v_add_co_u32 v23, s0, v0, s6
	s_delay_alu instid0(VALU_DEP_1) | instskip(NEXT) | instid1(VALU_DEP_1)
	v_add_co_ci_u32_e64 v24, null, 0, s7, s0
	v_cmp_gt_i64_e32 vcc_lo, s[4:5], v[23:24]
	v_cmp_gt_u64_e64 s0, 0x10000, v[23:24]
	s_delay_alu instid0(VALU_DEP_1) | instskip(NEXT) | instid1(SALU_CYCLE_1)
	s_and_b32 s11, vcc_lo, s0
	s_and_saveexec_b32 s0, s11
	s_cbranch_execz .LBB302_11
; %bb.10:                               ;   in Loop: Header=BB302_9 Depth=1
	s_waitcnt vmcnt(0)
	v_add_co_u32 v15, s11, s12, v1
	s_delay_alu instid0(VALU_DEP_1)
	v_add_co_ci_u32_e64 v16, null, s13, 0, s11
	global_load_b64 v[15:16], v[15:16], off
.LBB302_11:                             ;   in Loop: Header=BB302_9 Depth=1
	s_or_b32 exec_lo, exec_lo, s0
	v_add_co_u32 v21, vcc_lo, v26, s6
	v_add_co_ci_u32_e32 v22, vcc_lo, s7, v29, vcc_lo
	s_delay_alu instid0(VALU_DEP_1) | instskip(SKIP_1) | instid1(VALU_DEP_1)
	v_cmp_gt_i64_e32 vcc_lo, s[4:5], v[21:22]
	v_cmp_gt_u64_e64 s0, 0x10000, v[21:22]
	s_and_b32 s11, vcc_lo, s0
	s_delay_alu instid0(SALU_CYCLE_1)
	s_and_saveexec_b32 s0, s11
	s_cbranch_execz .LBB302_13
; %bb.12:                               ;   in Loop: Header=BB302_9 Depth=1
	s_waitcnt vmcnt(0)
	v_add_co_u32 v13, s11, s12, v32
	s_delay_alu instid0(VALU_DEP_1)
	v_add_co_ci_u32_e64 v14, null, s13, 0, s11
	global_load_b64 v[13:14], v[13:14], off
.LBB302_13:                             ;   in Loop: Header=BB302_9 Depth=1
	s_or_b32 exec_lo, exec_lo, s0
	v_add_co_u32 v19, vcc_lo, v30, s6
	v_add_co_ci_u32_e32 v20, vcc_lo, s7, v31, vcc_lo
	s_delay_alu instid0(VALU_DEP_1) | instskip(SKIP_1) | instid1(VALU_DEP_1)
	v_cmp_gt_i64_e32 vcc_lo, s[4:5], v[19:20]
	v_cmp_gt_u64_e64 s0, 0x10000, v[19:20]
	s_and_b32 s11, vcc_lo, s0
	s_delay_alu instid0(SALU_CYCLE_1)
	s_and_saveexec_b32 s0, s11
	s_cbranch_execz .LBB302_15
; %bb.14:                               ;   in Loop: Header=BB302_9 Depth=1
	s_waitcnt vmcnt(0)
	v_add_co_u32 v11, vcc_lo, s12, v27
	v_add_co_ci_u32_e32 v12, vcc_lo, s13, v28, vcc_lo
	global_load_b64 v[11:12], v[11:12], off
.LBB302_15:                             ;   in Loop: Header=BB302_9 Depth=1
	s_or_b32 exec_lo, exec_lo, s0
	v_add_co_u32 v17, vcc_lo, v2, s6
	v_add_co_ci_u32_e32 v18, vcc_lo, s7, v25, vcc_lo
	s_delay_alu instid0(VALU_DEP_1) | instskip(SKIP_1) | instid1(VALU_DEP_1)
	v_cmp_gt_i64_e32 vcc_lo, s[4:5], v[17:18]
	v_cmp_gt_u64_e64 s0, 0x10000, v[17:18]
	s_and_b32 s11, vcc_lo, s0
	s_delay_alu instid0(SALU_CYCLE_1)
	s_and_saveexec_b32 s0, s11
	s_cbranch_execnz .LBB302_20
; %bb.16:                               ;   in Loop: Header=BB302_9 Depth=1
	s_or_b32 exec_lo, exec_lo, s0
	s_delay_alu instid0(SALU_CYCLE_1)
	s_mov_b32 s0, exec_lo
	v_cmpx_gt_u64_e64 s[2:3], v[23:24]
	s_cbranch_execnz .LBB302_21
.LBB302_17:                             ;   in Loop: Header=BB302_9 Depth=1
	s_or_b32 exec_lo, exec_lo, s0
	s_delay_alu instid0(SALU_CYCLE_1)
	s_mov_b32 s0, exec_lo
	v_cmpx_gt_u64_e64 s[2:3], v[21:22]
	s_cbranch_execnz .LBB302_22
.LBB302_18:                             ;   in Loop: Header=BB302_9 Depth=1
	s_or_b32 exec_lo, exec_lo, s0
	s_delay_alu instid0(SALU_CYCLE_1)
	s_mov_b32 s0, exec_lo
	v_cmpx_gt_u64_e64 s[2:3], v[19:20]
	s_cbranch_execnz .LBB302_23
.LBB302_19:                             ;   in Loop: Header=BB302_9 Depth=1
	s_or_b32 exec_lo, exec_lo, s0
	s_delay_alu instid0(SALU_CYCLE_1)
	s_mov_b32 s0, exec_lo
	v_cmpx_gt_u64_e64 s[2:3], v[17:18]
	s_cbranch_execz .LBB302_8
	s_branch .LBB302_24
.LBB302_20:                             ;   in Loop: Header=BB302_9 Depth=1
	s_waitcnt vmcnt(0)
	v_add_co_u32 v9, vcc_lo, s12, v3
	v_add_co_ci_u32_e32 v10, vcc_lo, s13, v4, vcc_lo
	global_load_b64 v[9:10], v[9:10], off
	s_or_b32 exec_lo, exec_lo, s0
	s_delay_alu instid0(SALU_CYCLE_1)
	s_mov_b32 s0, exec_lo
	v_cmpx_gt_u64_e64 s[2:3], v[23:24]
	s_cbranch_execz .LBB302_17
.LBB302_21:                             ;   in Loop: Header=BB302_9 Depth=1
	s_waitcnt vmcnt(0)
	v_xor_b32_e32 v23, v15, v16
	v_cls_i32_e32 v24, v16
	s_delay_alu instid0(VALU_DEP_2) | instskip(NEXT) | instid1(VALU_DEP_2)
	v_ashrrev_i32_e32 v23, 31, v23
	v_add_nc_u32_e32 v24, -1, v24
	s_delay_alu instid0(VALU_DEP_2) | instskip(NEXT) | instid1(VALU_DEP_1)
	v_add_nc_u32_e32 v23, 32, v23
	v_min_u32_e32 v33, v24, v23
	s_delay_alu instid0(VALU_DEP_1) | instskip(NEXT) | instid1(VALU_DEP_1)
	v_lshlrev_b64 v[23:24], v33, v[15:16]
	v_min_u32_e32 v23, 1, v23
	s_delay_alu instid0(VALU_DEP_1) | instskip(SKIP_1) | instid1(VALU_DEP_2)
	v_or_b32_e32 v23, v24, v23
	v_sub_nc_u32_e32 v24, 32, v33
	v_cvt_f32_i32_e32 v23, v23
	s_delay_alu instid0(VALU_DEP_1) | instskip(NEXT) | instid1(VALU_DEP_1)
	v_ldexp_f32 v23, v23, v24
	v_cvt_f16_f32_e32 v23, v23
	global_store_b16 v[5:6], v23, off
	s_or_b32 exec_lo, exec_lo, s0
	s_delay_alu instid0(SALU_CYCLE_1)
	s_mov_b32 s0, exec_lo
	v_cmpx_gt_u64_e64 s[2:3], v[21:22]
	s_cbranch_execz .LBB302_18
.LBB302_22:                             ;   in Loop: Header=BB302_9 Depth=1
	s_waitcnt vmcnt(0)
	v_xor_b32_e32 v21, v13, v14
	v_cls_i32_e32 v22, v14
	s_delay_alu instid0(VALU_DEP_2) | instskip(NEXT) | instid1(VALU_DEP_2)
	v_ashrrev_i32_e32 v21, 31, v21
	v_add_nc_u32_e32 v22, -1, v22
	s_delay_alu instid0(VALU_DEP_2) | instskip(NEXT) | instid1(VALU_DEP_1)
	v_add_nc_u32_e32 v21, 32, v21
	v_min_u32_e32 v23, v22, v21
	s_delay_alu instid0(VALU_DEP_1) | instskip(NEXT) | instid1(VALU_DEP_1)
	v_lshlrev_b64 v[21:22], v23, v[13:14]
	v_min_u32_e32 v21, 1, v21
	s_delay_alu instid0(VALU_DEP_1) | instskip(SKIP_1) | instid1(VALU_DEP_2)
	v_or_b32_e32 v21, v22, v21
	v_sub_nc_u32_e32 v22, 32, v23
	v_cvt_f32_i32_e32 v21, v21
	s_delay_alu instid0(VALU_DEP_1) | instskip(NEXT) | instid1(VALU_DEP_1)
	v_ldexp_f32 v21, v21, v22
	v_cvt_f16_f32_e32 v21, v21
	global_store_b16 v[7:8], v21, off
	s_or_b32 exec_lo, exec_lo, s0
	s_delay_alu instid0(SALU_CYCLE_1)
	s_mov_b32 s0, exec_lo
	v_cmpx_gt_u64_e64 s[2:3], v[19:20]
	s_cbranch_execz .LBB302_19
.LBB302_23:                             ;   in Loop: Header=BB302_9 Depth=1
	s_waitcnt vmcnt(0)
	v_xor_b32_e32 v19, v11, v12
	v_cls_i32_e32 v20, v12
	s_delay_alu instid0(VALU_DEP_2) | instskip(NEXT) | instid1(VALU_DEP_2)
	v_ashrrev_i32_e32 v19, 31, v19
	v_add_nc_u32_e32 v20, -1, v20
	s_delay_alu instid0(VALU_DEP_2) | instskip(NEXT) | instid1(VALU_DEP_1)
	v_add_nc_u32_e32 v19, 32, v19
	v_min_u32_e32 v21, v20, v19
	s_delay_alu instid0(VALU_DEP_1) | instskip(NEXT) | instid1(VALU_DEP_1)
	v_lshlrev_b64 v[19:20], v21, v[11:12]
	v_min_u32_e32 v19, 1, v19
	s_delay_alu instid0(VALU_DEP_1) | instskip(SKIP_1) | instid1(VALU_DEP_2)
	v_or_b32_e32 v19, v20, v19
	v_sub_nc_u32_e32 v20, 32, v21
	v_cvt_f32_i32_e32 v19, v19
	s_delay_alu instid0(VALU_DEP_1) | instskip(NEXT) | instid1(VALU_DEP_1)
	v_ldexp_f32 v19, v19, v20
	v_cvt_f16_f32_e32 v21, v19
	v_add_co_u32 v19, vcc_lo, v5, s1
	v_add_co_ci_u32_e32 v20, vcc_lo, 0, v6, vcc_lo
	global_store_b16 v[19:20], v21, off
	s_or_b32 exec_lo, exec_lo, s0
	s_delay_alu instid0(SALU_CYCLE_1)
	s_mov_b32 s0, exec_lo
	v_cmpx_gt_u64_e64 s[2:3], v[17:18]
	s_cbranch_execz .LBB302_8
.LBB302_24:                             ;   in Loop: Header=BB302_9 Depth=1
	s_waitcnt vmcnt(0)
	v_xor_b32_e32 v17, v9, v10
	v_cls_i32_e32 v18, v10
	s_delay_alu instid0(VALU_DEP_2) | instskip(NEXT) | instid1(VALU_DEP_2)
	v_ashrrev_i32_e32 v17, 31, v17
	v_add_nc_u32_e32 v18, -1, v18
	s_delay_alu instid0(VALU_DEP_2) | instskip(NEXT) | instid1(VALU_DEP_1)
	v_add_nc_u32_e32 v17, 32, v17
	v_min_u32_e32 v19, v18, v17
	s_delay_alu instid0(VALU_DEP_1) | instskip(NEXT) | instid1(VALU_DEP_1)
	v_lshlrev_b64 v[17:18], v19, v[9:10]
	v_min_u32_e32 v17, 1, v17
	s_delay_alu instid0(VALU_DEP_1) | instskip(SKIP_1) | instid1(VALU_DEP_2)
	v_or_b32_e32 v17, v18, v17
	v_sub_nc_u32_e32 v18, 32, v19
	v_cvt_f32_i32_e32 v17, v17
	s_delay_alu instid0(VALU_DEP_1) | instskip(NEXT) | instid1(VALU_DEP_1)
	v_ldexp_f32 v17, v17, v18
	v_cvt_f16_f32_e32 v19, v17
	v_add_co_u32 v17, vcc_lo, v5, s9
	v_add_co_ci_u32_e32 v18, vcc_lo, 0, v6, vcc_lo
	global_store_b16 v[17:18], v19, off
	s_branch .LBB302_8
.LBB302_25:
	s_nop 0
	s_sendmsg sendmsg(MSG_DEALLOC_VGPRS)
	s_endpgm
	.section	.rodata,"a",@progbits
	.p2align	6, 0x0
	.amdhsa_kernel _ZN2at6native12_GLOBAL__N_125multi_tensor_apply_kernelINS1_18TensorListMetadataILi2EEENS1_11CopyFunctorIN3c104HalfElLi2ELi1ELi1EEEJNS0_4CopyIS7_lEEEEEvT_T0_DpT1_
		.amdhsa_group_segment_fixed_size 0
		.amdhsa_private_segment_fixed_size 0
		.amdhsa_kernarg_size 3408
		.amdhsa_user_sgpr_count 15
		.amdhsa_user_sgpr_dispatch_ptr 0
		.amdhsa_user_sgpr_queue_ptr 0
		.amdhsa_user_sgpr_kernarg_segment_ptr 1
		.amdhsa_user_sgpr_dispatch_id 0
		.amdhsa_user_sgpr_private_segment_size 0
		.amdhsa_wavefront_size32 1
		.amdhsa_uses_dynamic_stack 0
		.amdhsa_enable_private_segment 0
		.amdhsa_system_sgpr_workgroup_id_x 1
		.amdhsa_system_sgpr_workgroup_id_y 0
		.amdhsa_system_sgpr_workgroup_id_z 0
		.amdhsa_system_sgpr_workgroup_info 0
		.amdhsa_system_vgpr_workitem_id 0
		.amdhsa_next_free_vgpr 34
		.amdhsa_next_free_sgpr 20
		.amdhsa_reserve_vcc 1
		.amdhsa_float_round_mode_32 0
		.amdhsa_float_round_mode_16_64 0
		.amdhsa_float_denorm_mode_32 3
		.amdhsa_float_denorm_mode_16_64 3
		.amdhsa_dx10_clamp 1
		.amdhsa_ieee_mode 1
		.amdhsa_fp16_overflow 0
		.amdhsa_workgroup_processor_mode 1
		.amdhsa_memory_ordered 1
		.amdhsa_forward_progress 0
		.amdhsa_shared_vgpr_count 0
		.amdhsa_exception_fp_ieee_invalid_op 0
		.amdhsa_exception_fp_denorm_src 0
		.amdhsa_exception_fp_ieee_div_zero 0
		.amdhsa_exception_fp_ieee_overflow 0
		.amdhsa_exception_fp_ieee_underflow 0
		.amdhsa_exception_fp_ieee_inexact 0
		.amdhsa_exception_int_div_zero 0
	.end_amdhsa_kernel
	.section	.text._ZN2at6native12_GLOBAL__N_125multi_tensor_apply_kernelINS1_18TensorListMetadataILi2EEENS1_11CopyFunctorIN3c104HalfElLi2ELi1ELi1EEEJNS0_4CopyIS7_lEEEEEvT_T0_DpT1_,"axG",@progbits,_ZN2at6native12_GLOBAL__N_125multi_tensor_apply_kernelINS1_18TensorListMetadataILi2EEENS1_11CopyFunctorIN3c104HalfElLi2ELi1ELi1EEEJNS0_4CopyIS7_lEEEEEvT_T0_DpT1_,comdat
.Lfunc_end302:
	.size	_ZN2at6native12_GLOBAL__N_125multi_tensor_apply_kernelINS1_18TensorListMetadataILi2EEENS1_11CopyFunctorIN3c104HalfElLi2ELi1ELi1EEEJNS0_4CopyIS7_lEEEEEvT_T0_DpT1_, .Lfunc_end302-_ZN2at6native12_GLOBAL__N_125multi_tensor_apply_kernelINS1_18TensorListMetadataILi2EEENS1_11CopyFunctorIN3c104HalfElLi2ELi1ELi1EEEJNS0_4CopyIS7_lEEEEEvT_T0_DpT1_
                                        ; -- End function
	.section	.AMDGPU.csdata,"",@progbits
; Kernel info:
; codeLenInByte = 2024
; NumSgprs: 22
; NumVgprs: 34
; ScratchSize: 0
; MemoryBound: 0
; FloatMode: 240
; IeeeMode: 1
; LDSByteSize: 0 bytes/workgroup (compile time only)
; SGPRBlocks: 2
; VGPRBlocks: 4
; NumSGPRsForWavesPerEU: 22
; NumVGPRsForWavesPerEU: 34
; Occupancy: 16
; WaveLimiterHint : 0
; COMPUTE_PGM_RSRC2:SCRATCH_EN: 0
; COMPUTE_PGM_RSRC2:USER_SGPR: 15
; COMPUTE_PGM_RSRC2:TRAP_HANDLER: 0
; COMPUTE_PGM_RSRC2:TGID_X_EN: 1
; COMPUTE_PGM_RSRC2:TGID_Y_EN: 0
; COMPUTE_PGM_RSRC2:TGID_Z_EN: 0
; COMPUTE_PGM_RSRC2:TIDIG_COMP_CNT: 0
	.section	.text._ZN2at6native12_GLOBAL__N_125multi_tensor_apply_kernelINS1_18TensorListMetadataILi2EEENS1_11CopyFunctorIN3c104HalfEsLi2ELi1ELi1EEEJNS0_4CopyIS7_sEEEEEvT_T0_DpT1_,"axG",@progbits,_ZN2at6native12_GLOBAL__N_125multi_tensor_apply_kernelINS1_18TensorListMetadataILi2EEENS1_11CopyFunctorIN3c104HalfEsLi2ELi1ELi1EEEJNS0_4CopyIS7_sEEEEEvT_T0_DpT1_,comdat
	.globl	_ZN2at6native12_GLOBAL__N_125multi_tensor_apply_kernelINS1_18TensorListMetadataILi2EEENS1_11CopyFunctorIN3c104HalfEsLi2ELi1ELi1EEEJNS0_4CopyIS7_sEEEEEvT_T0_DpT1_ ; -- Begin function _ZN2at6native12_GLOBAL__N_125multi_tensor_apply_kernelINS1_18TensorListMetadataILi2EEENS1_11CopyFunctorIN3c104HalfEsLi2ELi1ELi1EEEJNS0_4CopyIS7_sEEEEEvT_T0_DpT1_
	.p2align	8
	.type	_ZN2at6native12_GLOBAL__N_125multi_tensor_apply_kernelINS1_18TensorListMetadataILi2EEENS1_11CopyFunctorIN3c104HalfEsLi2ELi1ELi1EEEJNS0_4CopyIS7_sEEEEEvT_T0_DpT1_,@function
_ZN2at6native12_GLOBAL__N_125multi_tensor_apply_kernelINS1_18TensorListMetadataILi2EEENS1_11CopyFunctorIN3c104HalfEsLi2ELi1ELi1EEEJNS0_4CopyIS7_sEEEEEvT_T0_DpT1_: ; @_ZN2at6native12_GLOBAL__N_125multi_tensor_apply_kernelINS1_18TensorListMetadataILi2EEENS1_11CopyFunctorIN3c104HalfEsLi2ELi1ELi1EEEJNS0_4CopyIS7_sEEEEEvT_T0_DpT1_
; %bb.0:
	v_mov_b32_e32 v1, s15
	s_add_u32 s2, s0, s15
	s_mul_hi_u32 s3, s15, 3
	s_mul_i32 s15, s15, 3
	s_addc_u32 s4, s1, 0
	global_load_u8 v1, v1, s[0:1] offset:1536
	s_add_u32 s2, s2, s15
	s_addc_u32 s3, s4, s3
	s_load_b32 s8, s[2:3], 0x740
	s_waitcnt lgkmcnt(0)
	s_ashr_i32 s9, s8, 31
	s_waitcnt vmcnt(0)
	v_readfirstlane_b32 s4, v1
	s_delay_alu instid0(VALU_DEP_1)
	s_lshl_b32 s2, s4, 3
	s_lshl_b64 s[4:5], s[8:9], 16
	s_clause 0x2
	s_load_b64 s[10:11], s[0:1], s2 offset:0x200
	s_load_b64 s[12:13], s[0:1], s2 offset:0x0
	;; [unrolled: 1-line block ×3, first 2 shown]
	s_lshl_b32 s6, s4, 1
	s_waitcnt lgkmcnt(0)
	s_add_i32 s7, s10, s6
	s_add_i32 s6, s12, s6
	s_and_b32 s7, s7, 7
	s_and_b32 s14, s2, 3
	;; [unrolled: 1-line block ×3, first 2 shown]
	s_or_b32 s14, s14, s7
	s_mov_b32 s7, 0
	s_or_b32 s6, s14, s6
	s_sub_u32 s4, s2, s4
	s_subb_u32 s5, s3, s5
	s_cmp_eq_u64 s[6:7], 0
	s_mov_b32 s2, -1
	s_cbranch_scc0 .LBB303_5
; %bb.1:
	v_dual_mov_b32 v2, 0 :: v_dual_lshlrev_b32 v1, 2, v0
	s_mov_b32 s6, exec_lo
	s_delay_alu instid0(VALU_DEP_1)
	v_cmpx_gt_i64_e64 s[4:5], v[1:2]
	s_cbranch_execz .LBB303_4
; %bb.2:
	s_load_b32 s7, s[0:1], 0xc5c
	s_lshl_b64 s[2:3], s[8:9], 17
	s_mov_b32 s14, 0
	v_lshl_or_b32 v3, v0, 3, s2
	v_mov_b32_e32 v4, s3
	s_waitcnt lgkmcnt(0)
	s_and_b32 s15, s7, 0xffff
	s_delay_alu instid0(SALU_CYCLE_1)
	v_add_lshl_u32 v1, v0, s15, 2
	s_lshl_b32 s7, s15, 3
	s_lshl_b32 s15, s15, 2
	s_set_inst_prefetch_distance 0x1
	.p2align	6
.LBB303_3:                              ; =>This Inner Loop Header: Depth=1
	v_add_co_u32 v5, vcc_lo, s12, v3
	v_add_co_ci_u32_e32 v6, vcc_lo, s13, v4, vcc_lo
	v_add_co_u32 v7, vcc_lo, s10, v3
	v_add_co_ci_u32_e32 v8, vcc_lo, s11, v4, vcc_lo
	global_load_b64 v[5:6], v[5:6], off
	v_cmp_le_i64_e32 vcc_lo, s[4:5], v[1:2]
	v_cmp_lt_u64_e64 s2, 0xffff, v[1:2]
	v_add_co_u32 v3, s3, v3, s7
	s_delay_alu instid0(VALU_DEP_1) | instskip(SKIP_1) | instid1(VALU_DEP_4)
	v_add_co_ci_u32_e64 v4, s3, 0, v4, s3
	v_add_co_u32 v1, s3, v1, s15
	s_or_b32 s2, vcc_lo, s2
	v_add_co_ci_u32_e64 v2, s3, 0, v2, s3
	s_and_b32 s2, exec_lo, s2
	s_delay_alu instid0(SALU_CYCLE_1)
	s_or_b32 s14, s2, s14
	s_waitcnt vmcnt(0)
	v_lshrrev_b32_e32 v9, 16, v5
	v_lshrrev_b32_e32 v10, 16, v6
	v_cvt_f16_i16_e32 v5, v5
	v_cvt_f16_i16_e32 v6, v6
	s_delay_alu instid0(VALU_DEP_4) | instskip(NEXT) | instid1(VALU_DEP_4)
	v_cvt_f16_i16_e32 v9, v9
	v_cvt_f16_i16_e32 v10, v10
	s_delay_alu instid0(VALU_DEP_2) | instskip(NEXT) | instid1(VALU_DEP_2)
	v_pack_b32_f16 v5, v5, v9
	v_pack_b32_f16 v6, v6, v10
	global_store_b64 v[7:8], v[5:6], off
	s_and_not1_b32 exec_lo, exec_lo, s14
	s_cbranch_execnz .LBB303_3
.LBB303_4:
	s_set_inst_prefetch_distance 0x2
	s_or_b32 exec_lo, exec_lo, s6
	s_mov_b32 s2, 0
.LBB303_5:
	s_delay_alu instid0(SALU_CYCLE_1)
	s_and_not1_b32 vcc_lo, exec_lo, s2
	s_cbranch_vccnz .LBB303_25
; %bb.6:
	v_cmp_lt_i64_e64 s2, s[4:5], 1
	s_delay_alu instid0(VALU_DEP_1)
	s_and_b32 vcc_lo, exec_lo, s2
	s_cbranch_vccnz .LBB303_25
; %bb.7:
	s_load_b32 s0, s[0:1], 0xc5c
	v_dual_mov_b32 v1, 0 :: v_dual_lshlrev_b32 v2, 1, v0
	v_cmp_gt_u64_e64 s2, 0x10000, s[4:5]
	s_mov_b32 s3, 0
	s_delay_alu instid0(VALU_DEP_2) | instskip(NEXT) | instid1(VALU_DEP_3)
	v_mov_b32_e32 v3, v1
	v_add_co_u32 v10, s1, s12, v2
	s_delay_alu instid0(VALU_DEP_1) | instskip(SKIP_1) | instid1(VALU_DEP_1)
	v_add_co_ci_u32_e64 v11, null, s13, 0, s1
	v_add_co_u32 v12, s1, s10, v2
	v_add_co_ci_u32_e64 v13, null, s11, 0, s1
	s_waitcnt lgkmcnt(0)
	s_and_b32 s1, s0, 0xffff
	s_and_b32 s0, s2, exec_lo
	v_mad_u64_u32 v[4:5], null, s1, 6, v[2:3]
	s_cselect_b32 s7, s5, 0
	s_cselect_b32 s6, s4, 0x10000
	s_lshl_b32 s2, s1, 2
	s_lshl_b32 s14, s1, 1
	v_add_co_u32 v2, s0, s2, v2
	s_delay_alu instid0(VALU_DEP_2) | instskip(NEXT) | instid1(VALU_DEP_3)
	v_add_co_u32 v14, vcc_lo, s12, v4
	v_add_co_ci_u32_e32 v15, vcc_lo, s13, v5, vcc_lo
	v_add_co_u32 v16, vcc_lo, s10, v4
	v_add_lshl_u32 v4, v0, s1, 1
	v_add_co_ci_u32_e64 v3, null, 0, 0, s0
	v_add_co_ci_u32_e32 v17, vcc_lo, s11, v5, vcc_lo
	v_add_co_u32 v18, vcc_lo, s12, v2
	s_delay_alu instid0(VALU_DEP_4) | instskip(NEXT) | instid1(VALU_DEP_4)
	v_add_co_u32 v22, s0, s12, v4
	v_add_co_ci_u32_e32 v19, vcc_lo, s13, v3, vcc_lo
	v_add_co_u32 v20, vcc_lo, s10, v2
	v_add_co_ci_u32_e64 v23, null, s13, 0, s0
	v_add_co_u32 v24, s0, s10, v4
	v_add_co_ci_u32_e32 v21, vcc_lo, s11, v3, vcc_lo
	v_add_co_ci_u32_e64 v25, null, s11, 0, s0
	s_mul_i32 s15, s1, 3
	s_lshl_b64 s[8:9], s[8:9], 17
	s_lshl_b32 s12, s1, 3
	s_mov_b64 s[10:11], s[2:3]
                                        ; implicit-def: $vgpr2_vgpr3
	s_branch .LBB303_9
.LBB303_8:                              ;   in Loop: Header=BB303_9 Depth=1
	s_or_b32 exec_lo, exec_lo, s0
	v_add_co_u32 v10, vcc_lo, v10, s12
	v_add_co_ci_u32_e32 v11, vcc_lo, 0, v11, vcc_lo
	v_add_co_u32 v12, vcc_lo, v12, s12
	v_add_co_ci_u32_e32 v13, vcc_lo, 0, v13, vcc_lo
	v_add_co_u32 v0, vcc_lo, v0, s2
	v_add_co_ci_u32_e32 v1, vcc_lo, 0, v1, vcc_lo
	v_add_co_u32 v14, vcc_lo, v14, s12
	v_add_co_ci_u32_e32 v15, vcc_lo, 0, v15, vcc_lo
	v_add_co_u32 v16, vcc_lo, v16, s12
	v_add_co_ci_u32_e32 v17, vcc_lo, 0, v17, vcc_lo
	v_add_co_u32 v18, vcc_lo, v18, s12
	v_add_co_ci_u32_e32 v19, vcc_lo, 0, v19, vcc_lo
	v_add_co_u32 v20, vcc_lo, v20, s12
	v_add_co_ci_u32_e32 v21, vcc_lo, 0, v21, vcc_lo
	v_cmp_ge_i64_e64 s0, s[10:11], s[4:5]
	v_cmp_lt_u64_e64 s3, 0xffff, s[10:11]
	v_add_co_u32 v22, vcc_lo, v22, s12
	v_add_co_ci_u32_e32 v23, vcc_lo, 0, v23, vcc_lo
	v_add_co_u32 v24, vcc_lo, v24, s12
	v_add_co_ci_u32_e32 v25, vcc_lo, 0, v25, vcc_lo
	s_or_b32 s0, s0, s3
	s_add_u32 s10, s10, s2
	s_addc_u32 s11, s11, 0
	s_and_b32 vcc_lo, exec_lo, s0
	s_cbranch_vccnz .LBB303_25
.LBB303_9:                              ; =>This Inner Loop Header: Depth=1
	v_cmp_gt_i64_e32 vcc_lo, s[4:5], v[0:1]
	v_cmp_gt_u64_e64 s0, 0x10000, v[0:1]
	s_delay_alu instid0(VALU_DEP_1) | instskip(NEXT) | instid1(SALU_CYCLE_1)
	s_and_b32 s3, vcc_lo, s0
	s_and_saveexec_b32 s0, s3
	s_cbranch_execz .LBB303_11
; %bb.10:                               ;   in Loop: Header=BB303_9 Depth=1
	v_add_co_u32 v4, vcc_lo, v10, s8
	v_add_co_ci_u32_e32 v5, vcc_lo, s9, v11, vcc_lo
	global_load_d16_b16 v2, v[4:5], off
.LBB303_11:                             ;   in Loop: Header=BB303_9 Depth=1
	s_or_b32 exec_lo, exec_lo, s0
	v_add_co_u32 v4, vcc_lo, s1, v0
	v_add_co_ci_u32_e32 v5, vcc_lo, 0, v1, vcc_lo
	s_delay_alu instid0(VALU_DEP_1) | instskip(SKIP_1) | instid1(VALU_DEP_1)
	v_cmp_gt_i64_e32 vcc_lo, s[4:5], v[4:5]
	v_cmp_gt_u64_e64 s0, 0x10000, v[4:5]
	s_and_b32 s3, vcc_lo, s0
	s_delay_alu instid0(SALU_CYCLE_1)
	s_and_saveexec_b32 s0, s3
	s_cbranch_execz .LBB303_13
; %bb.12:                               ;   in Loop: Header=BB303_9 Depth=1
	v_add_co_u32 v6, vcc_lo, v22, s8
	v_add_co_ci_u32_e32 v7, vcc_lo, s9, v23, vcc_lo
	global_load_d16_hi_b16 v2, v[6:7], off
.LBB303_13:                             ;   in Loop: Header=BB303_9 Depth=1
	s_or_b32 exec_lo, exec_lo, s0
	v_add_co_u32 v6, vcc_lo, s14, v0
	v_add_co_ci_u32_e32 v7, vcc_lo, 0, v1, vcc_lo
	s_delay_alu instid0(VALU_DEP_1) | instskip(SKIP_1) | instid1(VALU_DEP_1)
	v_cmp_gt_i64_e32 vcc_lo, s[4:5], v[6:7]
	v_cmp_gt_u64_e64 s0, 0x10000, v[6:7]
	s_and_b32 s3, vcc_lo, s0
	s_delay_alu instid0(SALU_CYCLE_1)
	s_and_saveexec_b32 s0, s3
	s_cbranch_execz .LBB303_15
; %bb.14:                               ;   in Loop: Header=BB303_9 Depth=1
	v_add_co_u32 v8, vcc_lo, v18, s8
	v_add_co_ci_u32_e32 v9, vcc_lo, s9, v19, vcc_lo
	global_load_d16_b16 v3, v[8:9], off
.LBB303_15:                             ;   in Loop: Header=BB303_9 Depth=1
	s_or_b32 exec_lo, exec_lo, s0
	v_add_co_u32 v8, vcc_lo, s15, v0
	v_add_co_ci_u32_e32 v9, vcc_lo, 0, v1, vcc_lo
	s_delay_alu instid0(VALU_DEP_1) | instskip(SKIP_1) | instid1(VALU_DEP_1)
	v_cmp_gt_i64_e32 vcc_lo, s[4:5], v[8:9]
	v_cmp_gt_u64_e64 s0, 0x10000, v[8:9]
	s_and_b32 s3, vcc_lo, s0
	s_delay_alu instid0(SALU_CYCLE_1)
	s_and_saveexec_b32 s0, s3
	s_cbranch_execnz .LBB303_20
; %bb.16:                               ;   in Loop: Header=BB303_9 Depth=1
	s_or_b32 exec_lo, exec_lo, s0
	s_delay_alu instid0(SALU_CYCLE_1)
	s_mov_b32 s0, exec_lo
	v_cmpx_gt_u64_e64 s[6:7], v[0:1]
	s_cbranch_execnz .LBB303_21
.LBB303_17:                             ;   in Loop: Header=BB303_9 Depth=1
	s_or_b32 exec_lo, exec_lo, s0
	s_delay_alu instid0(SALU_CYCLE_1)
	s_mov_b32 s0, exec_lo
	v_cmpx_gt_u64_e64 s[6:7], v[4:5]
	s_cbranch_execnz .LBB303_22
.LBB303_18:                             ;   in Loop: Header=BB303_9 Depth=1
	s_or_b32 exec_lo, exec_lo, s0
	s_delay_alu instid0(SALU_CYCLE_1)
	s_mov_b32 s0, exec_lo
	v_cmpx_gt_u64_e64 s[6:7], v[6:7]
	s_cbranch_execnz .LBB303_23
.LBB303_19:                             ;   in Loop: Header=BB303_9 Depth=1
	s_or_b32 exec_lo, exec_lo, s0
	s_delay_alu instid0(SALU_CYCLE_1)
	s_mov_b32 s0, exec_lo
	v_cmpx_gt_u64_e64 s[6:7], v[8:9]
	s_cbranch_execz .LBB303_8
	s_branch .LBB303_24
.LBB303_20:                             ;   in Loop: Header=BB303_9 Depth=1
	v_add_co_u32 v26, vcc_lo, v14, s8
	v_add_co_ci_u32_e32 v27, vcc_lo, s9, v15, vcc_lo
	global_load_d16_hi_b16 v3, v[26:27], off
	s_or_b32 exec_lo, exec_lo, s0
	s_delay_alu instid0(SALU_CYCLE_1)
	s_mov_b32 s0, exec_lo
	v_cmpx_gt_u64_e64 s[6:7], v[0:1]
	s_cbranch_execz .LBB303_17
.LBB303_21:                             ;   in Loop: Header=BB303_9 Depth=1
	v_add_co_u32 v26, vcc_lo, v12, s8
	v_add_co_ci_u32_e32 v27, vcc_lo, s9, v13, vcc_lo
	s_waitcnt vmcnt(0)
	v_cvt_f16_i16_e32 v28, v2
	global_store_b16 v[26:27], v28, off
	s_or_b32 exec_lo, exec_lo, s0
	s_delay_alu instid0(SALU_CYCLE_1)
	s_mov_b32 s0, exec_lo
	v_cmpx_gt_u64_e64 s[6:7], v[4:5]
	s_cbranch_execz .LBB303_18
.LBB303_22:                             ;   in Loop: Header=BB303_9 Depth=1
	s_waitcnt vmcnt(0)
	v_lshrrev_b32_e32 v4, 16, v2
	s_delay_alu instid0(VALU_DEP_1) | instskip(SKIP_4) | instid1(SALU_CYCLE_1)
	v_cvt_f16_i16_e32 v26, v4
	v_add_co_u32 v4, vcc_lo, v24, s8
	v_add_co_ci_u32_e32 v5, vcc_lo, s9, v25, vcc_lo
	global_store_b16 v[4:5], v26, off
	s_or_b32 exec_lo, exec_lo, s0
	s_mov_b32 s0, exec_lo
	v_cmpx_gt_u64_e64 s[6:7], v[6:7]
	s_cbranch_execz .LBB303_19
.LBB303_23:                             ;   in Loop: Header=BB303_9 Depth=1
	v_add_co_u32 v4, vcc_lo, v20, s8
	s_waitcnt vmcnt(0)
	v_cvt_f16_i16_e32 v6, v3
	v_add_co_ci_u32_e32 v5, vcc_lo, s9, v21, vcc_lo
	global_store_b16 v[4:5], v6, off
	s_or_b32 exec_lo, exec_lo, s0
	s_delay_alu instid0(SALU_CYCLE_1)
	s_mov_b32 s0, exec_lo
	v_cmpx_gt_u64_e64 s[6:7], v[8:9]
	s_cbranch_execz .LBB303_8
.LBB303_24:                             ;   in Loop: Header=BB303_9 Depth=1
	s_waitcnt vmcnt(0)
	v_lshrrev_b32_e32 v4, 16, v3
	s_delay_alu instid0(VALU_DEP_1)
	v_cvt_f16_i16_e32 v6, v4
	v_add_co_u32 v4, vcc_lo, v16, s8
	v_add_co_ci_u32_e32 v5, vcc_lo, s9, v17, vcc_lo
	global_store_b16 v[4:5], v6, off
	s_branch .LBB303_8
.LBB303_25:
	s_nop 0
	s_sendmsg sendmsg(MSG_DEALLOC_VGPRS)
	s_endpgm
	.section	.rodata,"a",@progbits
	.p2align	6, 0x0
	.amdhsa_kernel _ZN2at6native12_GLOBAL__N_125multi_tensor_apply_kernelINS1_18TensorListMetadataILi2EEENS1_11CopyFunctorIN3c104HalfEsLi2ELi1ELi1EEEJNS0_4CopyIS7_sEEEEEvT_T0_DpT1_
		.amdhsa_group_segment_fixed_size 0
		.amdhsa_private_segment_fixed_size 0
		.amdhsa_kernarg_size 3408
		.amdhsa_user_sgpr_count 15
		.amdhsa_user_sgpr_dispatch_ptr 0
		.amdhsa_user_sgpr_queue_ptr 0
		.amdhsa_user_sgpr_kernarg_segment_ptr 1
		.amdhsa_user_sgpr_dispatch_id 0
		.amdhsa_user_sgpr_private_segment_size 0
		.amdhsa_wavefront_size32 1
		.amdhsa_uses_dynamic_stack 0
		.amdhsa_enable_private_segment 0
		.amdhsa_system_sgpr_workgroup_id_x 1
		.amdhsa_system_sgpr_workgroup_id_y 0
		.amdhsa_system_sgpr_workgroup_id_z 0
		.amdhsa_system_sgpr_workgroup_info 0
		.amdhsa_system_vgpr_workitem_id 0
		.amdhsa_next_free_vgpr 29
		.amdhsa_next_free_sgpr 16
		.amdhsa_reserve_vcc 1
		.amdhsa_float_round_mode_32 0
		.amdhsa_float_round_mode_16_64 0
		.amdhsa_float_denorm_mode_32 3
		.amdhsa_float_denorm_mode_16_64 3
		.amdhsa_dx10_clamp 1
		.amdhsa_ieee_mode 1
		.amdhsa_fp16_overflow 0
		.amdhsa_workgroup_processor_mode 1
		.amdhsa_memory_ordered 1
		.amdhsa_forward_progress 0
		.amdhsa_shared_vgpr_count 0
		.amdhsa_exception_fp_ieee_invalid_op 0
		.amdhsa_exception_fp_denorm_src 0
		.amdhsa_exception_fp_ieee_div_zero 0
		.amdhsa_exception_fp_ieee_overflow 0
		.amdhsa_exception_fp_ieee_underflow 0
		.amdhsa_exception_fp_ieee_inexact 0
		.amdhsa_exception_int_div_zero 0
	.end_amdhsa_kernel
	.section	.text._ZN2at6native12_GLOBAL__N_125multi_tensor_apply_kernelINS1_18TensorListMetadataILi2EEENS1_11CopyFunctorIN3c104HalfEsLi2ELi1ELi1EEEJNS0_4CopyIS7_sEEEEEvT_T0_DpT1_,"axG",@progbits,_ZN2at6native12_GLOBAL__N_125multi_tensor_apply_kernelINS1_18TensorListMetadataILi2EEENS1_11CopyFunctorIN3c104HalfEsLi2ELi1ELi1EEEJNS0_4CopyIS7_sEEEEEvT_T0_DpT1_,comdat
.Lfunc_end303:
	.size	_ZN2at6native12_GLOBAL__N_125multi_tensor_apply_kernelINS1_18TensorListMetadataILi2EEENS1_11CopyFunctorIN3c104HalfEsLi2ELi1ELi1EEEJNS0_4CopyIS7_sEEEEEvT_T0_DpT1_, .Lfunc_end303-_ZN2at6native12_GLOBAL__N_125multi_tensor_apply_kernelINS1_18TensorListMetadataILi2EEENS1_11CopyFunctorIN3c104HalfEsLi2ELi1ELi1EEEJNS0_4CopyIS7_sEEEEEvT_T0_DpT1_
                                        ; -- End function
	.section	.AMDGPU.csdata,"",@progbits
; Kernel info:
; codeLenInByte = 1472
; NumSgprs: 18
; NumVgprs: 29
; ScratchSize: 0
; MemoryBound: 0
; FloatMode: 240
; IeeeMode: 1
; LDSByteSize: 0 bytes/workgroup (compile time only)
; SGPRBlocks: 2
; VGPRBlocks: 3
; NumSGPRsForWavesPerEU: 18
; NumVGPRsForWavesPerEU: 29
; Occupancy: 16
; WaveLimiterHint : 0
; COMPUTE_PGM_RSRC2:SCRATCH_EN: 0
; COMPUTE_PGM_RSRC2:USER_SGPR: 15
; COMPUTE_PGM_RSRC2:TRAP_HANDLER: 0
; COMPUTE_PGM_RSRC2:TGID_X_EN: 1
; COMPUTE_PGM_RSRC2:TGID_Y_EN: 0
; COMPUTE_PGM_RSRC2:TGID_Z_EN: 0
; COMPUTE_PGM_RSRC2:TIDIG_COMP_CNT: 0
	.section	.text._ZN2at6native12_GLOBAL__N_125multi_tensor_apply_kernelINS1_18TensorListMetadataILi2EEENS1_11CopyFunctorIN3c104HalfEiLi2ELi1ELi1EEEJNS0_4CopyIS7_iEEEEEvT_T0_DpT1_,"axG",@progbits,_ZN2at6native12_GLOBAL__N_125multi_tensor_apply_kernelINS1_18TensorListMetadataILi2EEENS1_11CopyFunctorIN3c104HalfEiLi2ELi1ELi1EEEJNS0_4CopyIS7_iEEEEEvT_T0_DpT1_,comdat
	.globl	_ZN2at6native12_GLOBAL__N_125multi_tensor_apply_kernelINS1_18TensorListMetadataILi2EEENS1_11CopyFunctorIN3c104HalfEiLi2ELi1ELi1EEEJNS0_4CopyIS7_iEEEEEvT_T0_DpT1_ ; -- Begin function _ZN2at6native12_GLOBAL__N_125multi_tensor_apply_kernelINS1_18TensorListMetadataILi2EEENS1_11CopyFunctorIN3c104HalfEiLi2ELi1ELi1EEEJNS0_4CopyIS7_iEEEEEvT_T0_DpT1_
	.p2align	8
	.type	_ZN2at6native12_GLOBAL__N_125multi_tensor_apply_kernelINS1_18TensorListMetadataILi2EEENS1_11CopyFunctorIN3c104HalfEiLi2ELi1ELi1EEEJNS0_4CopyIS7_iEEEEEvT_T0_DpT1_,@function
_ZN2at6native12_GLOBAL__N_125multi_tensor_apply_kernelINS1_18TensorListMetadataILi2EEENS1_11CopyFunctorIN3c104HalfEiLi2ELi1ELi1EEEJNS0_4CopyIS7_iEEEEEvT_T0_DpT1_: ; @_ZN2at6native12_GLOBAL__N_125multi_tensor_apply_kernelINS1_18TensorListMetadataILi2EEENS1_11CopyFunctorIN3c104HalfEiLi2ELi1ELi1EEEJNS0_4CopyIS7_iEEEEEvT_T0_DpT1_
; %bb.0:
	v_mov_b32_e32 v1, s15
	s_add_u32 s2, s0, s15
	s_mul_hi_u32 s3, s15, 3
	s_mul_i32 s15, s15, 3
	s_addc_u32 s4, s1, 0
	global_load_u8 v1, v1, s[0:1] offset:1536
	s_add_u32 s2, s2, s15
	s_addc_u32 s3, s4, s3
	s_mov_b32 s15, 0
	s_load_b32 s8, s[2:3], 0x740
	s_waitcnt lgkmcnt(0)
	s_ashr_i32 s9, s8, 31
	s_delay_alu instid0(SALU_CYCLE_1) | instskip(SKIP_3) | instid1(VALU_DEP_1)
	s_lshl_b64 s[10:11], s[8:9], 18
	s_lshl_b64 s[16:17], s[8:9], 16
	s_waitcnt vmcnt(0)
	v_readfirstlane_b32 s5, v1
	s_lshl_b32 s4, s5, 3
	s_clause 0x2
	s_load_b64 s[2:3], s[0:1], s4 offset:0x0
	s_load_b64 s[6:7], s[0:1], s4 offset:0x200
	;; [unrolled: 1-line block ×3, first 2 shown]
	s_waitcnt lgkmcnt(0)
	s_add_u32 s12, s2, s10
	s_addc_u32 s13, s3, s11
	s_and_b32 s18, s6, 7
	s_and_b32 s19, s4, 3
	;; [unrolled: 1-line block ×3, first 2 shown]
	s_or_b32 s18, s19, s18
	s_mov_b32 s19, s15
	s_delay_alu instid0(SALU_CYCLE_1)
	s_or_b64 s[14:15], s[14:15], s[18:19]
	s_sub_u32 s4, s4, s16
	s_subb_u32 s5, s5, s17
	s_cmp_eq_u64 s[14:15], 0
	s_mov_b32 s14, -1
	s_cbranch_scc0 .LBB304_5
; %bb.1:
	v_dual_mov_b32 v2, 0 :: v_dual_lshlrev_b32 v1, 2, v0
	s_mov_b32 s14, exec_lo
	s_delay_alu instid0(VALU_DEP_1)
	v_cmpx_gt_i64_e64 s[4:5], v[1:2]
	s_cbranch_execz .LBB304_4
; %bb.2:
	s_load_b32 s15, s[0:1], 0xc5c
	v_lshlrev_b32_e32 v3, 4, v0
	v_lshlrev_b32_e32 v4, 3, v0
	s_waitcnt lgkmcnt(0)
	s_and_b32 s16, s15, 0xffff
	s_delay_alu instid0(SALU_CYCLE_1)
	s_lshl_b32 s15, s16, 2
	s_add_u32 s17, s2, s10
	s_addc_u32 s11, s3, s11
	s_lshl_b64 s[2:3], s[8:9], 17
	s_lshl_b32 s10, s16, 4
	v_add_co_u32 v3, s17, s17, v3
	s_add_u32 s2, s6, s2
	v_add_co_ci_u32_e64 v5, null, s11, 0, s17
	s_addc_u32 s3, s7, s3
	v_add_co_u32 v6, s2, s2, v4
	s_delay_alu instid0(VALU_DEP_1) | instskip(SKIP_2) | instid1(VALU_DEP_4)
	v_add_co_ci_u32_e64 v7, null, s3, 0, s2
	v_add_co_u32 v3, vcc_lo, v3, 8
	v_add_co_ci_u32_e32 v4, vcc_lo, 0, v5, vcc_lo
	v_add_co_u32 v5, vcc_lo, v6, 4
	v_add_lshl_u32 v1, v0, s16, 2
	v_add_co_ci_u32_e32 v6, vcc_lo, 0, v7, vcc_lo
	s_mov_b32 s11, 0
	s_lshl_b32 s16, s16, 3
	s_set_inst_prefetch_distance 0x1
	.p2align	6
.LBB304_3:                              ; =>This Inner Loop Header: Depth=1
	global_load_b128 v[7:10], v[3:4], off offset:-8
	v_cmp_le_i64_e32 vcc_lo, s[4:5], v[1:2]
	v_cmp_lt_u64_e64 s2, 0xffff, v[1:2]
	v_add_co_u32 v1, s3, v1, s15
	s_delay_alu instid0(VALU_DEP_1) | instskip(SKIP_1) | instid1(VALU_DEP_4)
	v_add_co_ci_u32_e64 v2, s3, 0, v2, s3
	v_add_co_u32 v3, s3, v3, s10
	s_or_b32 s2, vcc_lo, s2
	v_add_co_ci_u32_e64 v4, s3, 0, v4, s3
	s_and_b32 s2, exec_lo, s2
	s_delay_alu instid0(SALU_CYCLE_1)
	s_or_b32 s11, s2, s11
	s_waitcnt vmcnt(0)
	v_cvt_f32_i32_e32 v8, v8
	v_cvt_f32_i32_e32 v10, v10
	;; [unrolled: 1-line block ×4, first 2 shown]
	s_delay_alu instid0(VALU_DEP_4) | instskip(NEXT) | instid1(VALU_DEP_4)
	v_cvt_f16_f32_e32 v11, v8
	v_cvt_f16_f32_e32 v8, v10
	s_delay_alu instid0(VALU_DEP_4) | instskip(NEXT) | instid1(VALU_DEP_4)
	v_cvt_f16_f32_e32 v9, v9
	v_cvt_f16_f32_e32 v7, v7
	s_delay_alu instid0(VALU_DEP_2) | instskip(NEXT) | instid1(VALU_DEP_2)
	v_pack_b32_f16 v8, v9, v8
	v_pack_b32_f16 v7, v7, v11
	global_store_b64 v[5:6], v[7:8], off offset:-4
	v_add_co_u32 v5, vcc_lo, v5, s16
	v_add_co_ci_u32_e32 v6, vcc_lo, 0, v6, vcc_lo
	s_and_not1_b32 exec_lo, exec_lo, s11
	s_cbranch_execnz .LBB304_3
.LBB304_4:
	s_set_inst_prefetch_distance 0x2
	s_or_b32 exec_lo, exec_lo, s14
	s_mov_b32 s14, 0
.LBB304_5:
	s_delay_alu instid0(SALU_CYCLE_1)
	s_and_not1_b32 vcc_lo, exec_lo, s14
	s_cbranch_vccnz .LBB304_25
; %bb.6:
	v_cmp_lt_i64_e64 s2, s[4:5], 1
	s_delay_alu instid0(VALU_DEP_1)
	s_and_b32 vcc_lo, exec_lo, s2
	s_cbranch_vccnz .LBB304_25
; %bb.7:
	s_load_b32 s0, s[0:1], 0xc5c
	v_cmp_gt_u64_e64 s1, 0x10000, s[4:5]
	v_dual_mov_b32 v2, 0 :: v_dual_lshlrev_b32 v5, 1, v0
	v_lshlrev_b32_e32 v1, 2, v0
                                        ; implicit-def: $vgpr25
                                        ; implicit-def: $vgpr26
                                        ; implicit-def: $vgpr27
                                        ; implicit-def: $vgpr28
	s_waitcnt lgkmcnt(0)
	s_and_b32 s0, s0, 0xffff
	s_delay_alu instid0(VALU_DEP_3)
	s_and_b32 s1, s1, exec_lo
	s_cselect_b32 s3, s5, 0
	s_cselect_b32 s2, s4, 0x10000
	s_lshl_b64 s[8:9], s[8:9], 17
	s_lshl_b32 s11, s0, 1
	s_lshl_b32 s1, s0, 2
	s_lshl_b32 s10, s0, 4
	s_add_u32 s6, s6, s8
	s_addc_u32 s7, s7, s9
	v_add_co_u32 v5, s9, s6, v5
	s_delay_alu instid0(VALU_DEP_1) | instskip(SKIP_3) | instid1(VALU_DEP_2)
	v_add_co_ci_u32_e64 v6, null, s7, 0, s9
	v_add_co_u32 v18, s9, v0, s0
	s_mul_i32 s14, s0, 3
	v_mad_u64_u32 v[3:4], null, s0, 12, v[1:2]
	v_lshlrev_b32_e32 v7, 1, v18
	v_add_co_u32 v2, s8, s14, v0
	s_delay_alu instid0(VALU_DEP_1)
	v_add_co_ci_u32_e64 v17, null, 0, 0, s8
	s_lshl_b32 s8, s0, 3
	v_add_co_ci_u32_e64 v21, null, 0, 0, s9
	v_add_co_u32 v19, s14, s8, v1
	v_add_co_u32 v22, s9, s11, v0
	;; [unrolled: 1-line block ×3, first 2 shown]
	v_add_co_ci_u32_e64 v20, null, 0, 0, s14
	v_add_co_ci_u32_e64 v23, null, 0, 0, s9
	v_lshlrev_b32_e32 v24, 2, v18
	v_add_co_ci_u32_e64 v8, null, s7, 0, s6
	s_mul_i32 s9, s0, 6
	s_mov_b64 s[6:7], 0
	s_branch .LBB304_9
.LBB304_8:                              ;   in Loop: Header=BB304_9 Depth=1
	s_or_b32 exec_lo, exec_lo, s0
	s_add_u32 s6, s6, s1
	s_addc_u32 s7, s7, 0
	v_add_co_u32 v5, vcc_lo, v5, s8
	v_cmp_ge_i64_e64 s0, s[6:7], s[4:5]
	v_cmp_lt_u64_e64 s11, 0xffff, s[6:7]
	v_add_co_ci_u32_e32 v6, vcc_lo, 0, v6, vcc_lo
	v_add_co_u32 v7, vcc_lo, v7, s8
	v_add_co_ci_u32_e32 v8, vcc_lo, 0, v8, vcc_lo
	s_delay_alu instid0(VALU_DEP_4)
	s_or_b32 s0, s0, s11
	s_add_u32 s12, s12, s10
	s_addc_u32 s13, s13, 0
	s_and_b32 vcc_lo, exec_lo, s0
	s_cbranch_vccnz .LBB304_25
.LBB304_9:                              ; =>This Inner Loop Header: Depth=1
	v_add_co_u32 v9, s0, v0, s6
	s_delay_alu instid0(VALU_DEP_1) | instskip(NEXT) | instid1(VALU_DEP_1)
	v_add_co_ci_u32_e64 v10, null, 0, s7, s0
	v_cmp_gt_i64_e32 vcc_lo, s[4:5], v[9:10]
	v_cmp_gt_u64_e64 s0, 0x10000, v[9:10]
	s_delay_alu instid0(VALU_DEP_1) | instskip(NEXT) | instid1(SALU_CYCLE_1)
	s_and_b32 s11, vcc_lo, s0
	s_and_saveexec_b32 s0, s11
	s_cbranch_execz .LBB304_11
; %bb.10:                               ;   in Loop: Header=BB304_9 Depth=1
	v_add_co_u32 v11, s11, s12, v1
	s_delay_alu instid0(VALU_DEP_1)
	v_add_co_ci_u32_e64 v12, null, s13, 0, s11
	global_load_b32 v28, v[11:12], off
.LBB304_11:                             ;   in Loop: Header=BB304_9 Depth=1
	s_or_b32 exec_lo, exec_lo, s0
	v_add_co_u32 v11, vcc_lo, v18, s6
	v_add_co_ci_u32_e32 v12, vcc_lo, s7, v21, vcc_lo
	s_delay_alu instid0(VALU_DEP_1) | instskip(SKIP_1) | instid1(VALU_DEP_1)
	v_cmp_gt_i64_e32 vcc_lo, s[4:5], v[11:12]
	v_cmp_gt_u64_e64 s0, 0x10000, v[11:12]
	s_and_b32 s11, vcc_lo, s0
	s_delay_alu instid0(SALU_CYCLE_1)
	s_and_saveexec_b32 s0, s11
	s_cbranch_execz .LBB304_13
; %bb.12:                               ;   in Loop: Header=BB304_9 Depth=1
	v_add_co_u32 v13, s11, s12, v24
	s_delay_alu instid0(VALU_DEP_1)
	v_add_co_ci_u32_e64 v14, null, s13, 0, s11
	global_load_b32 v27, v[13:14], off
.LBB304_13:                             ;   in Loop: Header=BB304_9 Depth=1
	s_or_b32 exec_lo, exec_lo, s0
	v_add_co_u32 v13, vcc_lo, v22, s6
	v_add_co_ci_u32_e32 v14, vcc_lo, s7, v23, vcc_lo
	s_delay_alu instid0(VALU_DEP_1) | instskip(SKIP_1) | instid1(VALU_DEP_1)
	v_cmp_gt_i64_e32 vcc_lo, s[4:5], v[13:14]
	v_cmp_gt_u64_e64 s0, 0x10000, v[13:14]
	s_and_b32 s11, vcc_lo, s0
	s_delay_alu instid0(SALU_CYCLE_1)
	s_and_saveexec_b32 s0, s11
	s_cbranch_execz .LBB304_15
; %bb.14:                               ;   in Loop: Header=BB304_9 Depth=1
	v_add_co_u32 v15, vcc_lo, s12, v19
	v_add_co_ci_u32_e32 v16, vcc_lo, s13, v20, vcc_lo
	global_load_b32 v26, v[15:16], off
.LBB304_15:                             ;   in Loop: Header=BB304_9 Depth=1
	s_or_b32 exec_lo, exec_lo, s0
	v_add_co_u32 v15, vcc_lo, v2, s6
	v_add_co_ci_u32_e32 v16, vcc_lo, s7, v17, vcc_lo
	s_delay_alu instid0(VALU_DEP_1) | instskip(SKIP_1) | instid1(VALU_DEP_1)
	v_cmp_gt_i64_e32 vcc_lo, s[4:5], v[15:16]
	v_cmp_gt_u64_e64 s0, 0x10000, v[15:16]
	s_and_b32 s11, vcc_lo, s0
	s_delay_alu instid0(SALU_CYCLE_1)
	s_and_saveexec_b32 s0, s11
	s_cbranch_execnz .LBB304_20
; %bb.16:                               ;   in Loop: Header=BB304_9 Depth=1
	s_or_b32 exec_lo, exec_lo, s0
	s_delay_alu instid0(SALU_CYCLE_1)
	s_mov_b32 s0, exec_lo
	v_cmpx_gt_u64_e64 s[2:3], v[9:10]
	s_cbranch_execnz .LBB304_21
.LBB304_17:                             ;   in Loop: Header=BB304_9 Depth=1
	s_or_b32 exec_lo, exec_lo, s0
	s_delay_alu instid0(SALU_CYCLE_1)
	s_mov_b32 s0, exec_lo
	v_cmpx_gt_u64_e64 s[2:3], v[11:12]
	s_cbranch_execnz .LBB304_22
.LBB304_18:                             ;   in Loop: Header=BB304_9 Depth=1
	s_or_b32 exec_lo, exec_lo, s0
	s_delay_alu instid0(SALU_CYCLE_1)
	s_mov_b32 s0, exec_lo
	v_cmpx_gt_u64_e64 s[2:3], v[13:14]
	s_cbranch_execnz .LBB304_23
.LBB304_19:                             ;   in Loop: Header=BB304_9 Depth=1
	s_or_b32 exec_lo, exec_lo, s0
	s_delay_alu instid0(SALU_CYCLE_1)
	s_mov_b32 s0, exec_lo
	v_cmpx_gt_u64_e64 s[2:3], v[15:16]
	s_cbranch_execz .LBB304_8
	s_branch .LBB304_24
.LBB304_20:                             ;   in Loop: Header=BB304_9 Depth=1
	v_add_co_u32 v29, vcc_lo, s12, v3
	v_add_co_ci_u32_e32 v30, vcc_lo, s13, v4, vcc_lo
	global_load_b32 v25, v[29:30], off
	s_or_b32 exec_lo, exec_lo, s0
	s_delay_alu instid0(SALU_CYCLE_1)
	s_mov_b32 s0, exec_lo
	v_cmpx_gt_u64_e64 s[2:3], v[9:10]
	s_cbranch_execz .LBB304_17
.LBB304_21:                             ;   in Loop: Header=BB304_9 Depth=1
	s_waitcnt vmcnt(0)
	v_cvt_f32_i32_e32 v9, v28
	s_delay_alu instid0(VALU_DEP_1) | instskip(SKIP_2) | instid1(SALU_CYCLE_1)
	v_cvt_f16_f32_e32 v9, v9
	global_store_b16 v[5:6], v9, off
	s_or_b32 exec_lo, exec_lo, s0
	s_mov_b32 s0, exec_lo
	v_cmpx_gt_u64_e64 s[2:3], v[11:12]
	s_cbranch_execz .LBB304_18
.LBB304_22:                             ;   in Loop: Header=BB304_9 Depth=1
	s_waitcnt vmcnt(0)
	v_cvt_f32_i32_e32 v9, v27
	s_delay_alu instid0(VALU_DEP_1) | instskip(SKIP_2) | instid1(SALU_CYCLE_1)
	v_cvt_f16_f32_e32 v9, v9
	global_store_b16 v[7:8], v9, off
	s_or_b32 exec_lo, exec_lo, s0
	s_mov_b32 s0, exec_lo
	v_cmpx_gt_u64_e64 s[2:3], v[13:14]
	s_cbranch_execz .LBB304_19
.LBB304_23:                             ;   in Loop: Header=BB304_9 Depth=1
	s_waitcnt vmcnt(0)
	v_cvt_f32_i32_e32 v9, v26
	s_delay_alu instid0(VALU_DEP_1) | instskip(SKIP_4) | instid1(SALU_CYCLE_1)
	v_cvt_f16_f32_e32 v11, v9
	v_add_co_u32 v9, vcc_lo, v5, s1
	v_add_co_ci_u32_e32 v10, vcc_lo, 0, v6, vcc_lo
	global_store_b16 v[9:10], v11, off
	s_or_b32 exec_lo, exec_lo, s0
	s_mov_b32 s0, exec_lo
	v_cmpx_gt_u64_e64 s[2:3], v[15:16]
	s_cbranch_execz .LBB304_8
.LBB304_24:                             ;   in Loop: Header=BB304_9 Depth=1
	s_waitcnt vmcnt(0)
	v_cvt_f32_i32_e32 v9, v25
	s_delay_alu instid0(VALU_DEP_1)
	v_cvt_f16_f32_e32 v11, v9
	v_add_co_u32 v9, vcc_lo, v5, s9
	v_add_co_ci_u32_e32 v10, vcc_lo, 0, v6, vcc_lo
	global_store_b16 v[9:10], v11, off
	s_branch .LBB304_8
.LBB304_25:
	s_nop 0
	s_sendmsg sendmsg(MSG_DEALLOC_VGPRS)
	s_endpgm
	.section	.rodata,"a",@progbits
	.p2align	6, 0x0
	.amdhsa_kernel _ZN2at6native12_GLOBAL__N_125multi_tensor_apply_kernelINS1_18TensorListMetadataILi2EEENS1_11CopyFunctorIN3c104HalfEiLi2ELi1ELi1EEEJNS0_4CopyIS7_iEEEEEvT_T0_DpT1_
		.amdhsa_group_segment_fixed_size 0
		.amdhsa_private_segment_fixed_size 0
		.amdhsa_kernarg_size 3408
		.amdhsa_user_sgpr_count 15
		.amdhsa_user_sgpr_dispatch_ptr 0
		.amdhsa_user_sgpr_queue_ptr 0
		.amdhsa_user_sgpr_kernarg_segment_ptr 1
		.amdhsa_user_sgpr_dispatch_id 0
		.amdhsa_user_sgpr_private_segment_size 0
		.amdhsa_wavefront_size32 1
		.amdhsa_uses_dynamic_stack 0
		.amdhsa_enable_private_segment 0
		.amdhsa_system_sgpr_workgroup_id_x 1
		.amdhsa_system_sgpr_workgroup_id_y 0
		.amdhsa_system_sgpr_workgroup_id_z 0
		.amdhsa_system_sgpr_workgroup_info 0
		.amdhsa_system_vgpr_workitem_id 0
		.amdhsa_next_free_vgpr 31
		.amdhsa_next_free_sgpr 20
		.amdhsa_reserve_vcc 1
		.amdhsa_float_round_mode_32 0
		.amdhsa_float_round_mode_16_64 0
		.amdhsa_float_denorm_mode_32 3
		.amdhsa_float_denorm_mode_16_64 3
		.amdhsa_dx10_clamp 1
		.amdhsa_ieee_mode 1
		.amdhsa_fp16_overflow 0
		.amdhsa_workgroup_processor_mode 1
		.amdhsa_memory_ordered 1
		.amdhsa_forward_progress 0
		.amdhsa_shared_vgpr_count 0
		.amdhsa_exception_fp_ieee_invalid_op 0
		.amdhsa_exception_fp_denorm_src 0
		.amdhsa_exception_fp_ieee_div_zero 0
		.amdhsa_exception_fp_ieee_overflow 0
		.amdhsa_exception_fp_ieee_underflow 0
		.amdhsa_exception_fp_ieee_inexact 0
		.amdhsa_exception_int_div_zero 0
	.end_amdhsa_kernel
	.section	.text._ZN2at6native12_GLOBAL__N_125multi_tensor_apply_kernelINS1_18TensorListMetadataILi2EEENS1_11CopyFunctorIN3c104HalfEiLi2ELi1ELi1EEEJNS0_4CopyIS7_iEEEEEvT_T0_DpT1_,"axG",@progbits,_ZN2at6native12_GLOBAL__N_125multi_tensor_apply_kernelINS1_18TensorListMetadataILi2EEENS1_11CopyFunctorIN3c104HalfEiLi2ELi1ELi1EEEJNS0_4CopyIS7_iEEEEEvT_T0_DpT1_,comdat
.Lfunc_end304:
	.size	_ZN2at6native12_GLOBAL__N_125multi_tensor_apply_kernelINS1_18TensorListMetadataILi2EEENS1_11CopyFunctorIN3c104HalfEiLi2ELi1ELi1EEEJNS0_4CopyIS7_iEEEEEvT_T0_DpT1_, .Lfunc_end304-_ZN2at6native12_GLOBAL__N_125multi_tensor_apply_kernelINS1_18TensorListMetadataILi2EEENS1_11CopyFunctorIN3c104HalfEiLi2ELi1ELi1EEEJNS0_4CopyIS7_iEEEEEvT_T0_DpT1_
                                        ; -- End function
	.section	.AMDGPU.csdata,"",@progbits
; Kernel info:
; codeLenInByte = 1480
; NumSgprs: 22
; NumVgprs: 31
; ScratchSize: 0
; MemoryBound: 0
; FloatMode: 240
; IeeeMode: 1
; LDSByteSize: 0 bytes/workgroup (compile time only)
; SGPRBlocks: 2
; VGPRBlocks: 3
; NumSGPRsForWavesPerEU: 22
; NumVGPRsForWavesPerEU: 31
; Occupancy: 16
; WaveLimiterHint : 0
; COMPUTE_PGM_RSRC2:SCRATCH_EN: 0
; COMPUTE_PGM_RSRC2:USER_SGPR: 15
; COMPUTE_PGM_RSRC2:TRAP_HANDLER: 0
; COMPUTE_PGM_RSRC2:TGID_X_EN: 1
; COMPUTE_PGM_RSRC2:TGID_Y_EN: 0
; COMPUTE_PGM_RSRC2:TGID_Z_EN: 0
; COMPUTE_PGM_RSRC2:TIDIG_COMP_CNT: 0
	.section	.text._ZN2at6native12_GLOBAL__N_125multi_tensor_apply_kernelINS1_18TensorListMetadataILi2EEENS1_11CopyFunctorIN3c104HalfEdLi2ELi1ELi1EEEJNS0_4CopyIS7_dEEEEEvT_T0_DpT1_,"axG",@progbits,_ZN2at6native12_GLOBAL__N_125multi_tensor_apply_kernelINS1_18TensorListMetadataILi2EEENS1_11CopyFunctorIN3c104HalfEdLi2ELi1ELi1EEEJNS0_4CopyIS7_dEEEEEvT_T0_DpT1_,comdat
	.globl	_ZN2at6native12_GLOBAL__N_125multi_tensor_apply_kernelINS1_18TensorListMetadataILi2EEENS1_11CopyFunctorIN3c104HalfEdLi2ELi1ELi1EEEJNS0_4CopyIS7_dEEEEEvT_T0_DpT1_ ; -- Begin function _ZN2at6native12_GLOBAL__N_125multi_tensor_apply_kernelINS1_18TensorListMetadataILi2EEENS1_11CopyFunctorIN3c104HalfEdLi2ELi1ELi1EEEJNS0_4CopyIS7_dEEEEEvT_T0_DpT1_
	.p2align	8
	.type	_ZN2at6native12_GLOBAL__N_125multi_tensor_apply_kernelINS1_18TensorListMetadataILi2EEENS1_11CopyFunctorIN3c104HalfEdLi2ELi1ELi1EEEJNS0_4CopyIS7_dEEEEEvT_T0_DpT1_,@function
_ZN2at6native12_GLOBAL__N_125multi_tensor_apply_kernelINS1_18TensorListMetadataILi2EEENS1_11CopyFunctorIN3c104HalfEdLi2ELi1ELi1EEEJNS0_4CopyIS7_dEEEEEvT_T0_DpT1_: ; @_ZN2at6native12_GLOBAL__N_125multi_tensor_apply_kernelINS1_18TensorListMetadataILi2EEENS1_11CopyFunctorIN3c104HalfEdLi2ELi1ELi1EEEJNS0_4CopyIS7_dEEEEEvT_T0_DpT1_
; %bb.0:
	v_mov_b32_e32 v1, s15
	s_add_u32 s2, s0, s15
	s_mul_hi_u32 s3, s15, 3
	s_mul_i32 s15, s15, 3
	s_addc_u32 s4, s1, 0
	global_load_u8 v1, v1, s[0:1] offset:1536
	s_add_u32 s2, s2, s15
	s_addc_u32 s3, s4, s3
	s_mov_b32 s15, 0
	s_load_b32 s8, s[2:3], 0x740
	s_waitcnt lgkmcnt(0)
	s_ashr_i32 s9, s8, 31
	s_delay_alu instid0(SALU_CYCLE_1) | instskip(SKIP_3) | instid1(VALU_DEP_1)
	s_lshl_b64 s[10:11], s[8:9], 19
	s_lshl_b64 s[16:17], s[8:9], 16
	s_waitcnt vmcnt(0)
	v_readfirstlane_b32 s5, v1
	s_lshl_b32 s4, s5, 3
	s_clause 0x2
	s_load_b64 s[2:3], s[0:1], s4 offset:0x0
	s_load_b64 s[6:7], s[0:1], s4 offset:0x200
	;; [unrolled: 1-line block ×3, first 2 shown]
	s_waitcnt lgkmcnt(0)
	s_add_u32 s12, s2, s10
	s_addc_u32 s13, s3, s11
	s_and_b32 s18, s6, 7
	s_and_b32 s19, s4, 3
	;; [unrolled: 1-line block ×3, first 2 shown]
	s_or_b32 s18, s19, s18
	s_mov_b32 s19, s15
	s_delay_alu instid0(SALU_CYCLE_1)
	s_or_b64 s[14:15], s[14:15], s[18:19]
	s_sub_u32 s4, s4, s16
	s_subb_u32 s5, s5, s17
	s_cmp_eq_u64 s[14:15], 0
	s_mov_b32 s14, -1
	s_cbranch_scc0 .LBB305_5
; %bb.1:
	v_dual_mov_b32 v2, 0 :: v_dual_lshlrev_b32 v1, 2, v0
	s_mov_b32 s14, exec_lo
	s_delay_alu instid0(VALU_DEP_1)
	v_cmpx_gt_i64_e64 s[4:5], v[1:2]
	s_cbranch_execz .LBB305_4
; %bb.2:
	s_load_b32 s15, s[0:1], 0xc5c
	v_lshlrev_b32_e32 v4, 3, v0
	v_lshlrev_b32_e32 v3, 5, v0
	s_waitcnt lgkmcnt(0)
	s_and_b32 s16, s15, 0xffff
	s_delay_alu instid0(SALU_CYCLE_1)
	s_lshl_b32 s15, s16, 2
	s_add_u32 s17, s2, s10
	s_addc_u32 s11, s3, s11
	s_lshl_b64 s[2:3], s[8:9], 17
	s_lshl_b32 s10, s16, 5
	s_add_u32 s2, s6, s2
	s_addc_u32 s3, s7, s3
	v_add_co_u32 v5, s2, s2, v4
	s_delay_alu instid0(VALU_DEP_1) | instskip(SKIP_1) | instid1(VALU_DEP_3)
	v_add_co_ci_u32_e64 v6, null, s3, 0, s2
	v_add_co_u32 v3, s2, s17, v3
	v_add_co_u32 v5, vcc_lo, v5, 4
	v_add_lshl_u32 v1, v0, s16, 2
	v_add_co_ci_u32_e64 v4, null, s11, 0, s2
	v_add_co_ci_u32_e32 v6, vcc_lo, 0, v6, vcc_lo
	s_mov_b32 s11, 0
	s_lshl_b32 s16, s16, 3
	s_set_inst_prefetch_distance 0x1
	.p2align	6
.LBB305_3:                              ; =>This Inner Loop Header: Depth=1
	s_clause 0x1
	global_load_b128 v[7:10], v[3:4], off
	global_load_b128 v[11:14], v[3:4], off offset:16
	v_cmp_le_i64_e32 vcc_lo, s[4:5], v[1:2]
	v_cmp_lt_u64_e64 s2, 0xffff, v[1:2]
	v_add_co_u32 v1, s3, v1, s15
	s_delay_alu instid0(VALU_DEP_1) | instskip(SKIP_1) | instid1(VALU_DEP_4)
	v_add_co_ci_u32_e64 v2, s3, 0, v2, s3
	v_add_co_u32 v3, s3, v3, s10
	s_or_b32 s2, vcc_lo, s2
	v_add_co_ci_u32_e64 v4, s3, 0, v4, s3
	s_and_b32 s2, exec_lo, s2
	s_delay_alu instid0(SALU_CYCLE_1)
	s_or_b32 s11, s2, s11
	s_waitcnt vmcnt(1)
	v_cvt_f32_f64_e32 v7, v[7:8]
	s_waitcnt vmcnt(0)
	v_cvt_f32_f64_e32 v8, v[11:12]
	v_cvt_f32_f64_e32 v11, v[13:14]
	;; [unrolled: 1-line block ×3, first 2 shown]
	s_delay_alu instid0(VALU_DEP_4) | instskip(NEXT) | instid1(VALU_DEP_4)
	v_cvt_f16_f32_e32 v7, v7
	v_cvt_f16_f32_e32 v8, v8
	s_delay_alu instid0(VALU_DEP_4) | instskip(NEXT) | instid1(VALU_DEP_4)
	v_cvt_f16_f32_e32 v10, v11
	v_cvt_f16_f32_e32 v9, v9
	s_delay_alu instid0(VALU_DEP_2) | instskip(NEXT) | instid1(VALU_DEP_2)
	v_pack_b32_f16 v8, v8, v10
	v_pack_b32_f16 v7, v7, v9
	global_store_b64 v[5:6], v[7:8], off offset:-4
	v_add_co_u32 v5, vcc_lo, v5, s16
	v_add_co_ci_u32_e32 v6, vcc_lo, 0, v6, vcc_lo
	s_and_not1_b32 exec_lo, exec_lo, s11
	s_cbranch_execnz .LBB305_3
.LBB305_4:
	s_set_inst_prefetch_distance 0x2
	s_or_b32 exec_lo, exec_lo, s14
	s_mov_b32 s14, 0
.LBB305_5:
	s_delay_alu instid0(SALU_CYCLE_1)
	s_and_not1_b32 vcc_lo, exec_lo, s14
	s_cbranch_vccnz .LBB305_25
; %bb.6:
	v_cmp_lt_i64_e64 s2, s[4:5], 1
	s_delay_alu instid0(VALU_DEP_1)
	s_and_b32 vcc_lo, exec_lo, s2
	s_cbranch_vccnz .LBB305_25
; %bb.7:
	s_load_b32 s0, s[0:1], 0xc5c
	v_cmp_gt_u64_e64 s1, 0x10000, s[4:5]
	v_dual_mov_b32 v2, 0 :: v_dual_lshlrev_b32 v5, 1, v0
	v_lshlrev_b32_e32 v1, 3, v0
                                        ; implicit-def: $vgpr9_vgpr10
                                        ; implicit-def: $vgpr11_vgpr12
                                        ; implicit-def: $vgpr13_vgpr14
                                        ; implicit-def: $vgpr15_vgpr16
	s_waitcnt lgkmcnt(0)
	s_and_b32 s0, s0, 0xffff
	s_delay_alu instid0(VALU_DEP_3)
	s_and_b32 s1, s1, exec_lo
	s_cselect_b32 s3, s5, 0
	s_cselect_b32 s2, s4, 0x10000
	s_lshl_b64 s[8:9], s[8:9], 17
	s_lshl_b32 s11, s0, 1
	s_lshl_b32 s1, s0, 2
	;; [unrolled: 1-line block ×3, first 2 shown]
	s_add_u32 s6, s6, s8
	s_addc_u32 s7, s7, s9
	v_add_co_u32 v5, s9, s6, v5
	s_delay_alu instid0(VALU_DEP_1) | instskip(SKIP_4) | instid1(VALU_DEP_3)
	v_add_co_ci_u32_e64 v6, null, s7, 0, s9
	v_add_co_u32 v26, s9, v0, s0
	s_mul_i32 s14, s0, 3
	v_mad_u64_u32 v[3:4], null, s0, 24, v[1:2]
	v_add_co_u32 v2, s8, s14, v0
	v_lshlrev_b32_e32 v7, 1, v26
	v_add_co_ci_u32_e64 v25, null, 0, 0, s8
	s_lshl_b32 s8, s0, 4
	v_add_co_ci_u32_e64 v29, null, 0, 0, s9
	v_add_co_u32 v27, s8, s8, v1
	s_delay_alu instid0(VALU_DEP_1)
	v_add_co_ci_u32_e64 v28, null, 0, 0, s8
	v_add_co_u32 v30, s8, s11, v0
	v_add_co_u32 v7, s6, s6, v7
	v_add_co_ci_u32_e64 v31, null, 0, 0, s8
	v_lshlrev_b32_e32 v32, 3, v26
	v_add_co_ci_u32_e64 v8, null, s7, 0, s6
	s_lshl_b32 s8, s0, 3
	s_mul_i32 s9, s0, 6
	s_mov_b64 s[6:7], 0
	s_branch .LBB305_9
.LBB305_8:                              ;   in Loop: Header=BB305_9 Depth=1
	s_or_b32 exec_lo, exec_lo, s0
	s_add_u32 s6, s6, s1
	s_addc_u32 s7, s7, 0
	v_add_co_u32 v5, vcc_lo, v5, s8
	v_cmp_ge_i64_e64 s0, s[6:7], s[4:5]
	v_cmp_lt_u64_e64 s11, 0xffff, s[6:7]
	v_add_co_ci_u32_e32 v6, vcc_lo, 0, v6, vcc_lo
	v_add_co_u32 v7, vcc_lo, v7, s8
	v_add_co_ci_u32_e32 v8, vcc_lo, 0, v8, vcc_lo
	s_delay_alu instid0(VALU_DEP_4)
	s_or_b32 s0, s0, s11
	s_add_u32 s12, s12, s10
	s_addc_u32 s13, s13, 0
	s_and_b32 vcc_lo, exec_lo, s0
	s_cbranch_vccnz .LBB305_25
.LBB305_9:                              ; =>This Inner Loop Header: Depth=1
	v_add_co_u32 v17, s0, v0, s6
	s_delay_alu instid0(VALU_DEP_1) | instskip(NEXT) | instid1(VALU_DEP_1)
	v_add_co_ci_u32_e64 v18, null, 0, s7, s0
	v_cmp_gt_i64_e32 vcc_lo, s[4:5], v[17:18]
	v_cmp_gt_u64_e64 s0, 0x10000, v[17:18]
	s_delay_alu instid0(VALU_DEP_1) | instskip(NEXT) | instid1(SALU_CYCLE_1)
	s_and_b32 s11, vcc_lo, s0
	s_and_saveexec_b32 s0, s11
	s_cbranch_execz .LBB305_11
; %bb.10:                               ;   in Loop: Header=BB305_9 Depth=1
	s_waitcnt vmcnt(0)
	v_add_co_u32 v15, s11, s12, v1
	s_delay_alu instid0(VALU_DEP_1)
	v_add_co_ci_u32_e64 v16, null, s13, 0, s11
	global_load_b64 v[15:16], v[15:16], off
.LBB305_11:                             ;   in Loop: Header=BB305_9 Depth=1
	s_or_b32 exec_lo, exec_lo, s0
	v_add_co_u32 v19, vcc_lo, v26, s6
	v_add_co_ci_u32_e32 v20, vcc_lo, s7, v29, vcc_lo
	s_delay_alu instid0(VALU_DEP_1) | instskip(SKIP_1) | instid1(VALU_DEP_1)
	v_cmp_gt_i64_e32 vcc_lo, s[4:5], v[19:20]
	v_cmp_gt_u64_e64 s0, 0x10000, v[19:20]
	s_and_b32 s11, vcc_lo, s0
	s_delay_alu instid0(SALU_CYCLE_1)
	s_and_saveexec_b32 s0, s11
	s_cbranch_execz .LBB305_13
; %bb.12:                               ;   in Loop: Header=BB305_9 Depth=1
	s_waitcnt vmcnt(0)
	v_add_co_u32 v13, s11, s12, v32
	s_delay_alu instid0(VALU_DEP_1)
	v_add_co_ci_u32_e64 v14, null, s13, 0, s11
	global_load_b64 v[13:14], v[13:14], off
.LBB305_13:                             ;   in Loop: Header=BB305_9 Depth=1
	s_or_b32 exec_lo, exec_lo, s0
	v_add_co_u32 v21, vcc_lo, v30, s6
	v_add_co_ci_u32_e32 v22, vcc_lo, s7, v31, vcc_lo
	s_delay_alu instid0(VALU_DEP_1) | instskip(SKIP_1) | instid1(VALU_DEP_1)
	v_cmp_gt_i64_e32 vcc_lo, s[4:5], v[21:22]
	v_cmp_gt_u64_e64 s0, 0x10000, v[21:22]
	s_and_b32 s11, vcc_lo, s0
	s_delay_alu instid0(SALU_CYCLE_1)
	s_and_saveexec_b32 s0, s11
	s_cbranch_execz .LBB305_15
; %bb.14:                               ;   in Loop: Header=BB305_9 Depth=1
	s_waitcnt vmcnt(0)
	v_add_co_u32 v11, vcc_lo, s12, v27
	v_add_co_ci_u32_e32 v12, vcc_lo, s13, v28, vcc_lo
	global_load_b64 v[11:12], v[11:12], off
.LBB305_15:                             ;   in Loop: Header=BB305_9 Depth=1
	s_or_b32 exec_lo, exec_lo, s0
	v_add_co_u32 v23, vcc_lo, v2, s6
	v_add_co_ci_u32_e32 v24, vcc_lo, s7, v25, vcc_lo
	s_delay_alu instid0(VALU_DEP_1) | instskip(SKIP_1) | instid1(VALU_DEP_1)
	v_cmp_gt_i64_e32 vcc_lo, s[4:5], v[23:24]
	v_cmp_gt_u64_e64 s0, 0x10000, v[23:24]
	s_and_b32 s11, vcc_lo, s0
	s_delay_alu instid0(SALU_CYCLE_1)
	s_and_saveexec_b32 s0, s11
	s_cbranch_execnz .LBB305_20
; %bb.16:                               ;   in Loop: Header=BB305_9 Depth=1
	s_or_b32 exec_lo, exec_lo, s0
	s_delay_alu instid0(SALU_CYCLE_1)
	s_mov_b32 s0, exec_lo
	v_cmpx_gt_u64_e64 s[2:3], v[17:18]
	s_cbranch_execnz .LBB305_21
.LBB305_17:                             ;   in Loop: Header=BB305_9 Depth=1
	s_or_b32 exec_lo, exec_lo, s0
	s_delay_alu instid0(SALU_CYCLE_1)
	s_mov_b32 s0, exec_lo
	v_cmpx_gt_u64_e64 s[2:3], v[19:20]
	s_cbranch_execnz .LBB305_22
.LBB305_18:                             ;   in Loop: Header=BB305_9 Depth=1
	s_or_b32 exec_lo, exec_lo, s0
	s_delay_alu instid0(SALU_CYCLE_1)
	s_mov_b32 s0, exec_lo
	v_cmpx_gt_u64_e64 s[2:3], v[21:22]
	s_cbranch_execnz .LBB305_23
.LBB305_19:                             ;   in Loop: Header=BB305_9 Depth=1
	s_or_b32 exec_lo, exec_lo, s0
	s_delay_alu instid0(SALU_CYCLE_1)
	s_mov_b32 s0, exec_lo
	v_cmpx_gt_u64_e64 s[2:3], v[23:24]
	s_cbranch_execz .LBB305_8
	s_branch .LBB305_24
.LBB305_20:                             ;   in Loop: Header=BB305_9 Depth=1
	s_waitcnt vmcnt(0)
	v_add_co_u32 v9, vcc_lo, s12, v3
	v_add_co_ci_u32_e32 v10, vcc_lo, s13, v4, vcc_lo
	global_load_b64 v[9:10], v[9:10], off
	s_or_b32 exec_lo, exec_lo, s0
	s_delay_alu instid0(SALU_CYCLE_1)
	s_mov_b32 s0, exec_lo
	v_cmpx_gt_u64_e64 s[2:3], v[17:18]
	s_cbranch_execz .LBB305_17
.LBB305_21:                             ;   in Loop: Header=BB305_9 Depth=1
	s_waitcnt vmcnt(0)
	v_cvt_f32_f64_e32 v17, v[15:16]
	s_delay_alu instid0(VALU_DEP_1) | instskip(SKIP_2) | instid1(SALU_CYCLE_1)
	v_cvt_f16_f32_e32 v17, v17
	global_store_b16 v[5:6], v17, off
	s_or_b32 exec_lo, exec_lo, s0
	s_mov_b32 s0, exec_lo
	v_cmpx_gt_u64_e64 s[2:3], v[19:20]
	s_cbranch_execz .LBB305_18
.LBB305_22:                             ;   in Loop: Header=BB305_9 Depth=1
	s_waitcnt vmcnt(0)
	v_cvt_f32_f64_e32 v17, v[13:14]
	s_delay_alu instid0(VALU_DEP_1) | instskip(SKIP_2) | instid1(SALU_CYCLE_1)
	v_cvt_f16_f32_e32 v17, v17
	global_store_b16 v[7:8], v17, off
	s_or_b32 exec_lo, exec_lo, s0
	s_mov_b32 s0, exec_lo
	v_cmpx_gt_u64_e64 s[2:3], v[21:22]
	s_cbranch_execz .LBB305_19
.LBB305_23:                             ;   in Loop: Header=BB305_9 Depth=1
	s_waitcnt vmcnt(0)
	v_cvt_f32_f64_e32 v17, v[11:12]
	s_delay_alu instid0(VALU_DEP_1) | instskip(SKIP_4) | instid1(SALU_CYCLE_1)
	v_cvt_f16_f32_e32 v19, v17
	v_add_co_u32 v17, vcc_lo, v5, s1
	v_add_co_ci_u32_e32 v18, vcc_lo, 0, v6, vcc_lo
	global_store_b16 v[17:18], v19, off
	s_or_b32 exec_lo, exec_lo, s0
	s_mov_b32 s0, exec_lo
	v_cmpx_gt_u64_e64 s[2:3], v[23:24]
	s_cbranch_execz .LBB305_8
.LBB305_24:                             ;   in Loop: Header=BB305_9 Depth=1
	s_waitcnt vmcnt(0)
	v_cvt_f32_f64_e32 v17, v[9:10]
	s_delay_alu instid0(VALU_DEP_1)
	v_cvt_f16_f32_e32 v19, v17
	v_add_co_u32 v17, vcc_lo, v5, s9
	v_add_co_ci_u32_e32 v18, vcc_lo, 0, v6, vcc_lo
	global_store_b16 v[17:18], v19, off
	s_branch .LBB305_8
.LBB305_25:
	s_nop 0
	s_sendmsg sendmsg(MSG_DEALLOC_VGPRS)
	s_endpgm
	.section	.rodata,"a",@progbits
	.p2align	6, 0x0
	.amdhsa_kernel _ZN2at6native12_GLOBAL__N_125multi_tensor_apply_kernelINS1_18TensorListMetadataILi2EEENS1_11CopyFunctorIN3c104HalfEdLi2ELi1ELi1EEEJNS0_4CopyIS7_dEEEEEvT_T0_DpT1_
		.amdhsa_group_segment_fixed_size 0
		.amdhsa_private_segment_fixed_size 0
		.amdhsa_kernarg_size 3408
		.amdhsa_user_sgpr_count 15
		.amdhsa_user_sgpr_dispatch_ptr 0
		.amdhsa_user_sgpr_queue_ptr 0
		.amdhsa_user_sgpr_kernarg_segment_ptr 1
		.amdhsa_user_sgpr_dispatch_id 0
		.amdhsa_user_sgpr_private_segment_size 0
		.amdhsa_wavefront_size32 1
		.amdhsa_uses_dynamic_stack 0
		.amdhsa_enable_private_segment 0
		.amdhsa_system_sgpr_workgroup_id_x 1
		.amdhsa_system_sgpr_workgroup_id_y 0
		.amdhsa_system_sgpr_workgroup_id_z 0
		.amdhsa_system_sgpr_workgroup_info 0
		.amdhsa_system_vgpr_workitem_id 0
		.amdhsa_next_free_vgpr 33
		.amdhsa_next_free_sgpr 20
		.amdhsa_reserve_vcc 1
		.amdhsa_float_round_mode_32 0
		.amdhsa_float_round_mode_16_64 0
		.amdhsa_float_denorm_mode_32 3
		.amdhsa_float_denorm_mode_16_64 3
		.amdhsa_dx10_clamp 1
		.amdhsa_ieee_mode 1
		.amdhsa_fp16_overflow 0
		.amdhsa_workgroup_processor_mode 1
		.amdhsa_memory_ordered 1
		.amdhsa_forward_progress 0
		.amdhsa_shared_vgpr_count 0
		.amdhsa_exception_fp_ieee_invalid_op 0
		.amdhsa_exception_fp_denorm_src 0
		.amdhsa_exception_fp_ieee_div_zero 0
		.amdhsa_exception_fp_ieee_overflow 0
		.amdhsa_exception_fp_ieee_underflow 0
		.amdhsa_exception_fp_ieee_inexact 0
		.amdhsa_exception_int_div_zero 0
	.end_amdhsa_kernel
	.section	.text._ZN2at6native12_GLOBAL__N_125multi_tensor_apply_kernelINS1_18TensorListMetadataILi2EEENS1_11CopyFunctorIN3c104HalfEdLi2ELi1ELi1EEEJNS0_4CopyIS7_dEEEEEvT_T0_DpT1_,"axG",@progbits,_ZN2at6native12_GLOBAL__N_125multi_tensor_apply_kernelINS1_18TensorListMetadataILi2EEENS1_11CopyFunctorIN3c104HalfEdLi2ELi1ELi1EEEJNS0_4CopyIS7_dEEEEEvT_T0_DpT1_,comdat
.Lfunc_end305:
	.size	_ZN2at6native12_GLOBAL__N_125multi_tensor_apply_kernelINS1_18TensorListMetadataILi2EEENS1_11CopyFunctorIN3c104HalfEdLi2ELi1ELi1EEEJNS0_4CopyIS7_dEEEEEvT_T0_DpT1_, .Lfunc_end305-_ZN2at6native12_GLOBAL__N_125multi_tensor_apply_kernelINS1_18TensorListMetadataILi2EEENS1_11CopyFunctorIN3c104HalfEdLi2ELi1ELi1EEEJNS0_4CopyIS7_dEEEEEvT_T0_DpT1_
                                        ; -- End function
	.section	.AMDGPU.csdata,"",@progbits
; Kernel info:
; codeLenInByte = 1504
; NumSgprs: 22
; NumVgprs: 33
; ScratchSize: 0
; MemoryBound: 0
; FloatMode: 240
; IeeeMode: 1
; LDSByteSize: 0 bytes/workgroup (compile time only)
; SGPRBlocks: 2
; VGPRBlocks: 4
; NumSGPRsForWavesPerEU: 22
; NumVGPRsForWavesPerEU: 33
; Occupancy: 16
; WaveLimiterHint : 0
; COMPUTE_PGM_RSRC2:SCRATCH_EN: 0
; COMPUTE_PGM_RSRC2:USER_SGPR: 15
; COMPUTE_PGM_RSRC2:TRAP_HANDLER: 0
; COMPUTE_PGM_RSRC2:TGID_X_EN: 1
; COMPUTE_PGM_RSRC2:TGID_Y_EN: 0
; COMPUTE_PGM_RSRC2:TGID_Z_EN: 0
; COMPUTE_PGM_RSRC2:TIDIG_COMP_CNT: 0
	.section	.text._ZN2at6native12_GLOBAL__N_125multi_tensor_apply_kernelINS1_18TensorListMetadataILi2EEENS1_11CopyFunctorIN3c104HalfEfLi2ELi1ELi1EEEJNS0_4CopyIS7_fEEEEEvT_T0_DpT1_,"axG",@progbits,_ZN2at6native12_GLOBAL__N_125multi_tensor_apply_kernelINS1_18TensorListMetadataILi2EEENS1_11CopyFunctorIN3c104HalfEfLi2ELi1ELi1EEEJNS0_4CopyIS7_fEEEEEvT_T0_DpT1_,comdat
	.globl	_ZN2at6native12_GLOBAL__N_125multi_tensor_apply_kernelINS1_18TensorListMetadataILi2EEENS1_11CopyFunctorIN3c104HalfEfLi2ELi1ELi1EEEJNS0_4CopyIS7_fEEEEEvT_T0_DpT1_ ; -- Begin function _ZN2at6native12_GLOBAL__N_125multi_tensor_apply_kernelINS1_18TensorListMetadataILi2EEENS1_11CopyFunctorIN3c104HalfEfLi2ELi1ELi1EEEJNS0_4CopyIS7_fEEEEEvT_T0_DpT1_
	.p2align	8
	.type	_ZN2at6native12_GLOBAL__N_125multi_tensor_apply_kernelINS1_18TensorListMetadataILi2EEENS1_11CopyFunctorIN3c104HalfEfLi2ELi1ELi1EEEJNS0_4CopyIS7_fEEEEEvT_T0_DpT1_,@function
_ZN2at6native12_GLOBAL__N_125multi_tensor_apply_kernelINS1_18TensorListMetadataILi2EEENS1_11CopyFunctorIN3c104HalfEfLi2ELi1ELi1EEEJNS0_4CopyIS7_fEEEEEvT_T0_DpT1_: ; @_ZN2at6native12_GLOBAL__N_125multi_tensor_apply_kernelINS1_18TensorListMetadataILi2EEENS1_11CopyFunctorIN3c104HalfEfLi2ELi1ELi1EEEJNS0_4CopyIS7_fEEEEEvT_T0_DpT1_
; %bb.0:
	v_mov_b32_e32 v1, s15
	s_add_u32 s2, s0, s15
	s_mul_hi_u32 s3, s15, 3
	s_mul_i32 s15, s15, 3
	s_addc_u32 s4, s1, 0
	global_load_u8 v1, v1, s[0:1] offset:1536
	s_add_u32 s2, s2, s15
	s_addc_u32 s3, s4, s3
	s_mov_b32 s15, 0
	s_load_b32 s8, s[2:3], 0x740
	s_waitcnt lgkmcnt(0)
	s_ashr_i32 s9, s8, 31
	s_delay_alu instid0(SALU_CYCLE_1) | instskip(SKIP_3) | instid1(VALU_DEP_1)
	s_lshl_b64 s[10:11], s[8:9], 18
	s_lshl_b64 s[16:17], s[8:9], 16
	s_waitcnt vmcnt(0)
	v_readfirstlane_b32 s5, v1
	s_lshl_b32 s4, s5, 3
	s_clause 0x2
	s_load_b64 s[2:3], s[0:1], s4 offset:0x0
	s_load_b64 s[6:7], s[0:1], s4 offset:0x200
	;; [unrolled: 1-line block ×3, first 2 shown]
	s_waitcnt lgkmcnt(0)
	s_add_u32 s12, s2, s10
	s_addc_u32 s13, s3, s11
	s_and_b32 s18, s6, 7
	s_and_b32 s19, s4, 3
	;; [unrolled: 1-line block ×3, first 2 shown]
	s_or_b32 s18, s19, s18
	s_mov_b32 s19, s15
	s_delay_alu instid0(SALU_CYCLE_1)
	s_or_b64 s[14:15], s[14:15], s[18:19]
	s_sub_u32 s4, s4, s16
	s_subb_u32 s5, s5, s17
	s_cmp_eq_u64 s[14:15], 0
	s_mov_b32 s14, -1
	s_cbranch_scc0 .LBB306_5
; %bb.1:
	v_dual_mov_b32 v2, 0 :: v_dual_lshlrev_b32 v1, 2, v0
	s_mov_b32 s14, exec_lo
	s_delay_alu instid0(VALU_DEP_1)
	v_cmpx_gt_i64_e64 s[4:5], v[1:2]
	s_cbranch_execz .LBB306_4
; %bb.2:
	s_load_b32 s15, s[0:1], 0xc5c
	v_lshlrev_b32_e32 v4, 3, v0
	v_lshlrev_b32_e32 v3, 4, v0
	s_waitcnt lgkmcnt(0)
	s_and_b32 s16, s15, 0xffff
	s_delay_alu instid0(SALU_CYCLE_1)
	s_lshl_b32 s15, s16, 2
	s_add_u32 s17, s2, s10
	s_addc_u32 s11, s3, s11
	s_lshl_b64 s[2:3], s[8:9], 17
	s_lshl_b32 s10, s16, 4
	s_add_u32 s2, s6, s2
	s_addc_u32 s3, s7, s3
	v_add_co_u32 v5, s2, s2, v4
	s_delay_alu instid0(VALU_DEP_1) | instskip(SKIP_1) | instid1(VALU_DEP_3)
	v_add_co_ci_u32_e64 v6, null, s3, 0, s2
	v_add_co_u32 v3, s2, s17, v3
	v_add_co_u32 v5, vcc_lo, v5, 4
	v_add_lshl_u32 v1, v0, s16, 2
	v_add_co_ci_u32_e64 v4, null, s11, 0, s2
	v_add_co_ci_u32_e32 v6, vcc_lo, 0, v6, vcc_lo
	s_mov_b32 s11, 0
	s_lshl_b32 s16, s16, 3
	.p2align	6
.LBB306_3:                              ; =>This Inner Loop Header: Depth=1
	global_load_b128 v[7:10], v[3:4], off
	v_cmp_le_i64_e32 vcc_lo, s[4:5], v[1:2]
	v_cmp_lt_u64_e64 s2, 0xffff, v[1:2]
	v_add_co_u32 v1, s3, v1, s15
	s_delay_alu instid0(VALU_DEP_1) | instskip(SKIP_1) | instid1(VALU_DEP_4)
	v_add_co_ci_u32_e64 v2, s3, 0, v2, s3
	v_add_co_u32 v3, s3, v3, s10
	s_or_b32 s2, vcc_lo, s2
	v_add_co_ci_u32_e64 v4, s3, 0, v4, s3
	s_and_b32 s2, exec_lo, s2
	s_delay_alu instid0(SALU_CYCLE_1)
	s_or_b32 s11, s2, s11
	s_waitcnt vmcnt(0)
	v_cvt_f16_f32_e32 v7, v7
	v_cvt_f16_f32_e32 v9, v9
	;; [unrolled: 1-line block ×4, first 2 shown]
	s_delay_alu instid0(VALU_DEP_2) | instskip(NEXT) | instid1(VALU_DEP_2)
	v_pack_b32_f16 v8, v9, v10
	v_pack_b32_f16 v7, v7, v11
	global_store_b64 v[5:6], v[7:8], off offset:-4
	v_add_co_u32 v5, vcc_lo, v5, s16
	v_add_co_ci_u32_e32 v6, vcc_lo, 0, v6, vcc_lo
	s_and_not1_b32 exec_lo, exec_lo, s11
	s_cbranch_execnz .LBB306_3
.LBB306_4:
	s_or_b32 exec_lo, exec_lo, s14
	s_mov_b32 s14, 0
.LBB306_5:
	s_delay_alu instid0(SALU_CYCLE_1)
	s_and_not1_b32 vcc_lo, exec_lo, s14
	s_cbranch_vccnz .LBB306_25
; %bb.6:
	v_cmp_lt_i64_e64 s2, s[4:5], 1
	s_delay_alu instid0(VALU_DEP_1)
	s_and_b32 vcc_lo, exec_lo, s2
	s_cbranch_vccnz .LBB306_25
; %bb.7:
	s_load_b32 s0, s[0:1], 0xc5c
	v_cmp_gt_u64_e64 s1, 0x10000, s[4:5]
	v_dual_mov_b32 v2, 0 :: v_dual_lshlrev_b32 v5, 1, v0
	v_lshlrev_b32_e32 v1, 2, v0
                                        ; implicit-def: $vgpr25
                                        ; implicit-def: $vgpr26
                                        ; implicit-def: $vgpr27
                                        ; implicit-def: $vgpr28
	s_waitcnt lgkmcnt(0)
	s_and_b32 s0, s0, 0xffff
	s_delay_alu instid0(VALU_DEP_3)
	s_and_b32 s1, s1, exec_lo
	s_cselect_b32 s3, s5, 0
	s_cselect_b32 s2, s4, 0x10000
	s_lshl_b64 s[8:9], s[8:9], 17
	s_lshl_b32 s11, s0, 1
	s_lshl_b32 s1, s0, 2
	;; [unrolled: 1-line block ×3, first 2 shown]
	s_add_u32 s6, s6, s8
	s_addc_u32 s7, s7, s9
	v_add_co_u32 v5, s9, s6, v5
	s_delay_alu instid0(VALU_DEP_1) | instskip(SKIP_3) | instid1(VALU_DEP_2)
	v_add_co_ci_u32_e64 v6, null, s7, 0, s9
	v_add_co_u32 v18, s9, v0, s0
	s_mul_i32 s14, s0, 3
	v_mad_u64_u32 v[3:4], null, s0, 12, v[1:2]
	v_lshlrev_b32_e32 v7, 1, v18
	v_add_co_u32 v2, s8, s14, v0
	s_delay_alu instid0(VALU_DEP_1)
	v_add_co_ci_u32_e64 v17, null, 0, 0, s8
	s_lshl_b32 s8, s0, 3
	v_add_co_ci_u32_e64 v21, null, 0, 0, s9
	v_add_co_u32 v19, s14, s8, v1
	v_add_co_u32 v22, s9, s11, v0
	;; [unrolled: 1-line block ×3, first 2 shown]
	v_add_co_ci_u32_e64 v20, null, 0, 0, s14
	v_add_co_ci_u32_e64 v23, null, 0, 0, s9
	v_lshlrev_b32_e32 v24, 2, v18
	v_add_co_ci_u32_e64 v8, null, s7, 0, s6
	s_mul_i32 s9, s0, 6
	s_mov_b64 s[6:7], 0
	s_branch .LBB306_9
.LBB306_8:                              ;   in Loop: Header=BB306_9 Depth=1
	s_or_b32 exec_lo, exec_lo, s0
	s_add_u32 s6, s6, s1
	s_addc_u32 s7, s7, 0
	v_add_co_u32 v5, vcc_lo, v5, s8
	v_cmp_ge_i64_e64 s0, s[6:7], s[4:5]
	v_cmp_lt_u64_e64 s11, 0xffff, s[6:7]
	v_add_co_ci_u32_e32 v6, vcc_lo, 0, v6, vcc_lo
	v_add_co_u32 v7, vcc_lo, v7, s8
	v_add_co_ci_u32_e32 v8, vcc_lo, 0, v8, vcc_lo
	s_delay_alu instid0(VALU_DEP_4)
	s_or_b32 s0, s0, s11
	s_add_u32 s12, s12, s10
	s_addc_u32 s13, s13, 0
	s_and_b32 vcc_lo, exec_lo, s0
	s_cbranch_vccnz .LBB306_25
.LBB306_9:                              ; =>This Inner Loop Header: Depth=1
	v_add_co_u32 v9, s0, v0, s6
	s_delay_alu instid0(VALU_DEP_1) | instskip(NEXT) | instid1(VALU_DEP_1)
	v_add_co_ci_u32_e64 v10, null, 0, s7, s0
	v_cmp_gt_i64_e32 vcc_lo, s[4:5], v[9:10]
	v_cmp_gt_u64_e64 s0, 0x10000, v[9:10]
	s_delay_alu instid0(VALU_DEP_1) | instskip(NEXT) | instid1(SALU_CYCLE_1)
	s_and_b32 s11, vcc_lo, s0
	s_and_saveexec_b32 s0, s11
	s_cbranch_execz .LBB306_11
; %bb.10:                               ;   in Loop: Header=BB306_9 Depth=1
	v_add_co_u32 v11, s11, s12, v1
	s_delay_alu instid0(VALU_DEP_1)
	v_add_co_ci_u32_e64 v12, null, s13, 0, s11
	global_load_b32 v28, v[11:12], off
.LBB306_11:                             ;   in Loop: Header=BB306_9 Depth=1
	s_or_b32 exec_lo, exec_lo, s0
	v_add_co_u32 v11, vcc_lo, v18, s6
	v_add_co_ci_u32_e32 v12, vcc_lo, s7, v21, vcc_lo
	s_delay_alu instid0(VALU_DEP_1) | instskip(SKIP_1) | instid1(VALU_DEP_1)
	v_cmp_gt_i64_e32 vcc_lo, s[4:5], v[11:12]
	v_cmp_gt_u64_e64 s0, 0x10000, v[11:12]
	s_and_b32 s11, vcc_lo, s0
	s_delay_alu instid0(SALU_CYCLE_1)
	s_and_saveexec_b32 s0, s11
	s_cbranch_execz .LBB306_13
; %bb.12:                               ;   in Loop: Header=BB306_9 Depth=1
	v_add_co_u32 v13, s11, s12, v24
	s_delay_alu instid0(VALU_DEP_1)
	v_add_co_ci_u32_e64 v14, null, s13, 0, s11
	global_load_b32 v27, v[13:14], off
.LBB306_13:                             ;   in Loop: Header=BB306_9 Depth=1
	s_or_b32 exec_lo, exec_lo, s0
	v_add_co_u32 v13, vcc_lo, v22, s6
	v_add_co_ci_u32_e32 v14, vcc_lo, s7, v23, vcc_lo
	s_delay_alu instid0(VALU_DEP_1) | instskip(SKIP_1) | instid1(VALU_DEP_1)
	v_cmp_gt_i64_e32 vcc_lo, s[4:5], v[13:14]
	v_cmp_gt_u64_e64 s0, 0x10000, v[13:14]
	s_and_b32 s11, vcc_lo, s0
	s_delay_alu instid0(SALU_CYCLE_1)
	s_and_saveexec_b32 s0, s11
	s_cbranch_execz .LBB306_15
; %bb.14:                               ;   in Loop: Header=BB306_9 Depth=1
	v_add_co_u32 v15, vcc_lo, s12, v19
	v_add_co_ci_u32_e32 v16, vcc_lo, s13, v20, vcc_lo
	global_load_b32 v26, v[15:16], off
.LBB306_15:                             ;   in Loop: Header=BB306_9 Depth=1
	s_or_b32 exec_lo, exec_lo, s0
	v_add_co_u32 v15, vcc_lo, v2, s6
	v_add_co_ci_u32_e32 v16, vcc_lo, s7, v17, vcc_lo
	s_delay_alu instid0(VALU_DEP_1) | instskip(SKIP_1) | instid1(VALU_DEP_1)
	v_cmp_gt_i64_e32 vcc_lo, s[4:5], v[15:16]
	v_cmp_gt_u64_e64 s0, 0x10000, v[15:16]
	s_and_b32 s11, vcc_lo, s0
	s_delay_alu instid0(SALU_CYCLE_1)
	s_and_saveexec_b32 s0, s11
	s_cbranch_execnz .LBB306_20
; %bb.16:                               ;   in Loop: Header=BB306_9 Depth=1
	s_or_b32 exec_lo, exec_lo, s0
	s_delay_alu instid0(SALU_CYCLE_1)
	s_mov_b32 s0, exec_lo
	v_cmpx_gt_u64_e64 s[2:3], v[9:10]
	s_cbranch_execnz .LBB306_21
.LBB306_17:                             ;   in Loop: Header=BB306_9 Depth=1
	s_or_b32 exec_lo, exec_lo, s0
	s_delay_alu instid0(SALU_CYCLE_1)
	s_mov_b32 s0, exec_lo
	v_cmpx_gt_u64_e64 s[2:3], v[11:12]
	s_cbranch_execnz .LBB306_22
.LBB306_18:                             ;   in Loop: Header=BB306_9 Depth=1
	s_or_b32 exec_lo, exec_lo, s0
	s_delay_alu instid0(SALU_CYCLE_1)
	s_mov_b32 s0, exec_lo
	v_cmpx_gt_u64_e64 s[2:3], v[13:14]
	s_cbranch_execnz .LBB306_23
.LBB306_19:                             ;   in Loop: Header=BB306_9 Depth=1
	s_or_b32 exec_lo, exec_lo, s0
	s_delay_alu instid0(SALU_CYCLE_1)
	s_mov_b32 s0, exec_lo
	v_cmpx_gt_u64_e64 s[2:3], v[15:16]
	s_cbranch_execz .LBB306_8
	s_branch .LBB306_24
.LBB306_20:                             ;   in Loop: Header=BB306_9 Depth=1
	v_add_co_u32 v29, vcc_lo, s12, v3
	v_add_co_ci_u32_e32 v30, vcc_lo, s13, v4, vcc_lo
	global_load_b32 v25, v[29:30], off
	s_or_b32 exec_lo, exec_lo, s0
	s_delay_alu instid0(SALU_CYCLE_1)
	s_mov_b32 s0, exec_lo
	v_cmpx_gt_u64_e64 s[2:3], v[9:10]
	s_cbranch_execz .LBB306_17
.LBB306_21:                             ;   in Loop: Header=BB306_9 Depth=1
	s_waitcnt vmcnt(0)
	v_cvt_f16_f32_e32 v9, v28
	global_store_b16 v[5:6], v9, off
	s_or_b32 exec_lo, exec_lo, s0
	s_delay_alu instid0(SALU_CYCLE_1)
	s_mov_b32 s0, exec_lo
	v_cmpx_gt_u64_e64 s[2:3], v[11:12]
	s_cbranch_execz .LBB306_18
.LBB306_22:                             ;   in Loop: Header=BB306_9 Depth=1
	s_waitcnt vmcnt(0)
	v_cvt_f16_f32_e32 v9, v27
	global_store_b16 v[7:8], v9, off
	s_or_b32 exec_lo, exec_lo, s0
	s_delay_alu instid0(SALU_CYCLE_1)
	s_mov_b32 s0, exec_lo
	v_cmpx_gt_u64_e64 s[2:3], v[13:14]
	s_cbranch_execz .LBB306_19
.LBB306_23:                             ;   in Loop: Header=BB306_9 Depth=1
	v_add_co_u32 v9, vcc_lo, v5, s1
	s_waitcnt vmcnt(0)
	v_cvt_f16_f32_e32 v11, v26
	v_add_co_ci_u32_e32 v10, vcc_lo, 0, v6, vcc_lo
	global_store_b16 v[9:10], v11, off
	s_or_b32 exec_lo, exec_lo, s0
	s_delay_alu instid0(SALU_CYCLE_1)
	s_mov_b32 s0, exec_lo
	v_cmpx_gt_u64_e64 s[2:3], v[15:16]
	s_cbranch_execz .LBB306_8
.LBB306_24:                             ;   in Loop: Header=BB306_9 Depth=1
	v_add_co_u32 v9, vcc_lo, v5, s9
	s_waitcnt vmcnt(0)
	v_cvt_f16_f32_e32 v11, v25
	v_add_co_ci_u32_e32 v10, vcc_lo, 0, v6, vcc_lo
	global_store_b16 v[9:10], v11, off
	s_branch .LBB306_8
.LBB306_25:
	s_nop 0
	s_sendmsg sendmsg(MSG_DEALLOC_VGPRS)
	s_endpgm
	.section	.rodata,"a",@progbits
	.p2align	6, 0x0
	.amdhsa_kernel _ZN2at6native12_GLOBAL__N_125multi_tensor_apply_kernelINS1_18TensorListMetadataILi2EEENS1_11CopyFunctorIN3c104HalfEfLi2ELi1ELi1EEEJNS0_4CopyIS7_fEEEEEvT_T0_DpT1_
		.amdhsa_group_segment_fixed_size 0
		.amdhsa_private_segment_fixed_size 0
		.amdhsa_kernarg_size 3408
		.amdhsa_user_sgpr_count 15
		.amdhsa_user_sgpr_dispatch_ptr 0
		.amdhsa_user_sgpr_queue_ptr 0
		.amdhsa_user_sgpr_kernarg_segment_ptr 1
		.amdhsa_user_sgpr_dispatch_id 0
		.amdhsa_user_sgpr_private_segment_size 0
		.amdhsa_wavefront_size32 1
		.amdhsa_uses_dynamic_stack 0
		.amdhsa_enable_private_segment 0
		.amdhsa_system_sgpr_workgroup_id_x 1
		.amdhsa_system_sgpr_workgroup_id_y 0
		.amdhsa_system_sgpr_workgroup_id_z 0
		.amdhsa_system_sgpr_workgroup_info 0
		.amdhsa_system_vgpr_workitem_id 0
		.amdhsa_next_free_vgpr 31
		.amdhsa_next_free_sgpr 20
		.amdhsa_reserve_vcc 1
		.amdhsa_float_round_mode_32 0
		.amdhsa_float_round_mode_16_64 0
		.amdhsa_float_denorm_mode_32 3
		.amdhsa_float_denorm_mode_16_64 3
		.amdhsa_dx10_clamp 1
		.amdhsa_ieee_mode 1
		.amdhsa_fp16_overflow 0
		.amdhsa_workgroup_processor_mode 1
		.amdhsa_memory_ordered 1
		.amdhsa_forward_progress 0
		.amdhsa_shared_vgpr_count 0
		.amdhsa_exception_fp_ieee_invalid_op 0
		.amdhsa_exception_fp_denorm_src 0
		.amdhsa_exception_fp_ieee_div_zero 0
		.amdhsa_exception_fp_ieee_overflow 0
		.amdhsa_exception_fp_ieee_underflow 0
		.amdhsa_exception_fp_ieee_inexact 0
		.amdhsa_exception_int_div_zero 0
	.end_amdhsa_kernel
	.section	.text._ZN2at6native12_GLOBAL__N_125multi_tensor_apply_kernelINS1_18TensorListMetadataILi2EEENS1_11CopyFunctorIN3c104HalfEfLi2ELi1ELi1EEEJNS0_4CopyIS7_fEEEEEvT_T0_DpT1_,"axG",@progbits,_ZN2at6native12_GLOBAL__N_125multi_tensor_apply_kernelINS1_18TensorListMetadataILi2EEENS1_11CopyFunctorIN3c104HalfEfLi2ELi1ELi1EEEJNS0_4CopyIS7_fEEEEEvT_T0_DpT1_,comdat
.Lfunc_end306:
	.size	_ZN2at6native12_GLOBAL__N_125multi_tensor_apply_kernelINS1_18TensorListMetadataILi2EEENS1_11CopyFunctorIN3c104HalfEfLi2ELi1ELi1EEEJNS0_4CopyIS7_fEEEEEvT_T0_DpT1_, .Lfunc_end306-_ZN2at6native12_GLOBAL__N_125multi_tensor_apply_kernelINS1_18TensorListMetadataILi2EEENS1_11CopyFunctorIN3c104HalfEfLi2ELi1ELi1EEEJNS0_4CopyIS7_fEEEEEvT_T0_DpT1_
                                        ; -- End function
	.section	.AMDGPU.csdata,"",@progbits
; Kernel info:
; codeLenInByte = 1416
; NumSgprs: 22
; NumVgprs: 31
; ScratchSize: 0
; MemoryBound: 0
; FloatMode: 240
; IeeeMode: 1
; LDSByteSize: 0 bytes/workgroup (compile time only)
; SGPRBlocks: 2
; VGPRBlocks: 3
; NumSGPRsForWavesPerEU: 22
; NumVGPRsForWavesPerEU: 31
; Occupancy: 16
; WaveLimiterHint : 0
; COMPUTE_PGM_RSRC2:SCRATCH_EN: 0
; COMPUTE_PGM_RSRC2:USER_SGPR: 15
; COMPUTE_PGM_RSRC2:TRAP_HANDLER: 0
; COMPUTE_PGM_RSRC2:TGID_X_EN: 1
; COMPUTE_PGM_RSRC2:TGID_Y_EN: 0
; COMPUTE_PGM_RSRC2:TGID_Z_EN: 0
; COMPUTE_PGM_RSRC2:TIDIG_COMP_CNT: 0
	.section	.text._ZN2at6native12_GLOBAL__N_125multi_tensor_apply_kernelINS1_18TensorListMetadataILi2EEENS1_11CopyFunctorIN3c104HalfENS6_7complexIdEELi2ELi1ELi1EEEJNS0_4CopyIS7_S9_EEEEEvT_T0_DpT1_,"axG",@progbits,_ZN2at6native12_GLOBAL__N_125multi_tensor_apply_kernelINS1_18TensorListMetadataILi2EEENS1_11CopyFunctorIN3c104HalfENS6_7complexIdEELi2ELi1ELi1EEEJNS0_4CopyIS7_S9_EEEEEvT_T0_DpT1_,comdat
	.globl	_ZN2at6native12_GLOBAL__N_125multi_tensor_apply_kernelINS1_18TensorListMetadataILi2EEENS1_11CopyFunctorIN3c104HalfENS6_7complexIdEELi2ELi1ELi1EEEJNS0_4CopyIS7_S9_EEEEEvT_T0_DpT1_ ; -- Begin function _ZN2at6native12_GLOBAL__N_125multi_tensor_apply_kernelINS1_18TensorListMetadataILi2EEENS1_11CopyFunctorIN3c104HalfENS6_7complexIdEELi2ELi1ELi1EEEJNS0_4CopyIS7_S9_EEEEEvT_T0_DpT1_
	.p2align	8
	.type	_ZN2at6native12_GLOBAL__N_125multi_tensor_apply_kernelINS1_18TensorListMetadataILi2EEENS1_11CopyFunctorIN3c104HalfENS6_7complexIdEELi2ELi1ELi1EEEJNS0_4CopyIS7_S9_EEEEEvT_T0_DpT1_,@function
_ZN2at6native12_GLOBAL__N_125multi_tensor_apply_kernelINS1_18TensorListMetadataILi2EEENS1_11CopyFunctorIN3c104HalfENS6_7complexIdEELi2ELi1ELi1EEEJNS0_4CopyIS7_S9_EEEEEvT_T0_DpT1_: ; @_ZN2at6native12_GLOBAL__N_125multi_tensor_apply_kernelINS1_18TensorListMetadataILi2EEENS1_11CopyFunctorIN3c104HalfENS6_7complexIdEELi2ELi1ELi1EEEJNS0_4CopyIS7_S9_EEEEEvT_T0_DpT1_
; %bb.0:
	v_mov_b32_e32 v1, s15
	s_add_u32 s2, s0, s15
	s_mul_hi_u32 s3, s15, 3
	s_mul_i32 s15, s15, 3
	s_addc_u32 s4, s1, 0
	global_load_u8 v1, v1, s[0:1] offset:1536
	s_add_u32 s2, s2, s15
	s_addc_u32 s3, s4, s3
	s_mov_b32 s15, 0
	s_load_b32 s8, s[2:3], 0x740
	s_waitcnt lgkmcnt(0)
	s_ashr_i32 s9, s8, 31
	s_delay_alu instid0(SALU_CYCLE_1) | instskip(SKIP_3) | instid1(VALU_DEP_1)
	s_lshl_b64 s[10:11], s[8:9], 20
	s_lshl_b64 s[16:17], s[8:9], 16
	s_waitcnt vmcnt(0)
	v_readfirstlane_b32 s5, v1
	s_lshl_b32 s4, s5, 3
	s_clause 0x2
	s_load_b64 s[2:3], s[0:1], s4 offset:0x0
	s_load_b64 s[6:7], s[0:1], s4 offset:0x200
	;; [unrolled: 1-line block ×3, first 2 shown]
	s_waitcnt lgkmcnt(0)
	s_add_u32 s12, s2, s10
	s_addc_u32 s13, s3, s11
	s_and_b32 s18, s6, 7
	s_and_b32 s19, s4, 3
	;; [unrolled: 1-line block ×3, first 2 shown]
	s_or_b32 s18, s19, s18
	s_mov_b32 s19, s15
	s_delay_alu instid0(SALU_CYCLE_1)
	s_or_b64 s[14:15], s[14:15], s[18:19]
	s_sub_u32 s4, s4, s16
	s_subb_u32 s5, s5, s17
	s_cmp_eq_u64 s[14:15], 0
	s_mov_b32 s14, -1
	s_cbranch_scc0 .LBB307_5
; %bb.1:
	v_dual_mov_b32 v2, 0 :: v_dual_lshlrev_b32 v1, 2, v0
	s_mov_b32 s14, exec_lo
	s_delay_alu instid0(VALU_DEP_1)
	v_cmpx_gt_i64_e64 s[4:5], v[1:2]
	s_cbranch_execz .LBB307_4
; %bb.2:
	s_load_b32 s15, s[0:1], 0xc5c
	v_lshlrev_b32_e32 v4, 3, v0
	v_lshlrev_b32_e32 v3, 6, v0
	s_waitcnt lgkmcnt(0)
	s_and_b32 s16, s15, 0xffff
	s_delay_alu instid0(SALU_CYCLE_1)
	s_lshl_b32 s15, s16, 2
	s_add_u32 s17, s2, s10
	s_addc_u32 s11, s3, s11
	s_lshl_b64 s[2:3], s[8:9], 17
	s_lshl_b32 s10, s16, 6
	s_add_u32 s2, s6, s2
	s_addc_u32 s3, s7, s3
	v_add_co_u32 v5, s2, s2, v4
	s_delay_alu instid0(VALU_DEP_1) | instskip(SKIP_1) | instid1(VALU_DEP_3)
	v_add_co_ci_u32_e64 v6, null, s3, 0, s2
	v_add_co_u32 v3, s2, s17, v3
	v_add_co_u32 v5, vcc_lo, v5, 4
	v_add_lshl_u32 v1, v0, s16, 2
	v_add_co_ci_u32_e64 v4, null, s11, 0, s2
	v_add_co_ci_u32_e32 v6, vcc_lo, 0, v6, vcc_lo
	s_mov_b32 s11, 0
	s_lshl_b32 s16, s16, 3
	s_set_inst_prefetch_distance 0x1
	.p2align	6
.LBB307_3:                              ; =>This Inner Loop Header: Depth=1
	s_clause 0x3
	global_load_b64 v[7:8], v[3:4], off
	global_load_b64 v[9:10], v[3:4], off offset:32
	global_load_b64 v[11:12], v[3:4], off offset:48
	;; [unrolled: 1-line block ×3, first 2 shown]
	v_cmp_le_i64_e32 vcc_lo, s[4:5], v[1:2]
	v_cmp_lt_u64_e64 s2, 0xffff, v[1:2]
	v_add_co_u32 v1, s3, v1, s15
	s_delay_alu instid0(VALU_DEP_1) | instskip(SKIP_1) | instid1(VALU_DEP_4)
	v_add_co_ci_u32_e64 v2, s3, 0, v2, s3
	v_add_co_u32 v3, s3, v3, s10
	s_or_b32 s2, vcc_lo, s2
	v_add_co_ci_u32_e64 v4, s3, 0, v4, s3
	s_and_b32 s2, exec_lo, s2
	s_delay_alu instid0(SALU_CYCLE_1)
	s_or_b32 s11, s2, s11
	s_waitcnt vmcnt(3)
	v_cvt_f32_f64_e32 v7, v[7:8]
	s_waitcnt vmcnt(2)
	v_cvt_f32_f64_e32 v8, v[9:10]
	;; [unrolled: 2-line block ×4, first 2 shown]
	s_delay_alu instid0(VALU_DEP_4) | instskip(NEXT) | instid1(VALU_DEP_4)
	v_cvt_f16_f32_e32 v7, v7
	v_cvt_f16_f32_e32 v8, v8
	s_delay_alu instid0(VALU_DEP_4) | instskip(NEXT) | instid1(VALU_DEP_4)
	v_cvt_f16_f32_e32 v9, v9
	v_cvt_f16_f32_e32 v10, v10
	s_delay_alu instid0(VALU_DEP_2) | instskip(NEXT) | instid1(VALU_DEP_2)
	v_pack_b32_f16 v8, v8, v9
	v_pack_b32_f16 v7, v7, v10
	global_store_b64 v[5:6], v[7:8], off offset:-4
	v_add_co_u32 v5, vcc_lo, v5, s16
	v_add_co_ci_u32_e32 v6, vcc_lo, 0, v6, vcc_lo
	s_and_not1_b32 exec_lo, exec_lo, s11
	s_cbranch_execnz .LBB307_3
.LBB307_4:
	s_set_inst_prefetch_distance 0x2
	s_or_b32 exec_lo, exec_lo, s14
	s_mov_b32 s14, 0
.LBB307_5:
	s_delay_alu instid0(SALU_CYCLE_1)
	s_and_not1_b32 vcc_lo, exec_lo, s14
	s_cbranch_vccnz .LBB307_25
; %bb.6:
	v_cmp_lt_i64_e64 s2, s[4:5], 1
	s_delay_alu instid0(VALU_DEP_1)
	s_and_b32 vcc_lo, exec_lo, s2
	s_cbranch_vccnz .LBB307_25
; %bb.7:
	s_load_b32 s0, s[0:1], 0xc5c
	v_cmp_gt_u64_e64 s1, 0x10000, s[4:5]
	v_lshlrev_b32_e32 v5, 1, v0
	v_mov_b32_e32 v9, 0
	v_mov_b32_e32 v10, 0
	v_dual_mov_b32 v2, 0 :: v_dual_lshlrev_b32 v1, 4, v0
	s_delay_alu instid0(VALU_DEP_2)
	v_dual_mov_b32 v12, v10 :: v_dual_mov_b32 v11, v9
	v_dual_mov_b32 v14, v10 :: v_dual_mov_b32 v13, v9
	;; [unrolled: 1-line block ×3, first 2 shown]
	s_waitcnt lgkmcnt(0)
	s_and_b32 s0, s0, 0xffff
	s_and_b32 s1, s1, exec_lo
	s_cselect_b32 s3, s5, 0
	s_cselect_b32 s2, s4, 0x10000
	s_lshl_b64 s[8:9], s[8:9], 17
	s_lshl_b32 s11, s0, 1
	s_lshl_b32 s1, s0, 2
	;; [unrolled: 1-line block ×3, first 2 shown]
	s_add_u32 s6, s6, s8
	s_addc_u32 s7, s7, s9
	v_add_co_u32 v5, s9, s6, v5
	s_delay_alu instid0(VALU_DEP_1) | instskip(SKIP_4) | instid1(VALU_DEP_3)
	v_add_co_ci_u32_e64 v6, null, s7, 0, s9
	v_add_co_u32 v26, s9, v0, s0
	s_mul_i32 s14, s0, 3
	v_mad_u64_u32 v[3:4], null, s0, 48, v[1:2]
	v_add_co_u32 v2, s8, s14, v0
	v_lshlrev_b32_e32 v7, 1, v26
	v_add_co_ci_u32_e64 v25, null, 0, 0, s8
	s_lshl_b32 s8, s0, 5
	v_add_co_ci_u32_e64 v29, null, 0, 0, s9
	v_add_co_u32 v27, s8, s8, v1
	s_delay_alu instid0(VALU_DEP_1)
	v_add_co_ci_u32_e64 v28, null, 0, 0, s8
	v_add_co_u32 v30, s8, s11, v0
	v_add_co_u32 v7, s6, s6, v7
	v_add_co_ci_u32_e64 v31, null, 0, 0, s8
	v_lshlrev_b32_e32 v32, 4, v26
	v_add_co_ci_u32_e64 v8, null, s7, 0, s6
	s_lshl_b32 s8, s0, 3
	s_mul_i32 s9, s0, 6
	s_mov_b64 s[6:7], 0
	s_branch .LBB307_9
.LBB307_8:                              ;   in Loop: Header=BB307_9 Depth=1
	s_or_b32 exec_lo, exec_lo, s0
	s_add_u32 s6, s6, s1
	s_addc_u32 s7, s7, 0
	v_add_co_u32 v5, vcc_lo, v5, s8
	v_cmp_ge_i64_e64 s0, s[6:7], s[4:5]
	v_cmp_lt_u64_e64 s11, 0xffff, s[6:7]
	v_add_co_ci_u32_e32 v6, vcc_lo, 0, v6, vcc_lo
	v_add_co_u32 v7, vcc_lo, v7, s8
	v_add_co_ci_u32_e32 v8, vcc_lo, 0, v8, vcc_lo
	s_delay_alu instid0(VALU_DEP_4)
	s_or_b32 s0, s0, s11
	s_add_u32 s12, s12, s10
	s_addc_u32 s13, s13, 0
	s_and_b32 vcc_lo, exec_lo, s0
	s_cbranch_vccnz .LBB307_25
.LBB307_9:                              ; =>This Inner Loop Header: Depth=1
	v_add_co_u32 v17, s0, v0, s6
	s_delay_alu instid0(VALU_DEP_1) | instskip(NEXT) | instid1(VALU_DEP_1)
	v_add_co_ci_u32_e64 v18, null, 0, s7, s0
	v_cmp_gt_i64_e32 vcc_lo, s[4:5], v[17:18]
	v_cmp_gt_u64_e64 s0, 0x10000, v[17:18]
	s_delay_alu instid0(VALU_DEP_1) | instskip(NEXT) | instid1(SALU_CYCLE_1)
	s_and_b32 s11, vcc_lo, s0
	s_and_saveexec_b32 s0, s11
	s_cbranch_execz .LBB307_11
; %bb.10:                               ;   in Loop: Header=BB307_9 Depth=1
	s_waitcnt vmcnt(0)
	v_add_co_u32 v15, s11, s12, v1
	s_delay_alu instid0(VALU_DEP_1)
	v_add_co_ci_u32_e64 v16, null, s13, 0, s11
	global_load_b64 v[15:16], v[15:16], off
.LBB307_11:                             ;   in Loop: Header=BB307_9 Depth=1
	s_or_b32 exec_lo, exec_lo, s0
	v_add_co_u32 v19, vcc_lo, v26, s6
	v_add_co_ci_u32_e32 v20, vcc_lo, s7, v29, vcc_lo
	s_delay_alu instid0(VALU_DEP_1) | instskip(SKIP_1) | instid1(VALU_DEP_1)
	v_cmp_gt_i64_e32 vcc_lo, s[4:5], v[19:20]
	v_cmp_gt_u64_e64 s0, 0x10000, v[19:20]
	s_and_b32 s11, vcc_lo, s0
	s_delay_alu instid0(SALU_CYCLE_1)
	s_and_saveexec_b32 s0, s11
	s_cbranch_execz .LBB307_13
; %bb.12:                               ;   in Loop: Header=BB307_9 Depth=1
	s_waitcnt vmcnt(0)
	v_add_co_u32 v13, s11, s12, v32
	s_delay_alu instid0(VALU_DEP_1)
	v_add_co_ci_u32_e64 v14, null, s13, 0, s11
	global_load_b64 v[13:14], v[13:14], off
.LBB307_13:                             ;   in Loop: Header=BB307_9 Depth=1
	s_or_b32 exec_lo, exec_lo, s0
	v_add_co_u32 v21, vcc_lo, v30, s6
	v_add_co_ci_u32_e32 v22, vcc_lo, s7, v31, vcc_lo
	s_delay_alu instid0(VALU_DEP_1) | instskip(SKIP_1) | instid1(VALU_DEP_1)
	v_cmp_gt_i64_e32 vcc_lo, s[4:5], v[21:22]
	v_cmp_gt_u64_e64 s0, 0x10000, v[21:22]
	s_and_b32 s11, vcc_lo, s0
	s_delay_alu instid0(SALU_CYCLE_1)
	s_and_saveexec_b32 s0, s11
	s_cbranch_execz .LBB307_15
; %bb.14:                               ;   in Loop: Header=BB307_9 Depth=1
	s_waitcnt vmcnt(0)
	v_add_co_u32 v11, vcc_lo, s12, v27
	v_add_co_ci_u32_e32 v12, vcc_lo, s13, v28, vcc_lo
	global_load_b64 v[11:12], v[11:12], off
.LBB307_15:                             ;   in Loop: Header=BB307_9 Depth=1
	s_or_b32 exec_lo, exec_lo, s0
	v_add_co_u32 v23, vcc_lo, v2, s6
	v_add_co_ci_u32_e32 v24, vcc_lo, s7, v25, vcc_lo
	s_delay_alu instid0(VALU_DEP_1) | instskip(SKIP_1) | instid1(VALU_DEP_1)
	v_cmp_gt_i64_e32 vcc_lo, s[4:5], v[23:24]
	v_cmp_gt_u64_e64 s0, 0x10000, v[23:24]
	s_and_b32 s11, vcc_lo, s0
	s_delay_alu instid0(SALU_CYCLE_1)
	s_and_saveexec_b32 s0, s11
	s_cbranch_execnz .LBB307_20
; %bb.16:                               ;   in Loop: Header=BB307_9 Depth=1
	s_or_b32 exec_lo, exec_lo, s0
	s_delay_alu instid0(SALU_CYCLE_1)
	s_mov_b32 s0, exec_lo
	v_cmpx_gt_u64_e64 s[2:3], v[17:18]
	s_cbranch_execnz .LBB307_21
.LBB307_17:                             ;   in Loop: Header=BB307_9 Depth=1
	s_or_b32 exec_lo, exec_lo, s0
	s_delay_alu instid0(SALU_CYCLE_1)
	s_mov_b32 s0, exec_lo
	v_cmpx_gt_u64_e64 s[2:3], v[19:20]
	s_cbranch_execnz .LBB307_22
.LBB307_18:                             ;   in Loop: Header=BB307_9 Depth=1
	s_or_b32 exec_lo, exec_lo, s0
	s_delay_alu instid0(SALU_CYCLE_1)
	s_mov_b32 s0, exec_lo
	v_cmpx_gt_u64_e64 s[2:3], v[21:22]
	s_cbranch_execnz .LBB307_23
.LBB307_19:                             ;   in Loop: Header=BB307_9 Depth=1
	s_or_b32 exec_lo, exec_lo, s0
	s_delay_alu instid0(SALU_CYCLE_1)
	s_mov_b32 s0, exec_lo
	v_cmpx_gt_u64_e64 s[2:3], v[23:24]
	s_cbranch_execz .LBB307_8
	s_branch .LBB307_24
.LBB307_20:                             ;   in Loop: Header=BB307_9 Depth=1
	s_waitcnt vmcnt(0)
	v_add_co_u32 v9, vcc_lo, s12, v3
	v_add_co_ci_u32_e32 v10, vcc_lo, s13, v4, vcc_lo
	global_load_b64 v[9:10], v[9:10], off
	s_or_b32 exec_lo, exec_lo, s0
	s_delay_alu instid0(SALU_CYCLE_1)
	s_mov_b32 s0, exec_lo
	v_cmpx_gt_u64_e64 s[2:3], v[17:18]
	s_cbranch_execz .LBB307_17
.LBB307_21:                             ;   in Loop: Header=BB307_9 Depth=1
	s_waitcnt vmcnt(0)
	v_cvt_f32_f64_e32 v17, v[15:16]
	s_delay_alu instid0(VALU_DEP_1) | instskip(SKIP_2) | instid1(SALU_CYCLE_1)
	v_cvt_f16_f32_e32 v17, v17
	global_store_b16 v[5:6], v17, off
	s_or_b32 exec_lo, exec_lo, s0
	s_mov_b32 s0, exec_lo
	v_cmpx_gt_u64_e64 s[2:3], v[19:20]
	s_cbranch_execz .LBB307_18
.LBB307_22:                             ;   in Loop: Header=BB307_9 Depth=1
	s_waitcnt vmcnt(0)
	v_cvt_f32_f64_e32 v17, v[13:14]
	s_delay_alu instid0(VALU_DEP_1) | instskip(SKIP_2) | instid1(SALU_CYCLE_1)
	v_cvt_f16_f32_e32 v17, v17
	global_store_b16 v[7:8], v17, off
	s_or_b32 exec_lo, exec_lo, s0
	s_mov_b32 s0, exec_lo
	v_cmpx_gt_u64_e64 s[2:3], v[21:22]
	s_cbranch_execz .LBB307_19
.LBB307_23:                             ;   in Loop: Header=BB307_9 Depth=1
	s_waitcnt vmcnt(0)
	v_cvt_f32_f64_e32 v17, v[11:12]
	s_delay_alu instid0(VALU_DEP_1) | instskip(SKIP_4) | instid1(SALU_CYCLE_1)
	v_cvt_f16_f32_e32 v19, v17
	v_add_co_u32 v17, vcc_lo, v5, s1
	v_add_co_ci_u32_e32 v18, vcc_lo, 0, v6, vcc_lo
	global_store_b16 v[17:18], v19, off
	s_or_b32 exec_lo, exec_lo, s0
	s_mov_b32 s0, exec_lo
	v_cmpx_gt_u64_e64 s[2:3], v[23:24]
	s_cbranch_execz .LBB307_8
.LBB307_24:                             ;   in Loop: Header=BB307_9 Depth=1
	s_waitcnt vmcnt(0)
	v_cvt_f32_f64_e32 v17, v[9:10]
	s_delay_alu instid0(VALU_DEP_1)
	v_cvt_f16_f32_e32 v19, v17
	v_add_co_u32 v17, vcc_lo, v5, s9
	v_add_co_ci_u32_e32 v18, vcc_lo, 0, v6, vcc_lo
	global_store_b16 v[17:18], v19, off
	s_branch .LBB307_8
.LBB307_25:
	s_nop 0
	s_sendmsg sendmsg(MSG_DEALLOC_VGPRS)
	s_endpgm
	.section	.rodata,"a",@progbits
	.p2align	6, 0x0
	.amdhsa_kernel _ZN2at6native12_GLOBAL__N_125multi_tensor_apply_kernelINS1_18TensorListMetadataILi2EEENS1_11CopyFunctorIN3c104HalfENS6_7complexIdEELi2ELi1ELi1EEEJNS0_4CopyIS7_S9_EEEEEvT_T0_DpT1_
		.amdhsa_group_segment_fixed_size 0
		.amdhsa_private_segment_fixed_size 0
		.amdhsa_kernarg_size 3408
		.amdhsa_user_sgpr_count 15
		.amdhsa_user_sgpr_dispatch_ptr 0
		.amdhsa_user_sgpr_queue_ptr 0
		.amdhsa_user_sgpr_kernarg_segment_ptr 1
		.amdhsa_user_sgpr_dispatch_id 0
		.amdhsa_user_sgpr_private_segment_size 0
		.amdhsa_wavefront_size32 1
		.amdhsa_uses_dynamic_stack 0
		.amdhsa_enable_private_segment 0
		.amdhsa_system_sgpr_workgroup_id_x 1
		.amdhsa_system_sgpr_workgroup_id_y 0
		.amdhsa_system_sgpr_workgroup_id_z 0
		.amdhsa_system_sgpr_workgroup_info 0
		.amdhsa_system_vgpr_workitem_id 0
		.amdhsa_next_free_vgpr 33
		.amdhsa_next_free_sgpr 20
		.amdhsa_reserve_vcc 1
		.amdhsa_float_round_mode_32 0
		.amdhsa_float_round_mode_16_64 0
		.amdhsa_float_denorm_mode_32 3
		.amdhsa_float_denorm_mode_16_64 3
		.amdhsa_dx10_clamp 1
		.amdhsa_ieee_mode 1
		.amdhsa_fp16_overflow 0
		.amdhsa_workgroup_processor_mode 1
		.amdhsa_memory_ordered 1
		.amdhsa_forward_progress 0
		.amdhsa_shared_vgpr_count 0
		.amdhsa_exception_fp_ieee_invalid_op 0
		.amdhsa_exception_fp_denorm_src 0
		.amdhsa_exception_fp_ieee_div_zero 0
		.amdhsa_exception_fp_ieee_overflow 0
		.amdhsa_exception_fp_ieee_underflow 0
		.amdhsa_exception_fp_ieee_inexact 0
		.amdhsa_exception_int_div_zero 0
	.end_amdhsa_kernel
	.section	.text._ZN2at6native12_GLOBAL__N_125multi_tensor_apply_kernelINS1_18TensorListMetadataILi2EEENS1_11CopyFunctorIN3c104HalfENS6_7complexIdEELi2ELi1ELi1EEEJNS0_4CopyIS7_S9_EEEEEvT_T0_DpT1_,"axG",@progbits,_ZN2at6native12_GLOBAL__N_125multi_tensor_apply_kernelINS1_18TensorListMetadataILi2EEENS1_11CopyFunctorIN3c104HalfENS6_7complexIdEELi2ELi1ELi1EEEJNS0_4CopyIS7_S9_EEEEEvT_T0_DpT1_,comdat
.Lfunc_end307:
	.size	_ZN2at6native12_GLOBAL__N_125multi_tensor_apply_kernelINS1_18TensorListMetadataILi2EEENS1_11CopyFunctorIN3c104HalfENS6_7complexIdEELi2ELi1ELi1EEEJNS0_4CopyIS7_S9_EEEEEvT_T0_DpT1_, .Lfunc_end307-_ZN2at6native12_GLOBAL__N_125multi_tensor_apply_kernelINS1_18TensorListMetadataILi2EEENS1_11CopyFunctorIN3c104HalfENS6_7complexIdEELi2ELi1ELi1EEEJNS0_4CopyIS7_S9_EEEEEvT_T0_DpT1_
                                        ; -- End function
	.section	.AMDGPU.csdata,"",@progbits
; Kernel info:
; codeLenInByte = 1560
; NumSgprs: 22
; NumVgprs: 33
; ScratchSize: 0
; MemoryBound: 0
; FloatMode: 240
; IeeeMode: 1
; LDSByteSize: 0 bytes/workgroup (compile time only)
; SGPRBlocks: 2
; VGPRBlocks: 4
; NumSGPRsForWavesPerEU: 22
; NumVGPRsForWavesPerEU: 33
; Occupancy: 16
; WaveLimiterHint : 0
; COMPUTE_PGM_RSRC2:SCRATCH_EN: 0
; COMPUTE_PGM_RSRC2:USER_SGPR: 15
; COMPUTE_PGM_RSRC2:TRAP_HANDLER: 0
; COMPUTE_PGM_RSRC2:TGID_X_EN: 1
; COMPUTE_PGM_RSRC2:TGID_Y_EN: 0
; COMPUTE_PGM_RSRC2:TGID_Z_EN: 0
; COMPUTE_PGM_RSRC2:TIDIG_COMP_CNT: 0
	.section	.text._ZN2at6native12_GLOBAL__N_125multi_tensor_apply_kernelINS1_18TensorListMetadataILi2EEENS1_11CopyFunctorIN3c104HalfENS6_7complexIfEELi2ELi1ELi1EEEJNS0_4CopyIS7_S9_EEEEEvT_T0_DpT1_,"axG",@progbits,_ZN2at6native12_GLOBAL__N_125multi_tensor_apply_kernelINS1_18TensorListMetadataILi2EEENS1_11CopyFunctorIN3c104HalfENS6_7complexIfEELi2ELi1ELi1EEEJNS0_4CopyIS7_S9_EEEEEvT_T0_DpT1_,comdat
	.globl	_ZN2at6native12_GLOBAL__N_125multi_tensor_apply_kernelINS1_18TensorListMetadataILi2EEENS1_11CopyFunctorIN3c104HalfENS6_7complexIfEELi2ELi1ELi1EEEJNS0_4CopyIS7_S9_EEEEEvT_T0_DpT1_ ; -- Begin function _ZN2at6native12_GLOBAL__N_125multi_tensor_apply_kernelINS1_18TensorListMetadataILi2EEENS1_11CopyFunctorIN3c104HalfENS6_7complexIfEELi2ELi1ELi1EEEJNS0_4CopyIS7_S9_EEEEEvT_T0_DpT1_
	.p2align	8
	.type	_ZN2at6native12_GLOBAL__N_125multi_tensor_apply_kernelINS1_18TensorListMetadataILi2EEENS1_11CopyFunctorIN3c104HalfENS6_7complexIfEELi2ELi1ELi1EEEJNS0_4CopyIS7_S9_EEEEEvT_T0_DpT1_,@function
_ZN2at6native12_GLOBAL__N_125multi_tensor_apply_kernelINS1_18TensorListMetadataILi2EEENS1_11CopyFunctorIN3c104HalfENS6_7complexIfEELi2ELi1ELi1EEEJNS0_4CopyIS7_S9_EEEEEvT_T0_DpT1_: ; @_ZN2at6native12_GLOBAL__N_125multi_tensor_apply_kernelINS1_18TensorListMetadataILi2EEENS1_11CopyFunctorIN3c104HalfENS6_7complexIfEELi2ELi1ELi1EEEJNS0_4CopyIS7_S9_EEEEEvT_T0_DpT1_
; %bb.0:
	v_mov_b32_e32 v1, s15
	s_add_u32 s2, s0, s15
	s_mul_hi_u32 s3, s15, 3
	s_mul_i32 s15, s15, 3
	s_addc_u32 s4, s1, 0
	global_load_u8 v1, v1, s[0:1] offset:1536
	s_add_u32 s2, s2, s15
	s_addc_u32 s3, s4, s3
	s_mov_b32 s15, 0
	s_load_b32 s8, s[2:3], 0x740
	s_waitcnt lgkmcnt(0)
	s_ashr_i32 s9, s8, 31
	s_delay_alu instid0(SALU_CYCLE_1) | instskip(SKIP_3) | instid1(VALU_DEP_1)
	s_lshl_b64 s[10:11], s[8:9], 19
	s_lshl_b64 s[16:17], s[8:9], 16
	s_waitcnt vmcnt(0)
	v_readfirstlane_b32 s5, v1
	s_lshl_b32 s4, s5, 3
	s_clause 0x2
	s_load_b64 s[2:3], s[0:1], s4 offset:0x0
	s_load_b64 s[6:7], s[0:1], s4 offset:0x200
	;; [unrolled: 1-line block ×3, first 2 shown]
	s_waitcnt lgkmcnt(0)
	s_add_u32 s12, s2, s10
	s_addc_u32 s13, s3, s11
	s_and_b32 s18, s6, 7
	s_and_b32 s19, s4, 3
	;; [unrolled: 1-line block ×3, first 2 shown]
	s_or_b32 s18, s19, s18
	s_mov_b32 s19, s15
	s_delay_alu instid0(SALU_CYCLE_1)
	s_or_b64 s[14:15], s[14:15], s[18:19]
	s_sub_u32 s4, s4, s16
	s_subb_u32 s5, s5, s17
	s_cmp_eq_u64 s[14:15], 0
	s_mov_b32 s14, -1
	s_cbranch_scc0 .LBB308_5
; %bb.1:
	v_dual_mov_b32 v2, 0 :: v_dual_lshlrev_b32 v1, 2, v0
	s_mov_b32 s14, exec_lo
	s_delay_alu instid0(VALU_DEP_1)
	v_cmpx_gt_i64_e64 s[4:5], v[1:2]
	s_cbranch_execz .LBB308_4
; %bb.2:
	s_load_b32 s15, s[0:1], 0xc5c
	v_lshlrev_b32_e32 v4, 3, v0
	v_lshlrev_b32_e32 v3, 5, v0
	s_waitcnt lgkmcnt(0)
	s_and_b32 s16, s15, 0xffff
	s_delay_alu instid0(SALU_CYCLE_1)
	s_lshl_b32 s15, s16, 2
	s_add_u32 s17, s2, s10
	s_addc_u32 s11, s3, s11
	s_lshl_b64 s[2:3], s[8:9], 17
	s_lshl_b32 s10, s16, 5
	s_add_u32 s2, s6, s2
	s_addc_u32 s3, s7, s3
	v_add_co_u32 v5, s2, s2, v4
	s_delay_alu instid0(VALU_DEP_1) | instskip(SKIP_1) | instid1(VALU_DEP_3)
	v_add_co_ci_u32_e64 v6, null, s3, 0, s2
	v_add_co_u32 v3, s2, s17, v3
	v_add_co_u32 v5, vcc_lo, v5, 4
	v_add_lshl_u32 v1, v0, s16, 2
	v_add_co_ci_u32_e64 v4, null, s11, 0, s2
	v_add_co_ci_u32_e32 v6, vcc_lo, 0, v6, vcc_lo
	s_mov_b32 s11, 0
	s_lshl_b32 s16, s16, 3
	s_set_inst_prefetch_distance 0x1
	.p2align	6
.LBB308_3:                              ; =>This Inner Loop Header: Depth=1
	s_clause 0x3
	global_load_b32 v7, v[3:4], off
	global_load_b32 v8, v[3:4], off offset:16
	global_load_b32 v9, v[3:4], off offset:24
	;; [unrolled: 1-line block ×3, first 2 shown]
	v_cmp_le_i64_e32 vcc_lo, s[4:5], v[1:2]
	v_cmp_lt_u64_e64 s2, 0xffff, v[1:2]
	v_add_co_u32 v1, s3, v1, s15
	s_delay_alu instid0(VALU_DEP_1) | instskip(SKIP_1) | instid1(VALU_DEP_4)
	v_add_co_ci_u32_e64 v2, s3, 0, v2, s3
	v_add_co_u32 v3, s3, v3, s10
	s_or_b32 s2, vcc_lo, s2
	v_add_co_ci_u32_e64 v4, s3, 0, v4, s3
	s_and_b32 s2, exec_lo, s2
	s_delay_alu instid0(SALU_CYCLE_1)
	s_or_b32 s11, s2, s11
	s_waitcnt vmcnt(3)
	v_cvt_f16_f32_e32 v7, v7
	s_waitcnt vmcnt(2)
	v_cvt_f16_f32_e32 v8, v8
	;; [unrolled: 2-line block ×4, first 2 shown]
	s_delay_alu instid0(VALU_DEP_2) | instskip(NEXT) | instid1(VALU_DEP_2)
	v_pack_b32_f16 v8, v8, v9
	v_pack_b32_f16 v7, v7, v10
	global_store_b64 v[5:6], v[7:8], off offset:-4
	v_add_co_u32 v5, vcc_lo, v5, s16
	v_add_co_ci_u32_e32 v6, vcc_lo, 0, v6, vcc_lo
	s_and_not1_b32 exec_lo, exec_lo, s11
	s_cbranch_execnz .LBB308_3
.LBB308_4:
	s_set_inst_prefetch_distance 0x2
	s_or_b32 exec_lo, exec_lo, s14
	s_mov_b32 s14, 0
.LBB308_5:
	s_delay_alu instid0(SALU_CYCLE_1)
	s_and_not1_b32 vcc_lo, exec_lo, s14
	s_cbranch_vccnz .LBB308_25
; %bb.6:
	v_cmp_lt_i64_e64 s2, s[4:5], 1
	s_delay_alu instid0(VALU_DEP_1)
	s_and_b32 vcc_lo, exec_lo, s2
	s_cbranch_vccnz .LBB308_25
; %bb.7:
	s_load_b32 s0, s[0:1], 0xc5c
	v_cmp_gt_u64_e64 s1, 0x10000, s[4:5]
	v_dual_mov_b32 v2, 0 :: v_dual_lshlrev_b32 v1, 3, v0
	s_delay_alu instid0(VALU_DEP_1)
	v_dual_mov_b32 v26, v2 :: v_dual_lshlrev_b32 v5, 1, v0
	v_mov_b32_e32 v27, v2
	v_mov_b32_e32 v28, v2
	s_waitcnt lgkmcnt(0)
	s_and_b32 s0, s0, 0xffff
	s_and_b32 s1, s1, exec_lo
	s_cselect_b32 s3, s5, 0
	s_cselect_b32 s2, s4, 0x10000
	s_lshl_b64 s[8:9], s[8:9], 17
	s_lshl_b32 s11, s0, 1
	s_lshl_b32 s1, s0, 2
	;; [unrolled: 1-line block ×3, first 2 shown]
	s_add_u32 s6, s6, s8
	s_addc_u32 s7, s7, s9
	v_add_co_u32 v5, s9, s6, v5
	s_delay_alu instid0(VALU_DEP_1) | instskip(SKIP_4) | instid1(VALU_DEP_3)
	v_add_co_ci_u32_e64 v6, null, s7, 0, s9
	v_add_co_u32 v19, s9, v0, s0
	s_mul_i32 s14, s0, 3
	v_mad_u64_u32 v[3:4], null, s0, 24, v[1:2]
	v_add_co_u32 v17, s8, s14, v0
	v_lshlrev_b32_e32 v7, 1, v19
	v_add_co_ci_u32_e64 v18, null, 0, 0, s8
	s_lshl_b32 s8, s0, 4
	v_add_co_ci_u32_e64 v22, null, 0, 0, s9
	v_add_co_u32 v20, s8, s8, v1
	s_delay_alu instid0(VALU_DEP_1)
	v_add_co_ci_u32_e64 v21, null, 0, 0, s8
	v_add_co_u32 v23, s8, s11, v0
	v_add_co_u32 v7, s6, s6, v7
	v_add_co_ci_u32_e64 v24, null, 0, 0, s8
	v_lshlrev_b32_e32 v25, 3, v19
	v_add_co_ci_u32_e64 v8, null, s7, 0, s6
	s_lshl_b32 s8, s0, 3
	s_mul_i32 s9, s0, 6
	s_mov_b64 s[6:7], 0
	s_branch .LBB308_9
.LBB308_8:                              ;   in Loop: Header=BB308_9 Depth=1
	s_or_b32 exec_lo, exec_lo, s0
	s_add_u32 s6, s6, s1
	s_addc_u32 s7, s7, 0
	v_add_co_u32 v5, vcc_lo, v5, s8
	v_cmp_ge_i64_e64 s0, s[6:7], s[4:5]
	v_cmp_lt_u64_e64 s11, 0xffff, s[6:7]
	v_add_co_ci_u32_e32 v6, vcc_lo, 0, v6, vcc_lo
	v_add_co_u32 v7, vcc_lo, v7, s8
	v_add_co_ci_u32_e32 v8, vcc_lo, 0, v8, vcc_lo
	s_delay_alu instid0(VALU_DEP_4)
	s_or_b32 s0, s0, s11
	s_add_u32 s12, s12, s10
	s_addc_u32 s13, s13, 0
	s_and_b32 vcc_lo, exec_lo, s0
	s_cbranch_vccnz .LBB308_25
.LBB308_9:                              ; =>This Inner Loop Header: Depth=1
	v_add_co_u32 v9, s0, v0, s6
	s_delay_alu instid0(VALU_DEP_1) | instskip(NEXT) | instid1(VALU_DEP_1)
	v_add_co_ci_u32_e64 v10, null, 0, s7, s0
	v_cmp_gt_i64_e32 vcc_lo, s[4:5], v[9:10]
	v_cmp_gt_u64_e64 s0, 0x10000, v[9:10]
	s_delay_alu instid0(VALU_DEP_1) | instskip(NEXT) | instid1(SALU_CYCLE_1)
	s_and_b32 s11, vcc_lo, s0
	s_and_saveexec_b32 s0, s11
	s_cbranch_execz .LBB308_11
; %bb.10:                               ;   in Loop: Header=BB308_9 Depth=1
	v_add_co_u32 v11, s11, s12, v1
	s_delay_alu instid0(VALU_DEP_1)
	v_add_co_ci_u32_e64 v12, null, s13, 0, s11
	global_load_b32 v28, v[11:12], off
.LBB308_11:                             ;   in Loop: Header=BB308_9 Depth=1
	s_or_b32 exec_lo, exec_lo, s0
	v_add_co_u32 v11, vcc_lo, v19, s6
	v_add_co_ci_u32_e32 v12, vcc_lo, s7, v22, vcc_lo
	s_delay_alu instid0(VALU_DEP_1) | instskip(SKIP_1) | instid1(VALU_DEP_1)
	v_cmp_gt_i64_e32 vcc_lo, s[4:5], v[11:12]
	v_cmp_gt_u64_e64 s0, 0x10000, v[11:12]
	s_and_b32 s11, vcc_lo, s0
	s_delay_alu instid0(SALU_CYCLE_1)
	s_and_saveexec_b32 s0, s11
	s_cbranch_execz .LBB308_13
; %bb.12:                               ;   in Loop: Header=BB308_9 Depth=1
	v_add_co_u32 v13, s11, s12, v25
	s_delay_alu instid0(VALU_DEP_1)
	v_add_co_ci_u32_e64 v14, null, s13, 0, s11
	global_load_b32 v27, v[13:14], off
.LBB308_13:                             ;   in Loop: Header=BB308_9 Depth=1
	s_or_b32 exec_lo, exec_lo, s0
	v_add_co_u32 v13, vcc_lo, v23, s6
	v_add_co_ci_u32_e32 v14, vcc_lo, s7, v24, vcc_lo
	s_delay_alu instid0(VALU_DEP_1) | instskip(SKIP_1) | instid1(VALU_DEP_1)
	v_cmp_gt_i64_e32 vcc_lo, s[4:5], v[13:14]
	v_cmp_gt_u64_e64 s0, 0x10000, v[13:14]
	s_and_b32 s11, vcc_lo, s0
	s_delay_alu instid0(SALU_CYCLE_1)
	s_and_saveexec_b32 s0, s11
	s_cbranch_execz .LBB308_15
; %bb.14:                               ;   in Loop: Header=BB308_9 Depth=1
	v_add_co_u32 v15, vcc_lo, s12, v20
	v_add_co_ci_u32_e32 v16, vcc_lo, s13, v21, vcc_lo
	global_load_b32 v26, v[15:16], off
.LBB308_15:                             ;   in Loop: Header=BB308_9 Depth=1
	s_or_b32 exec_lo, exec_lo, s0
	v_add_co_u32 v15, vcc_lo, v17, s6
	v_add_co_ci_u32_e32 v16, vcc_lo, s7, v18, vcc_lo
	s_delay_alu instid0(VALU_DEP_1) | instskip(SKIP_1) | instid1(VALU_DEP_1)
	v_cmp_gt_i64_e32 vcc_lo, s[4:5], v[15:16]
	v_cmp_gt_u64_e64 s0, 0x10000, v[15:16]
	s_and_b32 s11, vcc_lo, s0
	s_delay_alu instid0(SALU_CYCLE_1)
	s_and_saveexec_b32 s0, s11
	s_cbranch_execnz .LBB308_20
; %bb.16:                               ;   in Loop: Header=BB308_9 Depth=1
	s_or_b32 exec_lo, exec_lo, s0
	s_delay_alu instid0(SALU_CYCLE_1)
	s_mov_b32 s0, exec_lo
	v_cmpx_gt_u64_e64 s[2:3], v[9:10]
	s_cbranch_execnz .LBB308_21
.LBB308_17:                             ;   in Loop: Header=BB308_9 Depth=1
	s_or_b32 exec_lo, exec_lo, s0
	s_delay_alu instid0(SALU_CYCLE_1)
	s_mov_b32 s0, exec_lo
	v_cmpx_gt_u64_e64 s[2:3], v[11:12]
	s_cbranch_execnz .LBB308_22
.LBB308_18:                             ;   in Loop: Header=BB308_9 Depth=1
	s_or_b32 exec_lo, exec_lo, s0
	s_delay_alu instid0(SALU_CYCLE_1)
	s_mov_b32 s0, exec_lo
	v_cmpx_gt_u64_e64 s[2:3], v[13:14]
	s_cbranch_execnz .LBB308_23
.LBB308_19:                             ;   in Loop: Header=BB308_9 Depth=1
	s_or_b32 exec_lo, exec_lo, s0
	s_delay_alu instid0(SALU_CYCLE_1)
	s_mov_b32 s0, exec_lo
	v_cmpx_gt_u64_e64 s[2:3], v[15:16]
	s_cbranch_execz .LBB308_8
	s_branch .LBB308_24
.LBB308_20:                             ;   in Loop: Header=BB308_9 Depth=1
	v_add_co_u32 v29, vcc_lo, s12, v3
	v_add_co_ci_u32_e32 v30, vcc_lo, s13, v4, vcc_lo
	global_load_b32 v2, v[29:30], off
	s_or_b32 exec_lo, exec_lo, s0
	s_delay_alu instid0(SALU_CYCLE_1)
	s_mov_b32 s0, exec_lo
	v_cmpx_gt_u64_e64 s[2:3], v[9:10]
	s_cbranch_execz .LBB308_17
.LBB308_21:                             ;   in Loop: Header=BB308_9 Depth=1
	s_waitcnt vmcnt(0)
	v_cvt_f16_f32_e32 v9, v28
	global_store_b16 v[5:6], v9, off
	s_or_b32 exec_lo, exec_lo, s0
	s_delay_alu instid0(SALU_CYCLE_1)
	s_mov_b32 s0, exec_lo
	v_cmpx_gt_u64_e64 s[2:3], v[11:12]
	s_cbranch_execz .LBB308_18
.LBB308_22:                             ;   in Loop: Header=BB308_9 Depth=1
	s_waitcnt vmcnt(0)
	v_cvt_f16_f32_e32 v9, v27
	global_store_b16 v[7:8], v9, off
	s_or_b32 exec_lo, exec_lo, s0
	s_delay_alu instid0(SALU_CYCLE_1)
	s_mov_b32 s0, exec_lo
	v_cmpx_gt_u64_e64 s[2:3], v[13:14]
	s_cbranch_execz .LBB308_19
.LBB308_23:                             ;   in Loop: Header=BB308_9 Depth=1
	v_add_co_u32 v9, vcc_lo, v5, s1
	s_waitcnt vmcnt(0)
	v_cvt_f16_f32_e32 v11, v26
	v_add_co_ci_u32_e32 v10, vcc_lo, 0, v6, vcc_lo
	global_store_b16 v[9:10], v11, off
	s_or_b32 exec_lo, exec_lo, s0
	s_delay_alu instid0(SALU_CYCLE_1)
	s_mov_b32 s0, exec_lo
	v_cmpx_gt_u64_e64 s[2:3], v[15:16]
	s_cbranch_execz .LBB308_8
.LBB308_24:                             ;   in Loop: Header=BB308_9 Depth=1
	v_add_co_u32 v9, vcc_lo, v5, s9
	s_waitcnt vmcnt(0)
	v_cvt_f16_f32_e32 v11, v2
	v_add_co_ci_u32_e32 v10, vcc_lo, 0, v6, vcc_lo
	global_store_b16 v[9:10], v11, off
	s_branch .LBB308_8
.LBB308_25:
	s_nop 0
	s_sendmsg sendmsg(MSG_DEALLOC_VGPRS)
	s_endpgm
	.section	.rodata,"a",@progbits
	.p2align	6, 0x0
	.amdhsa_kernel _ZN2at6native12_GLOBAL__N_125multi_tensor_apply_kernelINS1_18TensorListMetadataILi2EEENS1_11CopyFunctorIN3c104HalfENS6_7complexIfEELi2ELi1ELi1EEEJNS0_4CopyIS7_S9_EEEEEvT_T0_DpT1_
		.amdhsa_group_segment_fixed_size 0
		.amdhsa_private_segment_fixed_size 0
		.amdhsa_kernarg_size 3408
		.amdhsa_user_sgpr_count 15
		.amdhsa_user_sgpr_dispatch_ptr 0
		.amdhsa_user_sgpr_queue_ptr 0
		.amdhsa_user_sgpr_kernarg_segment_ptr 1
		.amdhsa_user_sgpr_dispatch_id 0
		.amdhsa_user_sgpr_private_segment_size 0
		.amdhsa_wavefront_size32 1
		.amdhsa_uses_dynamic_stack 0
		.amdhsa_enable_private_segment 0
		.amdhsa_system_sgpr_workgroup_id_x 1
		.amdhsa_system_sgpr_workgroup_id_y 0
		.amdhsa_system_sgpr_workgroup_id_z 0
		.amdhsa_system_sgpr_workgroup_info 0
		.amdhsa_system_vgpr_workitem_id 0
		.amdhsa_next_free_vgpr 31
		.amdhsa_next_free_sgpr 20
		.amdhsa_reserve_vcc 1
		.amdhsa_float_round_mode_32 0
		.amdhsa_float_round_mode_16_64 0
		.amdhsa_float_denorm_mode_32 3
		.amdhsa_float_denorm_mode_16_64 3
		.amdhsa_dx10_clamp 1
		.amdhsa_ieee_mode 1
		.amdhsa_fp16_overflow 0
		.amdhsa_workgroup_processor_mode 1
		.amdhsa_memory_ordered 1
		.amdhsa_forward_progress 0
		.amdhsa_shared_vgpr_count 0
		.amdhsa_exception_fp_ieee_invalid_op 0
		.amdhsa_exception_fp_denorm_src 0
		.amdhsa_exception_fp_ieee_div_zero 0
		.amdhsa_exception_fp_ieee_overflow 0
		.amdhsa_exception_fp_ieee_underflow 0
		.amdhsa_exception_fp_ieee_inexact 0
		.amdhsa_exception_int_div_zero 0
	.end_amdhsa_kernel
	.section	.text._ZN2at6native12_GLOBAL__N_125multi_tensor_apply_kernelINS1_18TensorListMetadataILi2EEENS1_11CopyFunctorIN3c104HalfENS6_7complexIfEELi2ELi1ELi1EEEJNS0_4CopyIS7_S9_EEEEEvT_T0_DpT1_,"axG",@progbits,_ZN2at6native12_GLOBAL__N_125multi_tensor_apply_kernelINS1_18TensorListMetadataILi2EEENS1_11CopyFunctorIN3c104HalfENS6_7complexIfEELi2ELi1ELi1EEEJNS0_4CopyIS7_S9_EEEEEvT_T0_DpT1_,comdat
.Lfunc_end308:
	.size	_ZN2at6native12_GLOBAL__N_125multi_tensor_apply_kernelINS1_18TensorListMetadataILi2EEENS1_11CopyFunctorIN3c104HalfENS6_7complexIfEELi2ELi1ELi1EEEJNS0_4CopyIS7_S9_EEEEEvT_T0_DpT1_, .Lfunc_end308-_ZN2at6native12_GLOBAL__N_125multi_tensor_apply_kernelINS1_18TensorListMetadataILi2EEENS1_11CopyFunctorIN3c104HalfENS6_7complexIfEELi2ELi1ELi1EEEJNS0_4CopyIS7_S9_EEEEEvT_T0_DpT1_
                                        ; -- End function
	.section	.AMDGPU.csdata,"",@progbits
; Kernel info:
; codeLenInByte = 1480
; NumSgprs: 22
; NumVgprs: 31
; ScratchSize: 0
; MemoryBound: 0
; FloatMode: 240
; IeeeMode: 1
; LDSByteSize: 0 bytes/workgroup (compile time only)
; SGPRBlocks: 2
; VGPRBlocks: 3
; NumSGPRsForWavesPerEU: 22
; NumVGPRsForWavesPerEU: 31
; Occupancy: 16
; WaveLimiterHint : 0
; COMPUTE_PGM_RSRC2:SCRATCH_EN: 0
; COMPUTE_PGM_RSRC2:USER_SGPR: 15
; COMPUTE_PGM_RSRC2:TRAP_HANDLER: 0
; COMPUTE_PGM_RSRC2:TGID_X_EN: 1
; COMPUTE_PGM_RSRC2:TGID_Y_EN: 0
; COMPUTE_PGM_RSRC2:TGID_Z_EN: 0
; COMPUTE_PGM_RSRC2:TIDIG_COMP_CNT: 0
	.section	.text._ZN2at6native12_GLOBAL__N_125multi_tensor_apply_kernelINS1_18TensorListMetadataILi2EEENS1_14UnaryOpFunctorIN3c104HalfELi2ELi1ELi1EEEJNS0_4CopyIS7_S7_EEEEEvT_T0_DpT1_,"axG",@progbits,_ZN2at6native12_GLOBAL__N_125multi_tensor_apply_kernelINS1_18TensorListMetadataILi2EEENS1_14UnaryOpFunctorIN3c104HalfELi2ELi1ELi1EEEJNS0_4CopyIS7_S7_EEEEEvT_T0_DpT1_,comdat
	.globl	_ZN2at6native12_GLOBAL__N_125multi_tensor_apply_kernelINS1_18TensorListMetadataILi2EEENS1_14UnaryOpFunctorIN3c104HalfELi2ELi1ELi1EEEJNS0_4CopyIS7_S7_EEEEEvT_T0_DpT1_ ; -- Begin function _ZN2at6native12_GLOBAL__N_125multi_tensor_apply_kernelINS1_18TensorListMetadataILi2EEENS1_14UnaryOpFunctorIN3c104HalfELi2ELi1ELi1EEEJNS0_4CopyIS7_S7_EEEEEvT_T0_DpT1_
	.p2align	8
	.type	_ZN2at6native12_GLOBAL__N_125multi_tensor_apply_kernelINS1_18TensorListMetadataILi2EEENS1_14UnaryOpFunctorIN3c104HalfELi2ELi1ELi1EEEJNS0_4CopyIS7_S7_EEEEEvT_T0_DpT1_,@function
_ZN2at6native12_GLOBAL__N_125multi_tensor_apply_kernelINS1_18TensorListMetadataILi2EEENS1_14UnaryOpFunctorIN3c104HalfELi2ELi1ELi1EEEJNS0_4CopyIS7_S7_EEEEEvT_T0_DpT1_: ; @_ZN2at6native12_GLOBAL__N_125multi_tensor_apply_kernelINS1_18TensorListMetadataILi2EEENS1_14UnaryOpFunctorIN3c104HalfELi2ELi1ELi1EEEJNS0_4CopyIS7_S7_EEEEEvT_T0_DpT1_
; %bb.0:
	v_mov_b32_e32 v1, s15
	s_add_u32 s2, s0, s15
	s_mul_hi_u32 s3, s15, 3
	s_mul_i32 s15, s15, 3
	s_addc_u32 s4, s1, 0
	global_load_u8 v1, v1, s[0:1] offset:1536
	s_add_u32 s2, s2, s15
	s_addc_u32 s3, s4, s3
	s_mov_b32 s9, 0
	s_load_b32 s2, s[2:3], 0x740
	s_mov_b32 s17, s9
	s_mov_b32 s15, s9
	s_waitcnt vmcnt(0)
	v_readfirstlane_b32 s5, v1
	s_delay_alu instid0(VALU_DEP_1)
	s_lshl_b32 s3, s5, 3
	s_clause 0x2
	s_load_b64 s[10:11], s[0:1], s3 offset:0x0
	s_load_b64 s[12:13], s[0:1], s3 offset:0x200
	;; [unrolled: 1-line block ×3, first 2 shown]
	s_waitcnt lgkmcnt(0)
	s_ashr_i32 s3, s2, 31
	s_delay_alu instid0(SALU_CYCLE_1) | instskip(SKIP_4) | instid1(SALU_CYCLE_1)
	s_lshl_b64 s[4:5], s[2:3], 17
	s_lshl_b64 s[2:3], s[2:3], 16
	s_and_b32 s8, s10, 7
	s_and_b32 s14, s12, 7
	;; [unrolled: 1-line block ×3, first 2 shown]
	s_or_b64 s[8:9], s[8:9], s[16:17]
	s_delay_alu instid0(SALU_CYCLE_1)
	s_or_b64 s[8:9], s[14:15], s[8:9]
	s_sub_u32 s6, s6, s2
	s_subb_u32 s7, s7, s3
	s_cmp_eq_u64 s[8:9], 0
	s_mov_b32 s2, -1
	s_cbranch_scc0 .LBB309_5
; %bb.1:
	v_dual_mov_b32 v2, 0 :: v_dual_lshlrev_b32 v1, 2, v0
	s_mov_b32 s8, exec_lo
	s_delay_alu instid0(VALU_DEP_1)
	v_cmpx_gt_i64_e64 s[6:7], v[1:2]
	s_cbranch_execz .LBB309_4
; %bb.2:
	s_load_b32 s2, s[0:1], 0xc5c
	v_lshlrev_b32_e32 v1, 3, v0
	s_mov_b32 s9, 0
	s_delay_alu instid0(VALU_DEP_1) | instskip(NEXT) | instid1(VALU_DEP_1)
	v_add_co_u32 v3, s3, s4, v1
	v_add_co_ci_u32_e64 v4, null, s5, 0, s3
	s_waitcnt lgkmcnt(0)
	s_and_b32 s2, s2, 0xffff
	s_delay_alu instid0(SALU_CYCLE_1)
	v_add_lshl_u32 v1, v0, s2, 2
	s_lshl_b32 s14, s2, 3
	s_lshl_b32 s15, s2, 2
	.p2align	6
.LBB309_3:                              ; =>This Inner Loop Header: Depth=1
	v_add_co_u32 v5, vcc_lo, s10, v3
	v_add_co_ci_u32_e32 v6, vcc_lo, s11, v4, vcc_lo
	v_add_co_u32 v7, vcc_lo, s12, v3
	v_add_co_ci_u32_e32 v8, vcc_lo, s13, v4, vcc_lo
	global_load_b64 v[5:6], v[5:6], off
	v_cmp_le_i64_e32 vcc_lo, s[6:7], v[1:2]
	v_cmp_lt_u64_e64 s2, 0xffff, v[1:2]
	v_add_co_u32 v3, s3, v3, s14
	s_delay_alu instid0(VALU_DEP_1) | instskip(SKIP_1) | instid1(VALU_DEP_4)
	v_add_co_ci_u32_e64 v4, s3, 0, v4, s3
	v_add_co_u32 v1, s3, v1, s15
	s_or_b32 s2, vcc_lo, s2
	v_add_co_ci_u32_e64 v2, vcc_lo, 0, v2, s3
	s_and_b32 s2, exec_lo, s2
	s_delay_alu instid0(SALU_CYCLE_1)
	s_or_b32 s9, s2, s9
	s_waitcnt vmcnt(0)
	global_store_b64 v[7:8], v[5:6], off
	s_and_not1_b32 exec_lo, exec_lo, s9
	s_cbranch_execnz .LBB309_3
.LBB309_4:
	s_or_b32 exec_lo, exec_lo, s8
	s_mov_b32 s2, 0
.LBB309_5:
	s_delay_alu instid0(SALU_CYCLE_1)
	s_and_not1_b32 vcc_lo, exec_lo, s2
	s_cbranch_vccnz .LBB309_25
; %bb.6:
	v_cmp_lt_i64_e64 s2, s[6:7], 1
	s_delay_alu instid0(VALU_DEP_1)
	s_and_b32 vcc_lo, exec_lo, s2
	s_cbranch_vccnz .LBB309_25
; %bb.7:
	s_load_b32 s0, s[0:1], 0xc5c
	v_dual_mov_b32 v10, 0 :: v_dual_lshlrev_b32 v9, 1, v0
	v_cmp_gt_u64_e64 s1, 0x10000, s[6:7]
	s_delay_alu instid0(VALU_DEP_2) | instskip(NEXT) | instid1(VALU_DEP_1)
	v_add_co_u32 v1, s2, s10, v9
	v_add_co_ci_u32_e64 v2, null, s11, 0, s2
	v_add_co_u32 v3, s2, s12, v9
	s_delay_alu instid0(VALU_DEP_1)
	v_add_co_ci_u32_e64 v4, null, s13, 0, s2
	s_waitcnt lgkmcnt(0)
	s_and_b32 s0, s0, 0xffff
	s_and_b32 s1, s1, exec_lo
	v_mad_u64_u32 v[7:8], null, s0, 6, v[9:10]
	s_cselect_b32 s9, s7, 0
	s_cselect_b32 s8, s6, 0x10000
	s_mul_i32 s2, s0, 3
	s_lshl_b32 s14, s0, 2
	s_lshl_b32 s1, s0, 1
	v_add_co_u32 v14, s3, s14, v9
	v_add_co_u32 v9, s2, s2, v0
	s_delay_alu instid0(VALU_DEP_1) | instskip(SKIP_3) | instid1(VALU_DEP_3)
	v_add_co_ci_u32_e64 v10, null, 0, 0, s2
	v_add_co_u32 v13, s2, v0, s0
	v_add_co_u32 v5, vcc_lo, s10, v7
	v_add_co_ci_u32_e32 v6, vcc_lo, s11, v8, vcc_lo
	v_lshlrev_b32_e32 v21, 1, v13
	v_add_co_u32 v7, vcc_lo, s12, v7
	v_add_co_ci_u32_e64 v15, null, 0, 0, s3
	v_add_co_ci_u32_e32 v8, vcc_lo, s13, v8, vcc_lo
	v_add_co_u32 v17, s1, s1, v0
	v_add_co_u32 v11, vcc_lo, s10, v14
	v_add_co_ci_u32_e64 v18, null, 0, 0, s1
	v_add_co_u32 v19, s1, s10, v21
	v_add_co_ci_u32_e32 v12, vcc_lo, s11, v15, vcc_lo
	v_add_co_u32 v14, vcc_lo, s12, v14
	v_add_co_ci_u32_e64 v20, null, s11, 0, s1
	v_add_co_u32 v21, s1, s12, v21
	v_add_co_ci_u32_e32 v15, vcc_lo, s13, v15, vcc_lo
	v_add_co_ci_u32_e64 v16, null, 0, 0, s2
	v_add_co_ci_u32_e64 v22, null, s13, 0, s1
	s_lshl_b32 s12, s0, 3
	s_mov_b64 s[10:11], 0
	s_branch .LBB309_9
.LBB309_8:                              ;   in Loop: Header=BB309_9 Depth=1
	s_or_b32 exec_lo, exec_lo, s0
	v_add_co_u32 v1, vcc_lo, v1, s12
	v_add_co_ci_u32_e32 v2, vcc_lo, 0, v2, vcc_lo
	v_add_co_u32 v3, vcc_lo, v3, s12
	v_add_co_ci_u32_e32 v4, vcc_lo, 0, v4, vcc_lo
	;; [unrolled: 2-line block ×5, first 2 shown]
	s_add_u32 s10, s10, s14
	v_add_co_u32 v14, vcc_lo, v14, s12
	s_addc_u32 s11, s11, 0
	v_add_co_ci_u32_e32 v15, vcc_lo, 0, v15, vcc_lo
	v_cmp_ge_i64_e64 s0, s[10:11], s[6:7]
	v_cmp_lt_u64_e64 s1, 0xffff, s[10:11]
	v_add_co_u32 v19, vcc_lo, v19, s12
	v_add_co_ci_u32_e32 v20, vcc_lo, 0, v20, vcc_lo
	v_add_co_u32 v21, vcc_lo, v21, s12
	v_add_co_ci_u32_e32 v22, vcc_lo, 0, v22, vcc_lo
	s_or_b32 s0, s0, s1
	s_delay_alu instid0(SALU_CYCLE_1)
	s_and_b32 vcc_lo, exec_lo, s0
	s_cbranch_vccnz .LBB309_25
.LBB309_9:                              ; =>This Inner Loop Header: Depth=1
	s_waitcnt vmcnt(0)
	v_add_co_u32 v23, s0, v0, s10
	s_delay_alu instid0(VALU_DEP_1) | instskip(NEXT) | instid1(VALU_DEP_1)
	v_add_co_ci_u32_e64 v24, null, 0, s11, s0
	v_cmp_gt_u64_e32 vcc_lo, s[8:9], v[23:24]
	v_mov_b32_e32 v23, 0
	s_and_saveexec_b32 s1, vcc_lo
	s_cbranch_execz .LBB309_11
; %bb.10:                               ;   in Loop: Header=BB309_9 Depth=1
	v_add_co_u32 v23, s0, v1, s4
	s_delay_alu instid0(VALU_DEP_1)
	v_add_co_ci_u32_e64 v24, s0, s5, v2, s0
	global_load_u16 v23, v[23:24], off
.LBB309_11:                             ;   in Loop: Header=BB309_9 Depth=1
	s_or_b32 exec_lo, exec_lo, s1
	v_add_co_u32 v24, s0, v13, s10
	s_delay_alu instid0(VALU_DEP_1) | instskip(NEXT) | instid1(VALU_DEP_1)
	v_add_co_ci_u32_e64 v25, s0, s11, v16, s0
	v_cmp_gt_u64_e64 s0, s[8:9], v[24:25]
	v_mov_b32_e32 v25, 0
	s_delay_alu instid0(VALU_DEP_2)
	s_and_saveexec_b32 s2, s0
	s_cbranch_execz .LBB309_13
; %bb.12:                               ;   in Loop: Header=BB309_9 Depth=1
	v_add_co_u32 v24, s1, v19, s4
	s_delay_alu instid0(VALU_DEP_1)
	v_add_co_ci_u32_e64 v25, s1, s5, v20, s1
	global_load_u16 v25, v[24:25], off
.LBB309_13:                             ;   in Loop: Header=BB309_9 Depth=1
	s_or_b32 exec_lo, exec_lo, s2
	v_add_co_u32 v26, s1, v17, s10
	s_delay_alu instid0(VALU_DEP_1) | instskip(SKIP_1) | instid1(VALU_DEP_2)
	v_add_co_ci_u32_e64 v27, s1, s11, v18, s1
	v_mov_b32_e32 v24, 0
	v_cmp_gt_u64_e64 s1, s[8:9], v[26:27]
	v_mov_b32_e32 v26, 0
	s_delay_alu instid0(VALU_DEP_2)
	s_and_saveexec_b32 s3, s1
	s_cbranch_execz .LBB309_15
; %bb.14:                               ;   in Loop: Header=BB309_9 Depth=1
	v_add_co_u32 v26, s2, v11, s4
	s_delay_alu instid0(VALU_DEP_1)
	v_add_co_ci_u32_e64 v27, s2, s5, v12, s2
	global_load_u16 v26, v[26:27], off
.LBB309_15:                             ;   in Loop: Header=BB309_9 Depth=1
	s_or_b32 exec_lo, exec_lo, s3
	v_add_co_u32 v27, s2, v9, s10
	s_delay_alu instid0(VALU_DEP_1) | instskip(NEXT) | instid1(VALU_DEP_1)
	v_add_co_ci_u32_e64 v28, s2, s11, v10, s2
	v_cmp_gt_u64_e64 s2, s[8:9], v[27:28]
	s_delay_alu instid0(VALU_DEP_1)
	s_and_saveexec_b32 s13, s2
	s_cbranch_execnz .LBB309_20
; %bb.16:                               ;   in Loop: Header=BB309_9 Depth=1
	s_or_b32 exec_lo, exec_lo, s13
	s_and_saveexec_b32 s3, vcc_lo
	s_cbranch_execnz .LBB309_21
.LBB309_17:                             ;   in Loop: Header=BB309_9 Depth=1
	s_or_b32 exec_lo, exec_lo, s3
	s_and_saveexec_b32 s3, s0
	s_cbranch_execnz .LBB309_22
.LBB309_18:                             ;   in Loop: Header=BB309_9 Depth=1
	s_or_b32 exec_lo, exec_lo, s3
	s_and_saveexec_b32 s0, s1
	s_cbranch_execnz .LBB309_23
.LBB309_19:                             ;   in Loop: Header=BB309_9 Depth=1
	s_or_b32 exec_lo, exec_lo, s0
	s_and_saveexec_b32 s0, s2
	s_cbranch_execz .LBB309_8
	s_branch .LBB309_24
.LBB309_20:                             ;   in Loop: Header=BB309_9 Depth=1
	v_add_co_u32 v27, s3, v5, s4
	s_delay_alu instid0(VALU_DEP_1)
	v_add_co_ci_u32_e64 v28, s3, s5, v6, s3
	global_load_u16 v24, v[27:28], off
	s_or_b32 exec_lo, exec_lo, s13
	s_and_saveexec_b32 s3, vcc_lo
	s_cbranch_execz .LBB309_17
.LBB309_21:                             ;   in Loop: Header=BB309_9 Depth=1
	v_add_co_u32 v27, vcc_lo, v3, s4
	v_add_co_ci_u32_e32 v28, vcc_lo, s5, v4, vcc_lo
	s_waitcnt vmcnt(0)
	global_store_b16 v[27:28], v23, off
	s_or_b32 exec_lo, exec_lo, s3
	s_and_saveexec_b32 s3, s0
	s_cbranch_execz .LBB309_18
.LBB309_22:                             ;   in Loop: Header=BB309_9 Depth=1
	v_add_co_u32 v27, vcc_lo, v21, s4
	v_add_co_ci_u32_e32 v28, vcc_lo, s5, v22, vcc_lo
	s_waitcnt vmcnt(0)
	global_store_b16 v[27:28], v25, off
	s_or_b32 exec_lo, exec_lo, s3
	s_and_saveexec_b32 s0, s1
	s_cbranch_execz .LBB309_19
.LBB309_23:                             ;   in Loop: Header=BB309_9 Depth=1
	v_add_co_u32 v27, vcc_lo, v14, s4
	v_add_co_ci_u32_e32 v28, vcc_lo, s5, v15, vcc_lo
	s_waitcnt vmcnt(0)
	global_store_b16 v[27:28], v26, off
	s_or_b32 exec_lo, exec_lo, s0
	s_and_saveexec_b32 s0, s2
	s_cbranch_execz .LBB309_8
.LBB309_24:                             ;   in Loop: Header=BB309_9 Depth=1
	s_waitcnt vmcnt(0)
	v_add_co_u32 v25, vcc_lo, v7, s4
	v_add_co_ci_u32_e32 v26, vcc_lo, s5, v8, vcc_lo
	global_store_b16 v[25:26], v24, off
	s_branch .LBB309_8
.LBB309_25:
	s_nop 0
	s_sendmsg sendmsg(MSG_DEALLOC_VGPRS)
	s_endpgm
	.section	.rodata,"a",@progbits
	.p2align	6, 0x0
	.amdhsa_kernel _ZN2at6native12_GLOBAL__N_125multi_tensor_apply_kernelINS1_18TensorListMetadataILi2EEENS1_14UnaryOpFunctorIN3c104HalfELi2ELi1ELi1EEEJNS0_4CopyIS7_S7_EEEEEvT_T0_DpT1_
		.amdhsa_group_segment_fixed_size 0
		.amdhsa_private_segment_fixed_size 0
		.amdhsa_kernarg_size 3408
		.amdhsa_user_sgpr_count 15
		.amdhsa_user_sgpr_dispatch_ptr 0
		.amdhsa_user_sgpr_queue_ptr 0
		.amdhsa_user_sgpr_kernarg_segment_ptr 1
		.amdhsa_user_sgpr_dispatch_id 0
		.amdhsa_user_sgpr_private_segment_size 0
		.amdhsa_wavefront_size32 1
		.amdhsa_uses_dynamic_stack 0
		.amdhsa_enable_private_segment 0
		.amdhsa_system_sgpr_workgroup_id_x 1
		.amdhsa_system_sgpr_workgroup_id_y 0
		.amdhsa_system_sgpr_workgroup_id_z 0
		.amdhsa_system_sgpr_workgroup_info 0
		.amdhsa_system_vgpr_workitem_id 0
		.amdhsa_next_free_vgpr 29
		.amdhsa_next_free_sgpr 18
		.amdhsa_reserve_vcc 1
		.amdhsa_float_round_mode_32 0
		.amdhsa_float_round_mode_16_64 0
		.amdhsa_float_denorm_mode_32 3
		.amdhsa_float_denorm_mode_16_64 3
		.amdhsa_dx10_clamp 1
		.amdhsa_ieee_mode 1
		.amdhsa_fp16_overflow 0
		.amdhsa_workgroup_processor_mode 1
		.amdhsa_memory_ordered 1
		.amdhsa_forward_progress 0
		.amdhsa_shared_vgpr_count 0
		.amdhsa_exception_fp_ieee_invalid_op 0
		.amdhsa_exception_fp_denorm_src 0
		.amdhsa_exception_fp_ieee_div_zero 0
		.amdhsa_exception_fp_ieee_overflow 0
		.amdhsa_exception_fp_ieee_underflow 0
		.amdhsa_exception_fp_ieee_inexact 0
		.amdhsa_exception_int_div_zero 0
	.end_amdhsa_kernel
	.section	.text._ZN2at6native12_GLOBAL__N_125multi_tensor_apply_kernelINS1_18TensorListMetadataILi2EEENS1_14UnaryOpFunctorIN3c104HalfELi2ELi1ELi1EEEJNS0_4CopyIS7_S7_EEEEEvT_T0_DpT1_,"axG",@progbits,_ZN2at6native12_GLOBAL__N_125multi_tensor_apply_kernelINS1_18TensorListMetadataILi2EEENS1_14UnaryOpFunctorIN3c104HalfELi2ELi1ELi1EEEJNS0_4CopyIS7_S7_EEEEEvT_T0_DpT1_,comdat
.Lfunc_end309:
	.size	_ZN2at6native12_GLOBAL__N_125multi_tensor_apply_kernelINS1_18TensorListMetadataILi2EEENS1_14UnaryOpFunctorIN3c104HalfELi2ELi1ELi1EEEJNS0_4CopyIS7_S7_EEEEEvT_T0_DpT1_, .Lfunc_end309-_ZN2at6native12_GLOBAL__N_125multi_tensor_apply_kernelINS1_18TensorListMetadataILi2EEENS1_14UnaryOpFunctorIN3c104HalfELi2ELi1ELi1EEEJNS0_4CopyIS7_S7_EEEEEvT_T0_DpT1_
                                        ; -- End function
	.section	.AMDGPU.csdata,"",@progbits
; Kernel info:
; codeLenInByte = 1352
; NumSgprs: 20
; NumVgprs: 29
; ScratchSize: 0
; MemoryBound: 0
; FloatMode: 240
; IeeeMode: 1
; LDSByteSize: 0 bytes/workgroup (compile time only)
; SGPRBlocks: 2
; VGPRBlocks: 3
; NumSGPRsForWavesPerEU: 20
; NumVGPRsForWavesPerEU: 29
; Occupancy: 16
; WaveLimiterHint : 0
; COMPUTE_PGM_RSRC2:SCRATCH_EN: 0
; COMPUTE_PGM_RSRC2:USER_SGPR: 15
; COMPUTE_PGM_RSRC2:TRAP_HANDLER: 0
; COMPUTE_PGM_RSRC2:TGID_X_EN: 1
; COMPUTE_PGM_RSRC2:TGID_Y_EN: 0
; COMPUTE_PGM_RSRC2:TGID_Z_EN: 0
; COMPUTE_PGM_RSRC2:TIDIG_COMP_CNT: 0
	.section	.text._ZN2at6native12_GLOBAL__N_125multi_tensor_apply_kernelINS1_18TensorListMetadataILi2EEENS1_11CopyFunctorIN3c104HalfENS6_8BFloat16ELi2ELi1ELi1EEEJNS0_4CopyIS7_S8_EEEEEvT_T0_DpT1_,"axG",@progbits,_ZN2at6native12_GLOBAL__N_125multi_tensor_apply_kernelINS1_18TensorListMetadataILi2EEENS1_11CopyFunctorIN3c104HalfENS6_8BFloat16ELi2ELi1ELi1EEEJNS0_4CopyIS7_S8_EEEEEvT_T0_DpT1_,comdat
	.globl	_ZN2at6native12_GLOBAL__N_125multi_tensor_apply_kernelINS1_18TensorListMetadataILi2EEENS1_11CopyFunctorIN3c104HalfENS6_8BFloat16ELi2ELi1ELi1EEEJNS0_4CopyIS7_S8_EEEEEvT_T0_DpT1_ ; -- Begin function _ZN2at6native12_GLOBAL__N_125multi_tensor_apply_kernelINS1_18TensorListMetadataILi2EEENS1_11CopyFunctorIN3c104HalfENS6_8BFloat16ELi2ELi1ELi1EEEJNS0_4CopyIS7_S8_EEEEEvT_T0_DpT1_
	.p2align	8
	.type	_ZN2at6native12_GLOBAL__N_125multi_tensor_apply_kernelINS1_18TensorListMetadataILi2EEENS1_11CopyFunctorIN3c104HalfENS6_8BFloat16ELi2ELi1ELi1EEEJNS0_4CopyIS7_S8_EEEEEvT_T0_DpT1_,@function
_ZN2at6native12_GLOBAL__N_125multi_tensor_apply_kernelINS1_18TensorListMetadataILi2EEENS1_11CopyFunctorIN3c104HalfENS6_8BFloat16ELi2ELi1ELi1EEEJNS0_4CopyIS7_S8_EEEEEvT_T0_DpT1_: ; @_ZN2at6native12_GLOBAL__N_125multi_tensor_apply_kernelINS1_18TensorListMetadataILi2EEENS1_11CopyFunctorIN3c104HalfENS6_8BFloat16ELi2ELi1ELi1EEEJNS0_4CopyIS7_S8_EEEEEvT_T0_DpT1_
; %bb.0:
	v_mov_b32_e32 v1, s15
	s_add_u32 s2, s0, s15
	s_mul_hi_u32 s3, s15, 3
	s_mul_i32 s15, s15, 3
	s_addc_u32 s4, s1, 0
	global_load_u8 v1, v1, s[0:1] offset:1536
	s_add_u32 s2, s2, s15
	s_addc_u32 s3, s4, s3
	s_load_b32 s8, s[2:3], 0x740
	s_waitcnt lgkmcnt(0)
	s_ashr_i32 s9, s8, 31
	s_waitcnt vmcnt(0)
	v_readfirstlane_b32 s4, v1
	s_delay_alu instid0(VALU_DEP_1)
	s_lshl_b32 s2, s4, 3
	s_lshl_b64 s[4:5], s[8:9], 16
	s_clause 0x2
	s_load_b64 s[10:11], s[0:1], s2 offset:0x200
	s_load_b64 s[12:13], s[0:1], s2 offset:0x0
	;; [unrolled: 1-line block ×3, first 2 shown]
	s_lshl_b32 s6, s4, 1
	s_waitcnt lgkmcnt(0)
	s_add_i32 s7, s10, s6
	s_add_i32 s6, s12, s6
	s_and_b32 s7, s7, 7
	s_and_b32 s14, s2, 3
	;; [unrolled: 1-line block ×3, first 2 shown]
	s_or_b32 s14, s14, s7
	s_mov_b32 s7, 0
	s_or_b32 s6, s14, s6
	s_sub_u32 s4, s2, s4
	s_subb_u32 s5, s3, s5
	s_cmp_eq_u64 s[6:7], 0
	s_mov_b32 s2, -1
	s_cbranch_scc0 .LBB310_5
; %bb.1:
	v_dual_mov_b32 v2, 0 :: v_dual_lshlrev_b32 v1, 2, v0
	s_mov_b32 s6, exec_lo
	s_delay_alu instid0(VALU_DEP_1)
	v_cmpx_gt_i64_e64 s[4:5], v[1:2]
	s_cbranch_execz .LBB310_4
; %bb.2:
	s_load_b32 s7, s[0:1], 0xc5c
	s_lshl_b64 s[2:3], s[8:9], 17
	s_mov_b32 s14, 0
	v_lshl_or_b32 v3, v0, 3, s2
	v_mov_b32_e32 v4, s3
	s_waitcnt lgkmcnt(0)
	s_and_b32 s15, s7, 0xffff
	s_delay_alu instid0(SALU_CYCLE_1)
	v_add_lshl_u32 v1, v0, s15, 2
	s_lshl_b32 s7, s15, 3
	s_lshl_b32 s15, s15, 2
	s_set_inst_prefetch_distance 0x1
	.p2align	6
.LBB310_3:                              ; =>This Inner Loop Header: Depth=1
	v_add_co_u32 v5, vcc_lo, s12, v3
	v_add_co_ci_u32_e32 v6, vcc_lo, s13, v4, vcc_lo
	v_add_co_u32 v7, vcc_lo, s10, v3
	v_add_co_ci_u32_e32 v8, vcc_lo, s11, v4, vcc_lo
	global_load_b64 v[5:6], v[5:6], off
	v_cmp_le_i64_e32 vcc_lo, s[4:5], v[1:2]
	v_cmp_lt_u64_e64 s2, 0xffff, v[1:2]
	v_add_co_u32 v3, s3, v3, s7
	s_delay_alu instid0(VALU_DEP_1) | instskip(SKIP_1) | instid1(VALU_DEP_4)
	v_add_co_ci_u32_e64 v4, s3, 0, v4, s3
	v_add_co_u32 v1, s3, v1, s15
	s_or_b32 s2, vcc_lo, s2
	v_add_co_ci_u32_e64 v2, s3, 0, v2, s3
	s_and_b32 s2, exec_lo, s2
	s_delay_alu instid0(SALU_CYCLE_1)
	s_or_b32 s14, s2, s14
	s_waitcnt vmcnt(0)
	v_alignbit_b32 v9, v6, v5, 16
	v_and_b32_e32 v10, 0xffff0000, v5
	v_lshlrev_b32_e32 v5, 16, v5
	v_and_b32_e32 v6, 0xffff0000, v6
	s_delay_alu instid0(VALU_DEP_4) | instskip(NEXT) | instid1(VALU_DEP_4)
	v_and_b32_e32 v9, 0xffff0000, v9
	v_cvt_f16_f32_e32 v10, v10
	s_delay_alu instid0(VALU_DEP_4) | instskip(NEXT) | instid1(VALU_DEP_4)
	v_cvt_f16_f32_e32 v5, v5
	v_cvt_f16_f32_e32 v6, v6
	s_delay_alu instid0(VALU_DEP_4) | instskip(NEXT) | instid1(VALU_DEP_3)
	v_cvt_f16_f32_e32 v9, v9
	v_pack_b32_f16 v5, v5, v10
	s_delay_alu instid0(VALU_DEP_2)
	v_pack_b32_f16 v6, v9, v6
	global_store_b64 v[7:8], v[5:6], off
	s_and_not1_b32 exec_lo, exec_lo, s14
	s_cbranch_execnz .LBB310_3
.LBB310_4:
	s_set_inst_prefetch_distance 0x2
	s_or_b32 exec_lo, exec_lo, s6
	s_mov_b32 s2, 0
.LBB310_5:
	s_delay_alu instid0(SALU_CYCLE_1)
	s_and_not1_b32 vcc_lo, exec_lo, s2
	s_cbranch_vccnz .LBB310_25
; %bb.6:
	v_cmp_lt_i64_e64 s2, s[4:5], 1
	s_delay_alu instid0(VALU_DEP_1)
	s_and_b32 vcc_lo, exec_lo, s2
	s_cbranch_vccnz .LBB310_25
; %bb.7:
	s_load_b32 s0, s[0:1], 0xc5c
	v_dual_mov_b32 v1, 0 :: v_dual_lshlrev_b32 v2, 1, v0
	v_cmp_gt_u64_e64 s2, 0x10000, s[4:5]
	s_mov_b32 s3, 0
                                        ; implicit-def: $vgpr24
                                        ; implicit-def: $vgpr25
                                        ; implicit-def: $vgpr26
                                        ; implicit-def: $vgpr27
	s_delay_alu instid0(VALU_DEP_2) | instskip(NEXT) | instid1(VALU_DEP_3)
	v_mov_b32_e32 v3, v1
	v_add_co_u32 v8, s1, s12, v2
	s_delay_alu instid0(VALU_DEP_1) | instskip(SKIP_1) | instid1(VALU_DEP_1)
	v_add_co_ci_u32_e64 v9, null, s13, 0, s1
	v_add_co_u32 v10, s1, s10, v2
	v_add_co_ci_u32_e64 v11, null, s11, 0, s1
	s_waitcnt lgkmcnt(0)
	s_and_b32 s1, s0, 0xffff
	s_and_b32 s0, s2, exec_lo
	v_mad_u64_u32 v[4:5], null, s1, 6, v[2:3]
	s_cselect_b32 s7, s5, 0
	s_cselect_b32 s6, s4, 0x10000
	s_lshl_b32 s2, s1, 2
	s_lshl_b32 s14, s1, 1
	v_add_co_u32 v2, s0, s2, v2
	s_delay_alu instid0(VALU_DEP_2) | instskip(NEXT) | instid1(VALU_DEP_3)
	v_add_co_u32 v12, vcc_lo, s12, v4
	v_add_co_ci_u32_e32 v13, vcc_lo, s13, v5, vcc_lo
	v_add_co_u32 v14, vcc_lo, s10, v4
	v_add_lshl_u32 v4, v0, s1, 1
	v_add_co_ci_u32_e64 v3, null, 0, 0, s0
	v_add_co_ci_u32_e32 v15, vcc_lo, s11, v5, vcc_lo
	v_add_co_u32 v16, vcc_lo, s12, v2
	s_delay_alu instid0(VALU_DEP_4) | instskip(NEXT) | instid1(VALU_DEP_4)
	v_add_co_u32 v20, s0, s12, v4
	v_add_co_ci_u32_e32 v17, vcc_lo, s13, v3, vcc_lo
	v_add_co_u32 v18, vcc_lo, s10, v2
	v_add_co_ci_u32_e64 v21, null, s13, 0, s0
	v_add_co_u32 v22, s0, s10, v4
	v_add_co_ci_u32_e32 v19, vcc_lo, s11, v3, vcc_lo
	v_add_co_ci_u32_e64 v23, null, s11, 0, s0
	s_mul_i32 s15, s1, 3
	s_lshl_b64 s[8:9], s[8:9], 17
	s_lshl_b32 s12, s1, 3
	s_mov_b64 s[10:11], s[2:3]
	s_branch .LBB310_9
.LBB310_8:                              ;   in Loop: Header=BB310_9 Depth=1
	s_or_b32 exec_lo, exec_lo, s0
	v_add_co_u32 v8, vcc_lo, v8, s12
	v_add_co_ci_u32_e32 v9, vcc_lo, 0, v9, vcc_lo
	v_add_co_u32 v10, vcc_lo, v10, s12
	v_add_co_ci_u32_e32 v11, vcc_lo, 0, v11, vcc_lo
	;; [unrolled: 2-line block ×7, first 2 shown]
	v_cmp_ge_i64_e64 s0, s[10:11], s[4:5]
	v_cmp_lt_u64_e64 s3, 0xffff, s[10:11]
	v_add_co_u32 v20, vcc_lo, v20, s12
	v_add_co_ci_u32_e32 v21, vcc_lo, 0, v21, vcc_lo
	v_add_co_u32 v22, vcc_lo, v22, s12
	v_add_co_ci_u32_e32 v23, vcc_lo, 0, v23, vcc_lo
	s_or_b32 s0, s0, s3
	s_add_u32 s10, s10, s2
	s_addc_u32 s11, s11, 0
	s_and_b32 vcc_lo, exec_lo, s0
	s_cbranch_vccnz .LBB310_25
.LBB310_9:                              ; =>This Inner Loop Header: Depth=1
	v_cmp_gt_i64_e32 vcc_lo, s[4:5], v[0:1]
	v_cmp_gt_u64_e64 s0, 0x10000, v[0:1]
	s_delay_alu instid0(VALU_DEP_1) | instskip(NEXT) | instid1(SALU_CYCLE_1)
	s_and_b32 s3, vcc_lo, s0
	s_and_saveexec_b32 s0, s3
	s_cbranch_execz .LBB310_11
; %bb.10:                               ;   in Loop: Header=BB310_9 Depth=1
	v_add_co_u32 v2, vcc_lo, v8, s8
	v_add_co_ci_u32_e32 v3, vcc_lo, s9, v9, vcc_lo
	global_load_u16 v27, v[2:3], off
.LBB310_11:                             ;   in Loop: Header=BB310_9 Depth=1
	s_or_b32 exec_lo, exec_lo, s0
	v_add_co_u32 v2, vcc_lo, s1, v0
	v_add_co_ci_u32_e32 v3, vcc_lo, 0, v1, vcc_lo
	s_delay_alu instid0(VALU_DEP_1) | instskip(SKIP_1) | instid1(VALU_DEP_1)
	v_cmp_gt_i64_e32 vcc_lo, s[4:5], v[2:3]
	v_cmp_gt_u64_e64 s0, 0x10000, v[2:3]
	s_and_b32 s3, vcc_lo, s0
	s_delay_alu instid0(SALU_CYCLE_1)
	s_and_saveexec_b32 s0, s3
	s_cbranch_execz .LBB310_13
; %bb.12:                               ;   in Loop: Header=BB310_9 Depth=1
	v_add_co_u32 v4, vcc_lo, v20, s8
	v_add_co_ci_u32_e32 v5, vcc_lo, s9, v21, vcc_lo
	global_load_u16 v26, v[4:5], off
.LBB310_13:                             ;   in Loop: Header=BB310_9 Depth=1
	s_or_b32 exec_lo, exec_lo, s0
	v_add_co_u32 v4, vcc_lo, s14, v0
	v_add_co_ci_u32_e32 v5, vcc_lo, 0, v1, vcc_lo
	s_delay_alu instid0(VALU_DEP_1) | instskip(SKIP_1) | instid1(VALU_DEP_1)
	v_cmp_gt_i64_e32 vcc_lo, s[4:5], v[4:5]
	v_cmp_gt_u64_e64 s0, 0x10000, v[4:5]
	s_and_b32 s3, vcc_lo, s0
	s_delay_alu instid0(SALU_CYCLE_1)
	;; [unrolled: 15-line block ×3, first 2 shown]
	s_and_saveexec_b32 s0, s3
	s_cbranch_execnz .LBB310_20
; %bb.16:                               ;   in Loop: Header=BB310_9 Depth=1
	s_or_b32 exec_lo, exec_lo, s0
	s_delay_alu instid0(SALU_CYCLE_1)
	s_mov_b32 s0, exec_lo
	v_cmpx_gt_u64_e64 s[6:7], v[0:1]
	s_cbranch_execnz .LBB310_21
.LBB310_17:                             ;   in Loop: Header=BB310_9 Depth=1
	s_or_b32 exec_lo, exec_lo, s0
	s_delay_alu instid0(SALU_CYCLE_1)
	s_mov_b32 s0, exec_lo
	v_cmpx_gt_u64_e64 s[6:7], v[2:3]
	s_cbranch_execnz .LBB310_22
.LBB310_18:                             ;   in Loop: Header=BB310_9 Depth=1
	s_or_b32 exec_lo, exec_lo, s0
	s_delay_alu instid0(SALU_CYCLE_1)
	s_mov_b32 s0, exec_lo
	v_cmpx_gt_u64_e64 s[6:7], v[4:5]
	s_cbranch_execnz .LBB310_23
.LBB310_19:                             ;   in Loop: Header=BB310_9 Depth=1
	s_or_b32 exec_lo, exec_lo, s0
	s_delay_alu instid0(SALU_CYCLE_1)
	s_mov_b32 s0, exec_lo
	v_cmpx_gt_u64_e64 s[6:7], v[6:7]
	s_cbranch_execz .LBB310_8
	s_branch .LBB310_24
.LBB310_20:                             ;   in Loop: Header=BB310_9 Depth=1
	v_add_co_u32 v28, vcc_lo, v12, s8
	v_add_co_ci_u32_e32 v29, vcc_lo, s9, v13, vcc_lo
	global_load_u16 v24, v[28:29], off
	s_or_b32 exec_lo, exec_lo, s0
	s_delay_alu instid0(SALU_CYCLE_1)
	s_mov_b32 s0, exec_lo
	v_cmpx_gt_u64_e64 s[6:7], v[0:1]
	s_cbranch_execz .LBB310_17
.LBB310_21:                             ;   in Loop: Header=BB310_9 Depth=1
	s_waitcnt vmcnt(0)
	v_lshlrev_b32_e32 v30, 16, v27
	v_add_co_u32 v28, vcc_lo, v10, s8
	v_add_co_ci_u32_e32 v29, vcc_lo, s9, v11, vcc_lo
	s_delay_alu instid0(VALU_DEP_3) | instskip(SKIP_2) | instid1(SALU_CYCLE_1)
	v_cvt_f16_f32_e32 v30, v30
	global_store_b16 v[28:29], v30, off
	s_or_b32 exec_lo, exec_lo, s0
	s_mov_b32 s0, exec_lo
	v_cmpx_gt_u64_e64 s[6:7], v[2:3]
	s_cbranch_execz .LBB310_18
.LBB310_22:                             ;   in Loop: Header=BB310_9 Depth=1
	s_waitcnt vmcnt(0)
	v_lshlrev_b32_e32 v2, 16, v26
	s_delay_alu instid0(VALU_DEP_1) | instskip(SKIP_4) | instid1(SALU_CYCLE_1)
	v_cvt_f16_f32_e32 v28, v2
	v_add_co_u32 v2, vcc_lo, v22, s8
	v_add_co_ci_u32_e32 v3, vcc_lo, s9, v23, vcc_lo
	global_store_b16 v[2:3], v28, off
	s_or_b32 exec_lo, exec_lo, s0
	s_mov_b32 s0, exec_lo
	v_cmpx_gt_u64_e64 s[6:7], v[4:5]
	s_cbranch_execz .LBB310_19
.LBB310_23:                             ;   in Loop: Header=BB310_9 Depth=1
	s_waitcnt vmcnt(0)
	v_lshlrev_b32_e32 v2, 16, v25
	s_delay_alu instid0(VALU_DEP_1) | instskip(SKIP_4) | instid1(SALU_CYCLE_1)
	v_cvt_f16_f32_e32 v4, v2
	v_add_co_u32 v2, vcc_lo, v18, s8
	v_add_co_ci_u32_e32 v3, vcc_lo, s9, v19, vcc_lo
	global_store_b16 v[2:3], v4, off
	s_or_b32 exec_lo, exec_lo, s0
	s_mov_b32 s0, exec_lo
	v_cmpx_gt_u64_e64 s[6:7], v[6:7]
	s_cbranch_execz .LBB310_8
.LBB310_24:                             ;   in Loop: Header=BB310_9 Depth=1
	s_waitcnt vmcnt(0)
	v_lshlrev_b32_e32 v2, 16, v24
	s_delay_alu instid0(VALU_DEP_1)
	v_cvt_f16_f32_e32 v4, v2
	v_add_co_u32 v2, vcc_lo, v14, s8
	v_add_co_ci_u32_e32 v3, vcc_lo, s9, v15, vcc_lo
	global_store_b16 v[2:3], v4, off
	s_branch .LBB310_8
.LBB310_25:
	s_nop 0
	s_sendmsg sendmsg(MSG_DEALLOC_VGPRS)
	s_endpgm
	.section	.rodata,"a",@progbits
	.p2align	6, 0x0
	.amdhsa_kernel _ZN2at6native12_GLOBAL__N_125multi_tensor_apply_kernelINS1_18TensorListMetadataILi2EEENS1_11CopyFunctorIN3c104HalfENS6_8BFloat16ELi2ELi1ELi1EEEJNS0_4CopyIS7_S8_EEEEEvT_T0_DpT1_
		.amdhsa_group_segment_fixed_size 0
		.amdhsa_private_segment_fixed_size 0
		.amdhsa_kernarg_size 3408
		.amdhsa_user_sgpr_count 15
		.amdhsa_user_sgpr_dispatch_ptr 0
		.amdhsa_user_sgpr_queue_ptr 0
		.amdhsa_user_sgpr_kernarg_segment_ptr 1
		.amdhsa_user_sgpr_dispatch_id 0
		.amdhsa_user_sgpr_private_segment_size 0
		.amdhsa_wavefront_size32 1
		.amdhsa_uses_dynamic_stack 0
		.amdhsa_enable_private_segment 0
		.amdhsa_system_sgpr_workgroup_id_x 1
		.amdhsa_system_sgpr_workgroup_id_y 0
		.amdhsa_system_sgpr_workgroup_id_z 0
		.amdhsa_system_sgpr_workgroup_info 0
		.amdhsa_system_vgpr_workitem_id 0
		.amdhsa_next_free_vgpr 31
		.amdhsa_next_free_sgpr 16
		.amdhsa_reserve_vcc 1
		.amdhsa_float_round_mode_32 0
		.amdhsa_float_round_mode_16_64 0
		.amdhsa_float_denorm_mode_32 3
		.amdhsa_float_denorm_mode_16_64 3
		.amdhsa_dx10_clamp 1
		.amdhsa_ieee_mode 1
		.amdhsa_fp16_overflow 0
		.amdhsa_workgroup_processor_mode 1
		.amdhsa_memory_ordered 1
		.amdhsa_forward_progress 0
		.amdhsa_shared_vgpr_count 0
		.amdhsa_exception_fp_ieee_invalid_op 0
		.amdhsa_exception_fp_denorm_src 0
		.amdhsa_exception_fp_ieee_div_zero 0
		.amdhsa_exception_fp_ieee_overflow 0
		.amdhsa_exception_fp_ieee_underflow 0
		.amdhsa_exception_fp_ieee_inexact 0
		.amdhsa_exception_int_div_zero 0
	.end_amdhsa_kernel
	.section	.text._ZN2at6native12_GLOBAL__N_125multi_tensor_apply_kernelINS1_18TensorListMetadataILi2EEENS1_11CopyFunctorIN3c104HalfENS6_8BFloat16ELi2ELi1ELi1EEEJNS0_4CopyIS7_S8_EEEEEvT_T0_DpT1_,"axG",@progbits,_ZN2at6native12_GLOBAL__N_125multi_tensor_apply_kernelINS1_18TensorListMetadataILi2EEENS1_11CopyFunctorIN3c104HalfENS6_8BFloat16ELi2ELi1ELi1EEEJNS0_4CopyIS7_S8_EEEEEvT_T0_DpT1_,comdat
.Lfunc_end310:
	.size	_ZN2at6native12_GLOBAL__N_125multi_tensor_apply_kernelINS1_18TensorListMetadataILi2EEENS1_11CopyFunctorIN3c104HalfENS6_8BFloat16ELi2ELi1ELi1EEEJNS0_4CopyIS7_S8_EEEEEvT_T0_DpT1_, .Lfunc_end310-_ZN2at6native12_GLOBAL__N_125multi_tensor_apply_kernelINS1_18TensorListMetadataILi2EEENS1_11CopyFunctorIN3c104HalfENS6_8BFloat16ELi2ELi1ELi1EEEJNS0_4CopyIS7_S8_EEEEEvT_T0_DpT1_
                                        ; -- End function
	.section	.AMDGPU.csdata,"",@progbits
; Kernel info:
; codeLenInByte = 1516
; NumSgprs: 18
; NumVgprs: 31
; ScratchSize: 0
; MemoryBound: 0
; FloatMode: 240
; IeeeMode: 1
; LDSByteSize: 0 bytes/workgroup (compile time only)
; SGPRBlocks: 2
; VGPRBlocks: 3
; NumSGPRsForWavesPerEU: 18
; NumVGPRsForWavesPerEU: 31
; Occupancy: 16
; WaveLimiterHint : 0
; COMPUTE_PGM_RSRC2:SCRATCH_EN: 0
; COMPUTE_PGM_RSRC2:USER_SGPR: 15
; COMPUTE_PGM_RSRC2:TRAP_HANDLER: 0
; COMPUTE_PGM_RSRC2:TGID_X_EN: 1
; COMPUTE_PGM_RSRC2:TGID_Y_EN: 0
; COMPUTE_PGM_RSRC2:TGID_Z_EN: 0
; COMPUTE_PGM_RSRC2:TIDIG_COMP_CNT: 0
	.section	.text._ZN2at6native12_GLOBAL__N_125multi_tensor_apply_kernelINS1_18TensorListMetadataILi2EEENS1_11CopyFunctorIN3c104HalfEbLi2ELi1ELi1EEEJNS0_4CopyIS7_bEEEEEvT_T0_DpT1_,"axG",@progbits,_ZN2at6native12_GLOBAL__N_125multi_tensor_apply_kernelINS1_18TensorListMetadataILi2EEENS1_11CopyFunctorIN3c104HalfEbLi2ELi1ELi1EEEJNS0_4CopyIS7_bEEEEEvT_T0_DpT1_,comdat
	.globl	_ZN2at6native12_GLOBAL__N_125multi_tensor_apply_kernelINS1_18TensorListMetadataILi2EEENS1_11CopyFunctorIN3c104HalfEbLi2ELi1ELi1EEEJNS0_4CopyIS7_bEEEEEvT_T0_DpT1_ ; -- Begin function _ZN2at6native12_GLOBAL__N_125multi_tensor_apply_kernelINS1_18TensorListMetadataILi2EEENS1_11CopyFunctorIN3c104HalfEbLi2ELi1ELi1EEEJNS0_4CopyIS7_bEEEEEvT_T0_DpT1_
	.p2align	8
	.type	_ZN2at6native12_GLOBAL__N_125multi_tensor_apply_kernelINS1_18TensorListMetadataILi2EEENS1_11CopyFunctorIN3c104HalfEbLi2ELi1ELi1EEEJNS0_4CopyIS7_bEEEEEvT_T0_DpT1_,@function
_ZN2at6native12_GLOBAL__N_125multi_tensor_apply_kernelINS1_18TensorListMetadataILi2EEENS1_11CopyFunctorIN3c104HalfEbLi2ELi1ELi1EEEJNS0_4CopyIS7_bEEEEEvT_T0_DpT1_: ; @_ZN2at6native12_GLOBAL__N_125multi_tensor_apply_kernelINS1_18TensorListMetadataILi2EEENS1_11CopyFunctorIN3c104HalfEbLi2ELi1ELi1EEEJNS0_4CopyIS7_bEEEEEvT_T0_DpT1_
; %bb.0:
	v_mov_b32_e32 v1, s15
	s_add_u32 s2, s0, s15
	s_mul_hi_u32 s3, s15, 3
	s_mul_i32 s15, s15, 3
	s_addc_u32 s4, s1, 0
	global_load_u8 v1, v1, s[0:1] offset:1536
	s_add_u32 s2, s2, s15
	s_addc_u32 s3, s4, s3
	s_mov_b32 s17, 0
	s_load_b32 s12, s[2:3], 0x740
	s_mov_b32 s19, s17
	s_waitcnt lgkmcnt(0)
	s_ashr_i32 s13, s12, 31
	s_delay_alu instid0(SALU_CYCLE_1) | instskip(SKIP_2) | instid1(VALU_DEP_1)
	s_lshl_b64 s[10:11], s[12:13], 16
	s_waitcnt vmcnt(0)
	v_readfirstlane_b32 s5, v1
	s_lshl_b32 s2, s5, 3
	s_clause 0x2
	s_load_b64 s[8:9], s[0:1], s2 offset:0x0
	s_load_b64 s[14:15], s[0:1], s2 offset:0x200
	;; [unrolled: 1-line block ×3, first 2 shown]
	s_waitcnt lgkmcnt(0)
	s_add_u32 s3, s8, s10
	s_addc_u32 s6, s9, s11
	s_and_b32 s2, s14, 7
	s_and_b32 s7, s4, 3
	;; [unrolled: 1-line block ×3, first 2 shown]
	s_or_b32 s18, s7, s2
	s_mov_b32 s2, -1
	s_or_b64 s[16:17], s[16:17], s[18:19]
	s_sub_u32 s4, s4, s10
	s_subb_u32 s5, s5, s11
	s_cmp_eq_u64 s[16:17], 0
	s_cbranch_scc0 .LBB311_5
; %bb.1:
	v_dual_mov_b32 v2, 0 :: v_dual_lshlrev_b32 v1, 2, v0
	s_mov_b32 s7, exec_lo
	s_delay_alu instid0(VALU_DEP_1)
	v_cmpx_gt_i64_e64 s[4:5], v[1:2]
	s_cbranch_execz .LBB311_4
; %bb.2:
	s_load_b32 s2, s[0:1], 0xc5c
	v_lshlrev_b32_e32 v3, 3, v0
	s_lshl_b64 s[18:19], s[12:13], 17
	s_waitcnt lgkmcnt(0)
	s_and_b32 s2, s2, 0xffff
	s_delay_alu instid0(SALU_CYCLE_1) | instskip(SKIP_3) | instid1(VALU_DEP_1)
	s_lshl_b32 s16, s2, 2
	s_add_u32 s17, s14, s18
	s_addc_u32 s18, s15, s19
	v_add_co_u32 v3, s17, s17, v3
	v_add_co_ci_u32_e64 v4, null, s18, 0, s17
	s_mov_b32 s17, 0
	s_lshl_b32 s18, s2, 3
.LBB311_3:                              ; =>This Inner Loop Header: Depth=1
	v_add_co_u32 v5, vcc_lo, s3, v1
	v_add_co_ci_u32_e32 v6, vcc_lo, s6, v2, vcc_lo
	v_add_co_u32 v1, vcc_lo, s16, v1
	v_add_co_ci_u32_e32 v2, vcc_lo, 0, v2, vcc_lo
	global_load_b32 v5, v[5:6], off
	v_cmp_le_i64_e32 vcc_lo, s[4:5], v[1:2]
	v_cmp_lt_u64_e64 s2, 0xffff, v[1:2]
	s_delay_alu instid0(VALU_DEP_1) | instskip(NEXT) | instid1(SALU_CYCLE_1)
	s_or_b32 s2, vcc_lo, s2
	s_and_b32 s2, exec_lo, s2
	s_delay_alu instid0(SALU_CYCLE_1)
	s_or_b32 s17, s2, s17
	s_waitcnt vmcnt(0)
	v_and_b32_e32 v7, 1, v5
	v_and_b32_e32 v8, 0x10000, v5
	v_lshrrev_b16 v6, 8, v5
	v_and_b32_e32 v5, 0x1000000, v5
	s_delay_alu instid0(VALU_DEP_4) | instskip(NEXT) | instid1(VALU_DEP_3)
	v_cmp_eq_u32_e32 vcc_lo, 1, v7
	v_and_b32_e32 v6, 1, v6
	v_cndmask_b32_e64 v7, 0, 1.0, vcc_lo
	v_cmp_ne_u32_e32 vcc_lo, 0, v8
	s_delay_alu instid0(VALU_DEP_2) | instskip(SKIP_2) | instid1(VALU_DEP_2)
	v_cvt_f16_f32_e32 v7, v7
	v_cndmask_b32_e64 v8, 0, 1.0, vcc_lo
	v_cmp_ne_u32_e32 vcc_lo, 0, v5
	v_cvt_f16_f32_e32 v8, v8
	v_cndmask_b32_e64 v5, 0, 1.0, vcc_lo
	v_cmp_eq_u32_e32 vcc_lo, 1, v6
	s_delay_alu instid0(VALU_DEP_2) | instskip(SKIP_1) | instid1(VALU_DEP_1)
	v_cvt_f16_f32_e32 v5, v5
	v_cndmask_b32_e64 v6, 0, 1.0, vcc_lo
	v_cvt_f16_f32_e32 v9, v6
	s_delay_alu instid0(VALU_DEP_3) | instskip(NEXT) | instid1(VALU_DEP_2)
	v_pack_b32_f16 v6, v8, v5
	v_pack_b32_f16 v5, v7, v9
	global_store_b64 v[3:4], v[5:6], off
	v_add_co_u32 v3, vcc_lo, v3, s18
	v_add_co_ci_u32_e32 v4, vcc_lo, 0, v4, vcc_lo
	s_and_not1_b32 exec_lo, exec_lo, s17
	s_cbranch_execnz .LBB311_3
.LBB311_4:
	s_or_b32 exec_lo, exec_lo, s7
	s_mov_b32 s2, 0
.LBB311_5:
	s_delay_alu instid0(SALU_CYCLE_1)
	s_and_not1_b32 vcc_lo, exec_lo, s2
	s_cbranch_vccnz .LBB311_25
; %bb.6:
	v_cmp_lt_i64_e64 s2, s[4:5], 1
	s_delay_alu instid0(VALU_DEP_1)
	s_and_b32 vcc_lo, exec_lo, s2
	s_cbranch_vccnz .LBB311_25
; %bb.7:
	s_load_b32 s0, s[0:1], 0xc5c
	v_cmp_gt_u64_e64 s1, 0x10000, s[4:5]
	v_add_co_u32 v3, s2, s10, v0
	s_delay_alu instid0(VALU_DEP_1) | instskip(SKIP_1) | instid1(VALU_DEP_3)
	v_add_co_ci_u32_e64 v4, null, s11, 0, s2
	v_lshlrev_b32_e32 v1, 1, v0
	v_add_co_u32 v13, vcc_lo, s8, v3
	s_delay_alu instid0(VALU_DEP_3)
	v_add_co_ci_u32_e32 v14, vcc_lo, s9, v4, vcc_lo
                                        ; implicit-def: $vgpr27
                                        ; implicit-def: $vgpr28
                                        ; implicit-def: $vgpr29
                                        ; implicit-def: $vgpr30
	s_waitcnt lgkmcnt(0)
	s_and_b32 s2, s0, 0xffff
	s_and_b32 s0, s1, exec_lo
	s_cselect_b32 s7, s5, 0
	s_cselect_b32 s6, s4, 0x10000
	s_lshl_b64 s[0:1], s[12:13], 17
	s_lshl_b32 s3, s2, 1
	s_lshl_b32 s12, s2, 2
	s_add_u32 s0, s14, s0
	s_mul_i32 s16, s2, 3
	s_addc_u32 s1, s15, s1
	s_lshl_b32 s13, s2, 3
	v_add_co_u32 v1, s15, s0, v1
	s_add_u32 s14, s10, s16
	v_add_co_ci_u32_e64 v2, null, s1, 0, s15
	s_addc_u32 s15, s11, 0
	s_add_u32 s14, s8, s14
	s_addc_u32 s15, s9, s15
	s_add_u32 s10, s10, s3
	v_add_co_u32 v21, s3, s3, v0
	s_delay_alu instid0(VALU_DEP_1) | instskip(SKIP_4) | instid1(VALU_DEP_1)
	v_add_co_ci_u32_e64 v22, null, 0, 0, s3
	v_add_co_u32 v23, s3, v0, s2
	s_addc_u32 s11, s11, 0
	s_add_u32 s10, s8, s10
	s_addc_u32 s11, s9, s11
	v_lshlrev_b32_e32 v5, 1, v23
	v_add_co_u32 v15, s14, s14, v0
	s_add_u32 s8, s8, s2
	v_add_co_ci_u32_e64 v16, null, s15, 0, s14
	v_add_co_u32 v17, s14, s16, v0
	v_add_co_u32 v19, s10, s10, v0
	s_addc_u32 s9, s9, 0
	v_add_co_u32 v25, vcc_lo, s8, v3
	v_add_co_u32 v3, s0, s0, v5
	v_add_co_ci_u32_e64 v18, null, 0, 0, s14
	v_add_co_ci_u32_e64 v20, null, s11, 0, s10
	;; [unrolled: 1-line block ×3, first 2 shown]
	v_add_co_ci_u32_e32 v26, vcc_lo, s9, v4, vcc_lo
	v_add_co_ci_u32_e64 v4, null, s1, 0, s0
	s_mul_i32 s10, s2, 6
	s_mov_b64 s[8:9], 0
	s_branch .LBB311_9
.LBB311_8:                              ;   in Loop: Header=BB311_9 Depth=1
	s_or_b32 exec_lo, exec_lo, s1
	s_add_u32 s8, s8, s12
	s_addc_u32 s9, s9, 0
	v_add_co_u32 v1, vcc_lo, v1, s13
	v_cmp_ge_i64_e64 s0, s[8:9], s[4:5]
	v_cmp_lt_u64_e64 s1, 0xffff, s[8:9]
	v_add_co_ci_u32_e32 v2, vcc_lo, 0, v2, vcc_lo
	v_add_co_u32 v3, vcc_lo, v3, s13
	v_add_co_ci_u32_e32 v4, vcc_lo, 0, v4, vcc_lo
	s_delay_alu instid0(VALU_DEP_4) | instskip(NEXT) | instid1(SALU_CYCLE_1)
	s_or_b32 s0, s0, s1
	s_and_b32 vcc_lo, exec_lo, s0
	s_cbranch_vccnz .LBB311_25
.LBB311_9:                              ; =>This Inner Loop Header: Depth=1
	v_add_co_u32 v5, s0, v0, s8
	s_delay_alu instid0(VALU_DEP_1) | instskip(NEXT) | instid1(VALU_DEP_1)
	v_add_co_ci_u32_e64 v6, null, 0, s9, s0
	v_cmp_gt_i64_e32 vcc_lo, s[4:5], v[5:6]
	v_cmp_gt_u64_e64 s0, 0x10000, v[5:6]
	s_delay_alu instid0(VALU_DEP_1) | instskip(NEXT) | instid1(SALU_CYCLE_1)
	s_and_b32 s1, vcc_lo, s0
	s_and_saveexec_b32 s0, s1
	s_cbranch_execz .LBB311_11
; %bb.10:                               ;   in Loop: Header=BB311_9 Depth=1
	v_add_co_u32 v7, vcc_lo, v13, s8
	v_add_co_ci_u32_e32 v8, vcc_lo, s9, v14, vcc_lo
	global_load_u8 v27, v[7:8], off
.LBB311_11:                             ;   in Loop: Header=BB311_9 Depth=1
	s_or_b32 exec_lo, exec_lo, s0
	v_add_co_u32 v7, vcc_lo, v23, s8
	v_add_co_ci_u32_e32 v8, vcc_lo, s9, v24, vcc_lo
	s_delay_alu instid0(VALU_DEP_1) | instskip(SKIP_1) | instid1(VALU_DEP_1)
	v_cmp_gt_i64_e32 vcc_lo, s[4:5], v[7:8]
	v_cmp_gt_u64_e64 s0, 0x10000, v[7:8]
	s_and_b32 s1, vcc_lo, s0
	s_delay_alu instid0(SALU_CYCLE_1)
	s_and_saveexec_b32 s0, s1
	s_cbranch_execz .LBB311_13
; %bb.12:                               ;   in Loop: Header=BB311_9 Depth=1
	v_add_co_u32 v9, vcc_lo, v25, s8
	v_add_co_ci_u32_e32 v10, vcc_lo, s9, v26, vcc_lo
	global_load_u8 v28, v[9:10], off
.LBB311_13:                             ;   in Loop: Header=BB311_9 Depth=1
	s_or_b32 exec_lo, exec_lo, s0
	v_add_co_u32 v9, vcc_lo, v21, s8
	v_add_co_ci_u32_e32 v10, vcc_lo, s9, v22, vcc_lo
	s_delay_alu instid0(VALU_DEP_1) | instskip(SKIP_1) | instid1(VALU_DEP_1)
	v_cmp_gt_i64_e32 vcc_lo, s[4:5], v[9:10]
	v_cmp_gt_u64_e64 s0, 0x10000, v[9:10]
	s_and_b32 s1, vcc_lo, s0
	s_delay_alu instid0(SALU_CYCLE_1)
	;; [unrolled: 15-line block ×3, first 2 shown]
	s_and_saveexec_b32 s0, s1
	s_cbranch_execz .LBB311_17
; %bb.16:                               ;   in Loop: Header=BB311_9 Depth=1
	v_add_co_u32 v30, vcc_lo, v15, s8
	v_add_co_ci_u32_e32 v31, vcc_lo, s9, v16, vcc_lo
	global_load_u8 v30, v[30:31], off
.LBB311_17:                             ;   in Loop: Header=BB311_9 Depth=1
	s_or_b32 exec_lo, exec_lo, s0
	s_waitcnt vmcnt(0)
	v_and_b32_e32 v31, 1, v27
	v_and_b32_e32 v32, 1, v28
	;; [unrolled: 1-line block ×4, first 2 shown]
	s_mov_b32 s11, exec_lo
	v_cmp_eq_u32_e64 s2, 1, v31
	v_cmp_eq_u32_e64 s1, 1, v32
	;; [unrolled: 1-line block ×3, first 2 shown]
	v_cmp_eq_u32_e32 vcc_lo, 1, v34
	v_cmpx_gt_u64_e64 s[6:7], v[5:6]
	s_cbranch_execnz .LBB311_21
; %bb.18:                               ;   in Loop: Header=BB311_9 Depth=1
	s_or_b32 exec_lo, exec_lo, s11
	s_delay_alu instid0(SALU_CYCLE_1)
	s_mov_b32 s3, exec_lo
	v_cmpx_gt_u64_e64 s[6:7], v[7:8]
	s_cbranch_execnz .LBB311_22
.LBB311_19:                             ;   in Loop: Header=BB311_9 Depth=1
	s_or_b32 exec_lo, exec_lo, s3
	s_delay_alu instid0(SALU_CYCLE_1)
	s_mov_b32 s2, exec_lo
	v_cmpx_gt_u64_e64 s[6:7], v[9:10]
	s_cbranch_execnz .LBB311_23
.LBB311_20:                             ;   in Loop: Header=BB311_9 Depth=1
	s_or_b32 exec_lo, exec_lo, s2
	s_delay_alu instid0(SALU_CYCLE_1)
	s_mov_b32 s1, exec_lo
	v_cmpx_gt_u64_e64 s[6:7], v[11:12]
	s_cbranch_execz .LBB311_8
	s_branch .LBB311_24
.LBB311_21:                             ;   in Loop: Header=BB311_9 Depth=1
	v_cndmask_b32_e64 v5, 0, 1.0, s2
	s_delay_alu instid0(VALU_DEP_1) | instskip(SKIP_2) | instid1(SALU_CYCLE_1)
	v_cvt_f16_f32_e32 v5, v5
	global_store_b16 v[1:2], v5, off
	s_or_b32 exec_lo, exec_lo, s11
	s_mov_b32 s3, exec_lo
	v_cmpx_gt_u64_e64 s[6:7], v[7:8]
	s_cbranch_execz .LBB311_19
.LBB311_22:                             ;   in Loop: Header=BB311_9 Depth=1
	v_cndmask_b32_e64 v5, 0, 1.0, s1
	s_delay_alu instid0(VALU_DEP_1) | instskip(SKIP_2) | instid1(SALU_CYCLE_1)
	v_cvt_f16_f32_e32 v5, v5
	global_store_b16 v[3:4], v5, off
	s_or_b32 exec_lo, exec_lo, s3
	s_mov_b32 s2, exec_lo
	v_cmpx_gt_u64_e64 s[6:7], v[9:10]
	s_cbranch_execz .LBB311_20
.LBB311_23:                             ;   in Loop: Header=BB311_9 Depth=1
	v_cndmask_b32_e64 v5, 0, 1.0, s0
	s_delay_alu instid0(VALU_DEP_1) | instskip(SKIP_1) | instid1(VALU_DEP_1)
	v_cvt_f16_f32_e32 v7, v5
	v_add_co_u32 v5, s0, v1, s12
	v_add_co_ci_u32_e64 v6, s0, 0, v2, s0
	global_store_b16 v[5:6], v7, off
	s_or_b32 exec_lo, exec_lo, s2
	s_delay_alu instid0(SALU_CYCLE_1)
	s_mov_b32 s1, exec_lo
	v_cmpx_gt_u64_e64 s[6:7], v[11:12]
	s_cbranch_execz .LBB311_8
.LBB311_24:                             ;   in Loop: Header=BB311_9 Depth=1
	v_cndmask_b32_e64 v5, 0, 1.0, vcc_lo
	s_delay_alu instid0(VALU_DEP_1)
	v_cvt_f16_f32_e32 v7, v5
	v_add_co_u32 v5, vcc_lo, v1, s10
	v_add_co_ci_u32_e32 v6, vcc_lo, 0, v2, vcc_lo
	global_store_b16 v[5:6], v7, off
	s_branch .LBB311_8
.LBB311_25:
	s_nop 0
	s_sendmsg sendmsg(MSG_DEALLOC_VGPRS)
	s_endpgm
	.section	.rodata,"a",@progbits
	.p2align	6, 0x0
	.amdhsa_kernel _ZN2at6native12_GLOBAL__N_125multi_tensor_apply_kernelINS1_18TensorListMetadataILi2EEENS1_11CopyFunctorIN3c104HalfEbLi2ELi1ELi1EEEJNS0_4CopyIS7_bEEEEEvT_T0_DpT1_
		.amdhsa_group_segment_fixed_size 0
		.amdhsa_private_segment_fixed_size 0
		.amdhsa_kernarg_size 3408
		.amdhsa_user_sgpr_count 15
		.amdhsa_user_sgpr_dispatch_ptr 0
		.amdhsa_user_sgpr_queue_ptr 0
		.amdhsa_user_sgpr_kernarg_segment_ptr 1
		.amdhsa_user_sgpr_dispatch_id 0
		.amdhsa_user_sgpr_private_segment_size 0
		.amdhsa_wavefront_size32 1
		.amdhsa_uses_dynamic_stack 0
		.amdhsa_enable_private_segment 0
		.amdhsa_system_sgpr_workgroup_id_x 1
		.amdhsa_system_sgpr_workgroup_id_y 0
		.amdhsa_system_sgpr_workgroup_id_z 0
		.amdhsa_system_sgpr_workgroup_info 0
		.amdhsa_system_vgpr_workitem_id 0
		.amdhsa_next_free_vgpr 35
		.amdhsa_next_free_sgpr 20
		.amdhsa_reserve_vcc 1
		.amdhsa_float_round_mode_32 0
		.amdhsa_float_round_mode_16_64 0
		.amdhsa_float_denorm_mode_32 3
		.amdhsa_float_denorm_mode_16_64 3
		.amdhsa_dx10_clamp 1
		.amdhsa_ieee_mode 1
		.amdhsa_fp16_overflow 0
		.amdhsa_workgroup_processor_mode 1
		.amdhsa_memory_ordered 1
		.amdhsa_forward_progress 0
		.amdhsa_shared_vgpr_count 0
		.amdhsa_exception_fp_ieee_invalid_op 0
		.amdhsa_exception_fp_denorm_src 0
		.amdhsa_exception_fp_ieee_div_zero 0
		.amdhsa_exception_fp_ieee_overflow 0
		.amdhsa_exception_fp_ieee_underflow 0
		.amdhsa_exception_fp_ieee_inexact 0
		.amdhsa_exception_int_div_zero 0
	.end_amdhsa_kernel
	.section	.text._ZN2at6native12_GLOBAL__N_125multi_tensor_apply_kernelINS1_18TensorListMetadataILi2EEENS1_11CopyFunctorIN3c104HalfEbLi2ELi1ELi1EEEJNS0_4CopyIS7_bEEEEEvT_T0_DpT1_,"axG",@progbits,_ZN2at6native12_GLOBAL__N_125multi_tensor_apply_kernelINS1_18TensorListMetadataILi2EEENS1_11CopyFunctorIN3c104HalfEbLi2ELi1ELi1EEEJNS0_4CopyIS7_bEEEEEvT_T0_DpT1_,comdat
.Lfunc_end311:
	.size	_ZN2at6native12_GLOBAL__N_125multi_tensor_apply_kernelINS1_18TensorListMetadataILi2EEENS1_11CopyFunctorIN3c104HalfEbLi2ELi1ELi1EEEJNS0_4CopyIS7_bEEEEEvT_T0_DpT1_, .Lfunc_end311-_ZN2at6native12_GLOBAL__N_125multi_tensor_apply_kernelINS1_18TensorListMetadataILi2EEENS1_11CopyFunctorIN3c104HalfEbLi2ELi1ELi1EEEJNS0_4CopyIS7_bEEEEEvT_T0_DpT1_
                                        ; -- End function
	.section	.AMDGPU.csdata,"",@progbits
; Kernel info:
; codeLenInByte = 1532
; NumSgprs: 22
; NumVgprs: 35
; ScratchSize: 0
; MemoryBound: 0
; FloatMode: 240
; IeeeMode: 1
; LDSByteSize: 0 bytes/workgroup (compile time only)
; SGPRBlocks: 2
; VGPRBlocks: 4
; NumSGPRsForWavesPerEU: 22
; NumVGPRsForWavesPerEU: 35
; Occupancy: 16
; WaveLimiterHint : 0
; COMPUTE_PGM_RSRC2:SCRATCH_EN: 0
; COMPUTE_PGM_RSRC2:USER_SGPR: 15
; COMPUTE_PGM_RSRC2:TRAP_HANDLER: 0
; COMPUTE_PGM_RSRC2:TGID_X_EN: 1
; COMPUTE_PGM_RSRC2:TGID_Y_EN: 0
; COMPUTE_PGM_RSRC2:TGID_Z_EN: 0
; COMPUTE_PGM_RSRC2:TIDIG_COMP_CNT: 0
	.section	.text._ZN2at6native12_GLOBAL__N_125multi_tensor_apply_kernelINS1_18TensorListMetadataILi2EEENS1_11CopyFunctorIN3c104HalfENS6_13Float8_e4m3fnELi2ELi1ELi1EEEJNS0_4CopyIS7_S8_EEEEEvT_T0_DpT1_,"axG",@progbits,_ZN2at6native12_GLOBAL__N_125multi_tensor_apply_kernelINS1_18TensorListMetadataILi2EEENS1_11CopyFunctorIN3c104HalfENS6_13Float8_e4m3fnELi2ELi1ELi1EEEJNS0_4CopyIS7_S8_EEEEEvT_T0_DpT1_,comdat
	.globl	_ZN2at6native12_GLOBAL__N_125multi_tensor_apply_kernelINS1_18TensorListMetadataILi2EEENS1_11CopyFunctorIN3c104HalfENS6_13Float8_e4m3fnELi2ELi1ELi1EEEJNS0_4CopyIS7_S8_EEEEEvT_T0_DpT1_ ; -- Begin function _ZN2at6native12_GLOBAL__N_125multi_tensor_apply_kernelINS1_18TensorListMetadataILi2EEENS1_11CopyFunctorIN3c104HalfENS6_13Float8_e4m3fnELi2ELi1ELi1EEEJNS0_4CopyIS7_S8_EEEEEvT_T0_DpT1_
	.p2align	8
	.type	_ZN2at6native12_GLOBAL__N_125multi_tensor_apply_kernelINS1_18TensorListMetadataILi2EEENS1_11CopyFunctorIN3c104HalfENS6_13Float8_e4m3fnELi2ELi1ELi1EEEJNS0_4CopyIS7_S8_EEEEEvT_T0_DpT1_,@function
_ZN2at6native12_GLOBAL__N_125multi_tensor_apply_kernelINS1_18TensorListMetadataILi2EEENS1_11CopyFunctorIN3c104HalfENS6_13Float8_e4m3fnELi2ELi1ELi1EEEJNS0_4CopyIS7_S8_EEEEEvT_T0_DpT1_: ; @_ZN2at6native12_GLOBAL__N_125multi_tensor_apply_kernelINS1_18TensorListMetadataILi2EEENS1_11CopyFunctorIN3c104HalfENS6_13Float8_e4m3fnELi2ELi1ELi1EEEJNS0_4CopyIS7_S8_EEEEEvT_T0_DpT1_
; %bb.0:
	v_mov_b32_e32 v1, s15
	s_add_u32 s2, s0, s15
	s_mul_hi_u32 s3, s15, 3
	s_mul_i32 s15, s15, 3
	s_addc_u32 s4, s1, 0
	global_load_u8 v1, v1, s[0:1] offset:1536
	s_add_u32 s2, s2, s15
	s_addc_u32 s3, s4, s3
	s_load_b32 s10, s[2:3], 0x740
	s_waitcnt lgkmcnt(0)
	s_ashr_i32 s11, s10, 31
	s_delay_alu instid0(SALU_CYCLE_1) | instskip(SKIP_2) | instid1(VALU_DEP_1)
	s_lshl_b64 s[8:9], s[10:11], 16
	s_waitcnt vmcnt(0)
	v_readfirstlane_b32 s5, v1
	s_lshl_b32 s2, s5, 3
	s_mov_b32 s5, 0
	s_clause 0x2
	s_load_b64 s[6:7], s[0:1], s2 offset:0x0
	s_load_b64 s[12:13], s[0:1], s2 offset:0x200
	s_load_b64 s[2:3], s[0:1], s2 offset:0x400
	s_waitcnt lgkmcnt(0)
	s_add_u32 s14, s6, s8
	s_addc_u32 s15, s7, s9
	s_and_b32 s16, s12, 7
	s_and_b32 s17, s2, 3
	;; [unrolled: 1-line block ×3, first 2 shown]
	s_or_b32 s16, s17, s16
	s_mov_b32 s17, s5
	s_delay_alu instid0(SALU_CYCLE_1)
	s_or_b64 s[16:17], s[4:5], s[16:17]
	s_sub_u32 s4, s2, s8
	s_subb_u32 s5, s3, s9
	s_cmp_eq_u64 s[16:17], 0
	s_mov_b32 s2, -1
	s_cbranch_scc0 .LBB312_5
; %bb.1:
	v_dual_mov_b32 v2, 0 :: v_dual_lshlrev_b32 v1, 2, v0
	s_mov_b32 s16, exec_lo
	s_delay_alu instid0(VALU_DEP_1)
	v_cmpx_gt_i64_e64 s[4:5], v[1:2]
	s_cbranch_execz .LBB312_4
; %bb.2:
	s_load_b32 s17, s[0:1], 0xc5c
	v_lshlrev_b32_e32 v3, 3, v0
	s_lshl_b64 s[2:3], s[10:11], 17
	s_mov_b32 s18, 0
	s_waitcnt lgkmcnt(0)
	s_and_b32 s19, s17, 0xffff
	s_delay_alu instid0(SALU_CYCLE_1) | instskip(SKIP_3) | instid1(VALU_DEP_1)
	s_lshl_b32 s17, s19, 2
	s_add_u32 s2, s12, s2
	s_addc_u32 s3, s13, s3
	v_add_co_u32 v3, s2, s2, v3
	v_add_co_ci_u32_e64 v4, null, s3, 0, s2
	s_lshl_b32 s19, s19, 3
.LBB312_3:                              ; =>This Inner Loop Header: Depth=1
	v_add_co_u32 v5, vcc_lo, s14, v1
	v_add_co_ci_u32_e32 v6, vcc_lo, s15, v2, vcc_lo
	v_add_co_u32 v1, vcc_lo, s17, v1
	v_add_co_ci_u32_e32 v2, vcc_lo, 0, v2, vcc_lo
	global_load_b32 v5, v[5:6], off
	v_cmp_le_i64_e32 vcc_lo, s[4:5], v[1:2]
	v_cmp_lt_u64_e64 s2, 0xffff, v[1:2]
	s_delay_alu instid0(VALU_DEP_1) | instskip(NEXT) | instid1(SALU_CYCLE_1)
	s_or_b32 s2, vcc_lo, s2
	s_and_b32 s20, exec_lo, s2
	s_delay_alu instid0(SALU_CYCLE_1)
	s_or_b32 s18, s20, s18
	s_waitcnt vmcnt(0)
	v_and_b32_e32 v9, 0x7f000000, v5
	v_lshlrev_b32_e32 v8, 8, v5
	v_lshlrev_b32_e32 v6, 24, v5
	;; [unrolled: 1-line block ×3, first 2 shown]
	s_delay_alu instid0(VALU_DEP_4) | instskip(NEXT) | instid1(VALU_DEP_4)
	v_clz_i32_u32_e32 v13, v9
	v_and_b32_e32 v12, 0x7f000000, v8
	v_add_nc_u32_e32 v14, 0x1000000, v9
	v_and_b32_e32 v10, 0x7f000000, v6
	v_cmp_ne_u32_e32 vcc_lo, 0, v9
	v_min_u32_e32 v13, 32, v13
	v_clz_i32_u32_e32 v19, v12
	v_ashrrev_i32_e32 v14, 8, v14
	v_clz_i32_u32_e32 v15, v10
	v_add_nc_u32_e32 v20, 0x1000000, v12
	v_sub_nc_u32_e64 v13, v13, 4 clamp
	v_min_u32_e32 v19, 32, v19
	v_cmp_ne_u32_e64 s3, 0, v12
	v_min_u32_e32 v15, 32, v15
	v_add_nc_u32_e32 v16, 0x1000000, v10
	v_lshlrev_b32_e32 v21, v13, v9
	v_lshlrev_b32_e32 v13, 23, v13
	v_sub_nc_u32_e64 v19, v19, 4 clamp
	v_sub_nc_u32_e64 v15, v15, 4 clamp
	v_ashrrev_i32_e32 v16, 8, v16
	v_lshrrev_b32_e32 v21, 4, v21
	v_ashrrev_i32_e32 v20, 8, v20
	v_lshlrev_b32_e32 v24, v19, v12
	v_lshlrev_b32_e32 v22, v15, v10
	;; [unrolled: 1-line block ×3, first 2 shown]
	v_sub_nc_u32_e32 v13, v21, v13
	v_lshlrev_b32_e32 v19, 23, v19
	v_lshrrev_b32_e32 v24, 4, v24
	v_lshrrev_b32_e32 v22, 4, v22
	s_delay_alu instid0(VALU_DEP_4) | instskip(NEXT) | instid1(VALU_DEP_3)
	v_add_nc_u32_e32 v13, 0x3c000000, v13
	v_sub_nc_u32_e32 v19, v24, v19
	s_delay_alu instid0(VALU_DEP_3) | instskip(NEXT) | instid1(VALU_DEP_3)
	v_sub_nc_u32_e32 v15, v22, v15
	v_and_or_b32 v13, 0x7f800000, v14, v13
	v_and_b32_e32 v11, 0x7f000000, v7
	s_delay_alu instid0(VALU_DEP_4) | instskip(NEXT) | instid1(VALU_DEP_3)
	v_add_nc_u32_e32 v19, 0x3c000000, v19
	v_dual_cndmask_b32 v12, 0, v13 :: v_dual_add_nc_u32 v15, 0x3c000000, v15
	s_delay_alu instid0(VALU_DEP_3) | instskip(SKIP_1) | instid1(VALU_DEP_3)
	v_clz_i32_u32_e32 v17, v11
	v_add_nc_u32_e32 v18, 0x1000000, v11
	v_and_or_b32 v9, 0x7f800000, v16, v15
	v_cmp_ne_u32_e64 s2, 0, v11
	v_cmp_ne_u32_e32 vcc_lo, 0, v10
	v_min_u32_e32 v17, 32, v17
	v_ashrrev_i32_e32 v18, 8, v18
	v_and_or_b32 v5, 0x80000000, v5, v12
	v_cndmask_b32_e32 v9, 0, v9, vcc_lo
	s_delay_alu instid0(VALU_DEP_4) | instskip(NEXT) | instid1(VALU_DEP_3)
	v_sub_nc_u32_e64 v17, v17, 4 clamp
	v_cvt_f16_f32_e32 v5, v5
	s_delay_alu instid0(VALU_DEP_3) | instskip(NEXT) | instid1(VALU_DEP_3)
	v_and_or_b32 v6, 0x80000000, v6, v9
	v_lshlrev_b32_e32 v23, v17, v11
	v_lshlrev_b32_e32 v17, 23, v17
	v_and_or_b32 v11, 0x7f800000, v20, v19
	s_delay_alu instid0(VALU_DEP_4) | instskip(NEXT) | instid1(VALU_DEP_4)
	v_cvt_f16_f32_e32 v9, v6
	v_lshrrev_b32_e32 v23, 4, v23
	s_delay_alu instid0(VALU_DEP_3) | instskip(NEXT) | instid1(VALU_DEP_2)
	v_cndmask_b32_e64 v10, 0, v11, s3
	v_sub_nc_u32_e32 v17, v23, v17
	s_delay_alu instid0(VALU_DEP_2) | instskip(NEXT) | instid1(VALU_DEP_2)
	v_and_or_b32 v8, 0x80000000, v8, v10
	v_add_nc_u32_e32 v17, 0x3c000000, v17
	s_delay_alu instid0(VALU_DEP_2) | instskip(NEXT) | instid1(VALU_DEP_2)
	v_cvt_f16_f32_e32 v6, v8
	v_and_or_b32 v14, 0x7f800000, v18, v17
	s_delay_alu instid0(VALU_DEP_2) | instskip(NEXT) | instid1(VALU_DEP_2)
	v_pack_b32_f16 v6, v6, v5
	v_cndmask_b32_e64 v11, 0, v14, s2
	s_delay_alu instid0(VALU_DEP_1) | instskip(NEXT) | instid1(VALU_DEP_1)
	v_and_or_b32 v7, 0x80000000, v7, v11
	v_cvt_f16_f32_e32 v7, v7
	s_delay_alu instid0(VALU_DEP_1)
	v_pack_b32_f16 v5, v9, v7
	global_store_b64 v[3:4], v[5:6], off
	v_add_co_u32 v3, vcc_lo, v3, s19
	v_add_co_ci_u32_e32 v4, vcc_lo, 0, v4, vcc_lo
	s_and_not1_b32 exec_lo, exec_lo, s18
	s_cbranch_execnz .LBB312_3
.LBB312_4:
	s_or_b32 exec_lo, exec_lo, s16
	s_mov_b32 s2, 0
.LBB312_5:
	s_delay_alu instid0(SALU_CYCLE_1)
	s_and_not1_b32 vcc_lo, exec_lo, s2
	s_cbranch_vccnz .LBB312_25
; %bb.6:
	v_cmp_lt_i64_e64 s2, s[4:5], 1
	s_delay_alu instid0(VALU_DEP_1)
	s_and_b32 vcc_lo, exec_lo, s2
	s_cbranch_vccnz .LBB312_25
; %bb.7:
	s_load_b32 s0, s[0:1], 0xc5c
	v_cmp_gt_u64_e64 s1, 0x10000, s[4:5]
	v_add_co_u32 v3, s2, s8, v0
	v_lshlrev_b32_e32 v1, 1, v0
	v_add_co_ci_u32_e64 v4, null, s9, 0, s2
	s_delay_alu instid0(VALU_DEP_3) | instskip(NEXT) | instid1(VALU_DEP_2)
	v_add_co_u32 v13, vcc_lo, s6, v3
                                        ; implicit-def: $vgpr27
                                        ; implicit-def: $vgpr28
                                        ; implicit-def: $vgpr29
                                        ; implicit-def: $vgpr30
	v_add_co_ci_u32_e32 v14, vcc_lo, s7, v4, vcc_lo
	s_waitcnt lgkmcnt(0)
	s_and_b32 s0, s0, 0xffff
	s_and_b32 s1, s1, exec_lo
	s_cselect_b32 s3, s5, 0
	s_cselect_b32 s2, s4, 0x10000
	s_lshl_b64 s[10:11], s[10:11], 17
	s_lshl_b32 s14, s0, 1
	s_lshl_b32 s1, s0, 2
	s_add_u32 s12, s12, s10
	s_mul_i32 s15, s0, 3
	s_addc_u32 s11, s13, s11
	s_lshl_b32 s10, s0, 3
	v_add_co_u32 v1, s16, s12, v1
	s_add_u32 s13, s8, s15
	v_add_co_ci_u32_e64 v2, null, s11, 0, s16
	s_addc_u32 s16, s9, 0
	s_add_u32 s13, s6, s13
	s_addc_u32 s16, s7, s16
	s_add_u32 s8, s8, s14
	;; [unrolled: 2-line block ×3, first 2 shown]
	s_addc_u32 s9, s7, s9
	v_add_co_u32 v19, s8, s8, v0
	s_delay_alu instid0(VALU_DEP_1) | instskip(SKIP_1) | instid1(VALU_DEP_1)
	v_add_co_ci_u32_e64 v20, null, s9, 0, s8
	v_add_co_u32 v21, s8, s14, v0
	v_add_co_ci_u32_e64 v22, null, 0, 0, s8
	v_add_co_u32 v23, s8, v0, s0
	v_add_co_u32 v15, s13, s13, v0
	s_add_u32 s6, s6, s0
	s_delay_alu instid0(VALU_DEP_2)
	v_lshlrev_b32_e32 v5, 1, v23
	v_add_co_ci_u32_e64 v16, null, s16, 0, s13
	v_add_co_u32 v17, s13, s15, v0
	s_addc_u32 s7, s7, 0
	v_add_co_u32 v25, vcc_lo, s6, v3
	v_add_co_u32 v3, s6, s12, v5
	v_add_co_ci_u32_e64 v18, null, 0, 0, s13
	v_add_co_ci_u32_e64 v24, null, 0, 0, s8
	v_add_co_ci_u32_e32 v26, vcc_lo, s7, v4, vcc_lo
	v_add_co_ci_u32_e64 v4, null, s11, 0, s6
	s_mul_i32 s8, s0, 6
	s_mov_b64 s[6:7], 0
	s_branch .LBB312_9
.LBB312_8:                              ;   in Loop: Header=BB312_9 Depth=1
	s_or_b32 exec_lo, exec_lo, s0
	s_add_u32 s6, s6, s1
	s_addc_u32 s7, s7, 0
	v_add_co_u32 v1, vcc_lo, v1, s10
	v_cmp_ge_i64_e64 s0, s[6:7], s[4:5]
	v_cmp_lt_u64_e64 s9, 0xffff, s[6:7]
	v_add_co_ci_u32_e32 v2, vcc_lo, 0, v2, vcc_lo
	v_add_co_u32 v3, vcc_lo, v3, s10
	v_add_co_ci_u32_e32 v4, vcc_lo, 0, v4, vcc_lo
	s_delay_alu instid0(VALU_DEP_4) | instskip(NEXT) | instid1(SALU_CYCLE_1)
	s_or_b32 s0, s0, s9
	s_and_b32 vcc_lo, exec_lo, s0
	s_cbranch_vccnz .LBB312_25
.LBB312_9:                              ; =>This Inner Loop Header: Depth=1
	v_add_co_u32 v11, s0, v0, s6
	s_delay_alu instid0(VALU_DEP_1) | instskip(NEXT) | instid1(VALU_DEP_1)
	v_add_co_ci_u32_e64 v12, null, 0, s7, s0
	v_cmp_gt_i64_e32 vcc_lo, s[4:5], v[11:12]
	v_cmp_gt_u64_e64 s0, 0x10000, v[11:12]
	s_delay_alu instid0(VALU_DEP_1) | instskip(NEXT) | instid1(SALU_CYCLE_1)
	s_and_b32 s9, vcc_lo, s0
	s_and_saveexec_b32 s0, s9
	s_cbranch_execz .LBB312_11
; %bb.10:                               ;   in Loop: Header=BB312_9 Depth=1
	v_add_co_u32 v5, vcc_lo, v13, s6
	v_add_co_ci_u32_e32 v6, vcc_lo, s7, v14, vcc_lo
	global_load_u8 v30, v[5:6], off
.LBB312_11:                             ;   in Loop: Header=BB312_9 Depth=1
	s_or_b32 exec_lo, exec_lo, s0
	v_add_co_u32 v9, vcc_lo, v23, s6
	v_add_co_ci_u32_e32 v10, vcc_lo, s7, v24, vcc_lo
	s_delay_alu instid0(VALU_DEP_1) | instskip(SKIP_1) | instid1(VALU_DEP_1)
	v_cmp_gt_i64_e32 vcc_lo, s[4:5], v[9:10]
	v_cmp_gt_u64_e64 s0, 0x10000, v[9:10]
	s_and_b32 s9, vcc_lo, s0
	s_delay_alu instid0(SALU_CYCLE_1)
	s_and_saveexec_b32 s0, s9
	s_cbranch_execz .LBB312_13
; %bb.12:                               ;   in Loop: Header=BB312_9 Depth=1
	v_add_co_u32 v5, vcc_lo, v25, s6
	v_add_co_ci_u32_e32 v6, vcc_lo, s7, v26, vcc_lo
	global_load_u8 v29, v[5:6], off
.LBB312_13:                             ;   in Loop: Header=BB312_9 Depth=1
	s_or_b32 exec_lo, exec_lo, s0
	v_add_co_u32 v7, vcc_lo, v21, s6
	v_add_co_ci_u32_e32 v8, vcc_lo, s7, v22, vcc_lo
	s_delay_alu instid0(VALU_DEP_1) | instskip(SKIP_1) | instid1(VALU_DEP_1)
	v_cmp_gt_i64_e32 vcc_lo, s[4:5], v[7:8]
	v_cmp_gt_u64_e64 s0, 0x10000, v[7:8]
	s_and_b32 s9, vcc_lo, s0
	s_delay_alu instid0(SALU_CYCLE_1)
	;; [unrolled: 15-line block ×3, first 2 shown]
	s_and_saveexec_b32 s0, s9
	s_cbranch_execnz .LBB312_20
; %bb.16:                               ;   in Loop: Header=BB312_9 Depth=1
	s_or_b32 exec_lo, exec_lo, s0
	s_delay_alu instid0(SALU_CYCLE_1)
	s_mov_b32 s0, exec_lo
	v_cmpx_gt_u64_e64 s[2:3], v[11:12]
	s_cbranch_execnz .LBB312_21
.LBB312_17:                             ;   in Loop: Header=BB312_9 Depth=1
	s_or_b32 exec_lo, exec_lo, s0
	s_delay_alu instid0(SALU_CYCLE_1)
	s_mov_b32 s0, exec_lo
	v_cmpx_gt_u64_e64 s[2:3], v[9:10]
	s_cbranch_execnz .LBB312_22
.LBB312_18:                             ;   in Loop: Header=BB312_9 Depth=1
	s_or_b32 exec_lo, exec_lo, s0
	s_delay_alu instid0(SALU_CYCLE_1)
	s_mov_b32 s0, exec_lo
	v_cmpx_gt_u64_e64 s[2:3], v[7:8]
	s_cbranch_execnz .LBB312_23
.LBB312_19:                             ;   in Loop: Header=BB312_9 Depth=1
	s_or_b32 exec_lo, exec_lo, s0
	s_delay_alu instid0(SALU_CYCLE_1)
	s_mov_b32 s0, exec_lo
	v_cmpx_gt_u64_e64 s[2:3], v[5:6]
	s_cbranch_execz .LBB312_8
	s_branch .LBB312_24
.LBB312_20:                             ;   in Loop: Header=BB312_9 Depth=1
	v_add_co_u32 v31, vcc_lo, v15, s6
	v_add_co_ci_u32_e32 v32, vcc_lo, s7, v16, vcc_lo
	global_load_u8 v27, v[31:32], off
	s_or_b32 exec_lo, exec_lo, s0
	s_delay_alu instid0(SALU_CYCLE_1)
	s_mov_b32 s0, exec_lo
	v_cmpx_gt_u64_e64 s[2:3], v[11:12]
	s_cbranch_execz .LBB312_17
.LBB312_21:                             ;   in Loop: Header=BB312_9 Depth=1
	s_waitcnt vmcnt(0)
	v_lshlrev_b32_e32 v11, 24, v30
	s_delay_alu instid0(VALU_DEP_1) | instskip(NEXT) | instid1(VALU_DEP_1)
	v_and_b32_e32 v12, 0x7f000000, v11
	v_clz_i32_u32_e32 v31, v12
	v_cmp_ne_u32_e32 vcc_lo, 0, v12
	s_delay_alu instid0(VALU_DEP_2) | instskip(NEXT) | instid1(VALU_DEP_1)
	v_min_u32_e32 v31, 32, v31
	v_sub_nc_u32_e64 v31, v31, 4 clamp
	s_delay_alu instid0(VALU_DEP_1) | instskip(SKIP_1) | instid1(VALU_DEP_2)
	v_lshlrev_b32_e32 v32, v31, v12
	v_lshlrev_b32_e32 v31, 23, v31
	v_lshrrev_b32_e32 v32, 4, v32
	s_delay_alu instid0(VALU_DEP_1) | instskip(SKIP_1) | instid1(VALU_DEP_2)
	v_sub_nc_u32_e32 v31, v32, v31
	v_add_nc_u32_e32 v32, 0x1000000, v12
	v_add_nc_u32_e32 v31, 0x3c000000, v31
	s_delay_alu instid0(VALU_DEP_2) | instskip(NEXT) | instid1(VALU_DEP_1)
	v_ashrrev_i32_e32 v32, 8, v32
	v_and_or_b32 v31, 0x7f800000, v32, v31
	s_delay_alu instid0(VALU_DEP_1) | instskip(NEXT) | instid1(VALU_DEP_1)
	v_cndmask_b32_e32 v12, 0, v31, vcc_lo
	v_and_or_b32 v11, 0x80000000, v11, v12
	s_delay_alu instid0(VALU_DEP_1) | instskip(SKIP_2) | instid1(SALU_CYCLE_1)
	v_cvt_f16_f32_e32 v11, v11
	global_store_b16 v[1:2], v11, off
	s_or_b32 exec_lo, exec_lo, s0
	s_mov_b32 s0, exec_lo
	v_cmpx_gt_u64_e64 s[2:3], v[9:10]
	s_cbranch_execz .LBB312_18
.LBB312_22:                             ;   in Loop: Header=BB312_9 Depth=1
	s_waitcnt vmcnt(0)
	v_lshlrev_b32_e32 v9, 24, v29
	s_delay_alu instid0(VALU_DEP_1) | instskip(NEXT) | instid1(VALU_DEP_1)
	v_and_b32_e32 v10, 0x7f000000, v9
	v_clz_i32_u32_e32 v11, v10
	v_add_nc_u32_e32 v31, 0x1000000, v10
	v_cmp_ne_u32_e32 vcc_lo, 0, v10
	s_delay_alu instid0(VALU_DEP_3) | instskip(NEXT) | instid1(VALU_DEP_1)
	v_min_u32_e32 v11, 32, v11
	v_sub_nc_u32_e64 v11, v11, 4 clamp
	s_delay_alu instid0(VALU_DEP_1) | instskip(SKIP_1) | instid1(VALU_DEP_2)
	v_lshlrev_b32_e32 v12, v11, v10
	v_lshlrev_b32_e32 v11, 23, v11
	v_lshrrev_b32_e32 v12, 4, v12
	s_delay_alu instid0(VALU_DEP_1) | instskip(SKIP_1) | instid1(VALU_DEP_2)
	v_sub_nc_u32_e32 v11, v12, v11
	v_ashrrev_i32_e32 v12, 8, v31
	v_add_nc_u32_e32 v11, 0x3c000000, v11
	s_delay_alu instid0(VALU_DEP_1) | instskip(NEXT) | instid1(VALU_DEP_1)
	v_and_or_b32 v11, 0x7f800000, v12, v11
	v_cndmask_b32_e32 v10, 0, v11, vcc_lo
	s_delay_alu instid0(VALU_DEP_1) | instskip(NEXT) | instid1(VALU_DEP_1)
	v_and_or_b32 v9, 0x80000000, v9, v10
	v_cvt_f16_f32_e32 v9, v9
	global_store_b16 v[3:4], v9, off
	s_or_b32 exec_lo, exec_lo, s0
	s_delay_alu instid0(SALU_CYCLE_1)
	s_mov_b32 s0, exec_lo
	v_cmpx_gt_u64_e64 s[2:3], v[7:8]
	s_cbranch_execz .LBB312_19
.LBB312_23:                             ;   in Loop: Header=BB312_9 Depth=1
	s_waitcnt vmcnt(0)
	v_lshlrev_b32_e32 v7, 24, v28
	s_delay_alu instid0(VALU_DEP_1) | instskip(NEXT) | instid1(VALU_DEP_1)
	v_and_b32_e32 v8, 0x7f000000, v7
	v_clz_i32_u32_e32 v9, v8
	v_add_nc_u32_e32 v11, 0x1000000, v8
	v_cmp_ne_u32_e32 vcc_lo, 0, v8
	s_delay_alu instid0(VALU_DEP_3) | instskip(NEXT) | instid1(VALU_DEP_1)
	v_min_u32_e32 v9, 32, v9
	v_sub_nc_u32_e64 v9, v9, 4 clamp
	s_delay_alu instid0(VALU_DEP_1) | instskip(SKIP_1) | instid1(VALU_DEP_2)
	v_lshlrev_b32_e32 v10, v9, v8
	v_lshlrev_b32_e32 v9, 23, v9
	v_lshrrev_b32_e32 v10, 4, v10
	s_delay_alu instid0(VALU_DEP_1) | instskip(SKIP_1) | instid1(VALU_DEP_2)
	v_sub_nc_u32_e32 v9, v10, v9
	v_ashrrev_i32_e32 v10, 8, v11
	v_add_nc_u32_e32 v9, 0x3c000000, v9
	s_delay_alu instid0(VALU_DEP_1) | instskip(NEXT) | instid1(VALU_DEP_1)
	v_and_or_b32 v9, 0x7f800000, v10, v9
	v_cndmask_b32_e32 v8, 0, v9, vcc_lo
	s_delay_alu instid0(VALU_DEP_1) | instskip(NEXT) | instid1(VALU_DEP_1)
	v_and_or_b32 v7, 0x80000000, v7, v8
	v_cvt_f16_f32_e32 v9, v7
	v_add_co_u32 v7, vcc_lo, v1, s1
	v_add_co_ci_u32_e32 v8, vcc_lo, 0, v2, vcc_lo
	global_store_b16 v[7:8], v9, off
	s_or_b32 exec_lo, exec_lo, s0
	s_delay_alu instid0(SALU_CYCLE_1)
	s_mov_b32 s0, exec_lo
	v_cmpx_gt_u64_e64 s[2:3], v[5:6]
	s_cbranch_execz .LBB312_8
.LBB312_24:                             ;   in Loop: Header=BB312_9 Depth=1
	s_waitcnt vmcnt(0)
	v_lshlrev_b32_e32 v5, 24, v27
	s_delay_alu instid0(VALU_DEP_1) | instskip(NEXT) | instid1(VALU_DEP_1)
	v_and_b32_e32 v6, 0x7f000000, v5
	v_clz_i32_u32_e32 v7, v6
	v_cmp_ne_u32_e32 vcc_lo, 0, v6
	v_add_nc_u32_e32 v9, 0x1000000, v6
	s_delay_alu instid0(VALU_DEP_3) | instskip(NEXT) | instid1(VALU_DEP_1)
	v_min_u32_e32 v7, 32, v7
	v_sub_nc_u32_e64 v7, v7, 4 clamp
	s_delay_alu instid0(VALU_DEP_1) | instskip(SKIP_1) | instid1(VALU_DEP_2)
	v_lshlrev_b32_e32 v8, v7, v6
	v_lshlrev_b32_e32 v7, 23, v7
	v_lshrrev_b32_e32 v8, 4, v8
	s_delay_alu instid0(VALU_DEP_1) | instskip(SKIP_1) | instid1(VALU_DEP_2)
	v_sub_nc_u32_e32 v7, v8, v7
	v_ashrrev_i32_e32 v8, 8, v9
	v_add_nc_u32_e32 v7, 0x3c000000, v7
	s_delay_alu instid0(VALU_DEP_1) | instskip(NEXT) | instid1(VALU_DEP_1)
	v_and_or_b32 v7, 0x7f800000, v8, v7
	v_cndmask_b32_e32 v6, 0, v7, vcc_lo
	s_delay_alu instid0(VALU_DEP_1) | instskip(NEXT) | instid1(VALU_DEP_1)
	v_and_or_b32 v5, 0x80000000, v5, v6
	v_cvt_f16_f32_e32 v7, v5
	v_add_co_u32 v5, vcc_lo, v1, s8
	v_add_co_ci_u32_e32 v6, vcc_lo, 0, v2, vcc_lo
	global_store_b16 v[5:6], v7, off
	s_branch .LBB312_8
.LBB312_25:
	s_nop 0
	s_sendmsg sendmsg(MSG_DEALLOC_VGPRS)
	s_endpgm
	.section	.rodata,"a",@progbits
	.p2align	6, 0x0
	.amdhsa_kernel _ZN2at6native12_GLOBAL__N_125multi_tensor_apply_kernelINS1_18TensorListMetadataILi2EEENS1_11CopyFunctorIN3c104HalfENS6_13Float8_e4m3fnELi2ELi1ELi1EEEJNS0_4CopyIS7_S8_EEEEEvT_T0_DpT1_
		.amdhsa_group_segment_fixed_size 0
		.amdhsa_private_segment_fixed_size 0
		.amdhsa_kernarg_size 3408
		.amdhsa_user_sgpr_count 15
		.amdhsa_user_sgpr_dispatch_ptr 0
		.amdhsa_user_sgpr_queue_ptr 0
		.amdhsa_user_sgpr_kernarg_segment_ptr 1
		.amdhsa_user_sgpr_dispatch_id 0
		.amdhsa_user_sgpr_private_segment_size 0
		.amdhsa_wavefront_size32 1
		.amdhsa_uses_dynamic_stack 0
		.amdhsa_enable_private_segment 0
		.amdhsa_system_sgpr_workgroup_id_x 1
		.amdhsa_system_sgpr_workgroup_id_y 0
		.amdhsa_system_sgpr_workgroup_id_z 0
		.amdhsa_system_sgpr_workgroup_info 0
		.amdhsa_system_vgpr_workitem_id 0
		.amdhsa_next_free_vgpr 33
		.amdhsa_next_free_sgpr 21
		.amdhsa_reserve_vcc 1
		.amdhsa_float_round_mode_32 0
		.amdhsa_float_round_mode_16_64 0
		.amdhsa_float_denorm_mode_32 3
		.amdhsa_float_denorm_mode_16_64 3
		.amdhsa_dx10_clamp 1
		.amdhsa_ieee_mode 1
		.amdhsa_fp16_overflow 0
		.amdhsa_workgroup_processor_mode 1
		.amdhsa_memory_ordered 1
		.amdhsa_forward_progress 0
		.amdhsa_shared_vgpr_count 0
		.amdhsa_exception_fp_ieee_invalid_op 0
		.amdhsa_exception_fp_denorm_src 0
		.amdhsa_exception_fp_ieee_div_zero 0
		.amdhsa_exception_fp_ieee_overflow 0
		.amdhsa_exception_fp_ieee_underflow 0
		.amdhsa_exception_fp_ieee_inexact 0
		.amdhsa_exception_int_div_zero 0
	.end_amdhsa_kernel
	.section	.text._ZN2at6native12_GLOBAL__N_125multi_tensor_apply_kernelINS1_18TensorListMetadataILi2EEENS1_11CopyFunctorIN3c104HalfENS6_13Float8_e4m3fnELi2ELi1ELi1EEEJNS0_4CopyIS7_S8_EEEEEvT_T0_DpT1_,"axG",@progbits,_ZN2at6native12_GLOBAL__N_125multi_tensor_apply_kernelINS1_18TensorListMetadataILi2EEENS1_11CopyFunctorIN3c104HalfENS6_13Float8_e4m3fnELi2ELi1ELi1EEEJNS0_4CopyIS7_S8_EEEEEvT_T0_DpT1_,comdat
.Lfunc_end312:
	.size	_ZN2at6native12_GLOBAL__N_125multi_tensor_apply_kernelINS1_18TensorListMetadataILi2EEENS1_11CopyFunctorIN3c104HalfENS6_13Float8_e4m3fnELi2ELi1ELi1EEEJNS0_4CopyIS7_S8_EEEEEvT_T0_DpT1_, .Lfunc_end312-_ZN2at6native12_GLOBAL__N_125multi_tensor_apply_kernelINS1_18TensorListMetadataILi2EEENS1_11CopyFunctorIN3c104HalfENS6_13Float8_e4m3fnELi2ELi1ELi1EEEJNS0_4CopyIS7_S8_EEEEEvT_T0_DpT1_
                                        ; -- End function
	.section	.AMDGPU.csdata,"",@progbits
; Kernel info:
; codeLenInByte = 2324
; NumSgprs: 23
; NumVgprs: 33
; ScratchSize: 0
; MemoryBound: 0
; FloatMode: 240
; IeeeMode: 1
; LDSByteSize: 0 bytes/workgroup (compile time only)
; SGPRBlocks: 2
; VGPRBlocks: 4
; NumSGPRsForWavesPerEU: 23
; NumVGPRsForWavesPerEU: 33
; Occupancy: 16
; WaveLimiterHint : 0
; COMPUTE_PGM_RSRC2:SCRATCH_EN: 0
; COMPUTE_PGM_RSRC2:USER_SGPR: 15
; COMPUTE_PGM_RSRC2:TRAP_HANDLER: 0
; COMPUTE_PGM_RSRC2:TGID_X_EN: 1
; COMPUTE_PGM_RSRC2:TGID_Y_EN: 0
; COMPUTE_PGM_RSRC2:TGID_Z_EN: 0
; COMPUTE_PGM_RSRC2:TIDIG_COMP_CNT: 0
	.section	.text._ZN2at6native12_GLOBAL__N_125multi_tensor_apply_kernelINS1_18TensorListMetadataILi2EEENS1_11CopyFunctorIN3c104HalfENS6_15Float8_e4m3fnuzELi2ELi1ELi1EEEJNS0_4CopyIS7_S8_EEEEEvT_T0_DpT1_,"axG",@progbits,_ZN2at6native12_GLOBAL__N_125multi_tensor_apply_kernelINS1_18TensorListMetadataILi2EEENS1_11CopyFunctorIN3c104HalfENS6_15Float8_e4m3fnuzELi2ELi1ELi1EEEJNS0_4CopyIS7_S8_EEEEEvT_T0_DpT1_,comdat
	.globl	_ZN2at6native12_GLOBAL__N_125multi_tensor_apply_kernelINS1_18TensorListMetadataILi2EEENS1_11CopyFunctorIN3c104HalfENS6_15Float8_e4m3fnuzELi2ELi1ELi1EEEJNS0_4CopyIS7_S8_EEEEEvT_T0_DpT1_ ; -- Begin function _ZN2at6native12_GLOBAL__N_125multi_tensor_apply_kernelINS1_18TensorListMetadataILi2EEENS1_11CopyFunctorIN3c104HalfENS6_15Float8_e4m3fnuzELi2ELi1ELi1EEEJNS0_4CopyIS7_S8_EEEEEvT_T0_DpT1_
	.p2align	8
	.type	_ZN2at6native12_GLOBAL__N_125multi_tensor_apply_kernelINS1_18TensorListMetadataILi2EEENS1_11CopyFunctorIN3c104HalfENS6_15Float8_e4m3fnuzELi2ELi1ELi1EEEJNS0_4CopyIS7_S8_EEEEEvT_T0_DpT1_,@function
_ZN2at6native12_GLOBAL__N_125multi_tensor_apply_kernelINS1_18TensorListMetadataILi2EEENS1_11CopyFunctorIN3c104HalfENS6_15Float8_e4m3fnuzELi2ELi1ELi1EEEJNS0_4CopyIS7_S8_EEEEEvT_T0_DpT1_: ; @_ZN2at6native12_GLOBAL__N_125multi_tensor_apply_kernelINS1_18TensorListMetadataILi2EEENS1_11CopyFunctorIN3c104HalfENS6_15Float8_e4m3fnuzELi2ELi1ELi1EEEJNS0_4CopyIS7_S8_EEEEEvT_T0_DpT1_
; %bb.0:
	v_mov_b32_e32 v1, s15
	s_add_u32 s2, s0, s15
	s_mul_hi_u32 s3, s15, 3
	s_mul_i32 s15, s15, 3
	s_addc_u32 s4, s1, 0
	global_load_u8 v1, v1, s[0:1] offset:1536
	s_add_u32 s2, s2, s15
	s_addc_u32 s3, s4, s3
	s_mov_b32 s17, 0
	s_load_b32 s10, s[2:3], 0x740
	s_mov_b32 s19, s17
	s_waitcnt lgkmcnt(0)
	s_ashr_i32 s11, s10, 31
	s_delay_alu instid0(SALU_CYCLE_1) | instskip(SKIP_2) | instid1(VALU_DEP_1)
	s_lshl_b64 s[8:9], s[10:11], 16
	s_waitcnt vmcnt(0)
	v_readfirstlane_b32 s5, v1
	s_lshl_b32 s2, s5, 3
	s_clause 0x2
	s_load_b64 s[6:7], s[0:1], s2 offset:0x0
	s_load_b64 s[12:13], s[0:1], s2 offset:0x200
	;; [unrolled: 1-line block ×3, first 2 shown]
	s_waitcnt lgkmcnt(0)
	s_add_u32 s3, s6, s8
	s_addc_u32 s14, s7, s9
	s_and_b32 s2, s12, 7
	s_and_b32 s15, s4, 3
	;; [unrolled: 1-line block ×3, first 2 shown]
	s_or_b32 s18, s15, s2
	s_mov_b32 s2, -1
	s_or_b64 s[16:17], s[16:17], s[18:19]
	s_sub_u32 s4, s4, s8
	s_subb_u32 s5, s5, s9
	s_cmp_eq_u64 s[16:17], 0
	s_cbranch_scc0 .LBB313_37
; %bb.1:
	v_dual_mov_b32 v2, 0 :: v_dual_lshlrev_b32 v1, 2, v0
	s_mov_b32 s15, exec_lo
	s_delay_alu instid0(VALU_DEP_1)
	v_cmpx_gt_i64_e64 s[4:5], v[1:2]
	s_cbranch_execz .LBB313_36
; %bb.2:
	s_load_b32 s2, s[0:1], 0xc5c
	v_lshlrev_b32_e32 v3, 3, v0
	s_lshl_b64 s[18:19], s[10:11], 17
	s_waitcnt lgkmcnt(0)
	s_and_b32 s2, s2, 0xffff
	s_delay_alu instid0(SALU_CYCLE_1) | instskip(SKIP_3) | instid1(VALU_DEP_1)
	s_lshl_b32 s16, s2, 2
	s_add_u32 s17, s12, s18
	s_addc_u32 s18, s13, s19
	v_add_co_u32 v3, s17, s17, v3
	v_add_co_ci_u32_e64 v4, null, s18, 0, s17
	s_mov_b32 s17, 0
	s_lshl_b32 s18, s2, 3
	s_branch .LBB313_4
.LBB313_3:                              ;   in Loop: Header=BB313_4 Depth=1
	s_or_b32 exec_lo, exec_lo, s19
	v_add_co_u32 v1, vcc_lo, s16, v1
	v_add_co_ci_u32_e32 v2, vcc_lo, 0, v2, vcc_lo
	v_lshlrev_b32_e32 v5, 16, v10
	v_and_b32_e32 v8, 0xffff, v8
	v_lshlrev_b32_e32 v7, 16, v7
	v_and_b32_e32 v9, 0xffff, v6
	v_cmp_le_i64_e32 vcc_lo, s[4:5], v[1:2]
	v_cmp_lt_u64_e64 s2, 0xffff, v[1:2]
	v_or_b32_e32 v6, v5, v8
	s_delay_alu instid0(VALU_DEP_4) | instskip(NEXT) | instid1(VALU_DEP_3)
	v_or_b32_e32 v5, v7, v9
	s_or_b32 s2, vcc_lo, s2
	global_store_b64 v[3:4], v[5:6], off
	v_add_co_u32 v3, vcc_lo, v3, s18
	v_add_co_ci_u32_e32 v4, vcc_lo, 0, v4, vcc_lo
	s_and_b32 s2, exec_lo, s2
	s_delay_alu instid0(SALU_CYCLE_1) | instskip(NEXT) | instid1(SALU_CYCLE_1)
	s_or_b32 s17, s2, s17
	s_and_not1_b32 exec_lo, exec_lo, s17
	s_cbranch_execz .LBB313_36
.LBB313_4:                              ; =>This Inner Loop Header: Depth=1
	v_add_co_u32 v5, vcc_lo, s3, v1
	v_add_co_ci_u32_e32 v6, vcc_lo, s14, v2, vcc_lo
	s_mov_b32 s2, 0
	s_mov_b32 s20, exec_lo
                                        ; implicit-def: $sgpr19
	global_load_b32 v5, v[5:6], off
	s_waitcnt vmcnt(0)
	v_and_b32_e32 v7, 0xff, v5
	s_delay_alu instid0(VALU_DEP_1)
	v_cmpx_lt_i16_e32 0x7f, v7
	s_xor_b32 s20, exec_lo, s20
	s_cbranch_execnz .LBB313_19
; %bb.5:                                ;   in Loop: Header=BB313_4 Depth=1
	s_or_saveexec_b32 s20, s20
	v_mov_b32_e32 v6, s19
	s_xor_b32 exec_lo, exec_lo, s20
	s_cbranch_execnz .LBB313_22
.LBB313_6:                              ;   in Loop: Header=BB313_4 Depth=1
	s_or_b32 exec_lo, exec_lo, s20
	s_and_saveexec_b32 s19, s2
	s_cbranch_execz .LBB313_8
.LBB313_7:                              ;   in Loop: Header=BB313_4 Depth=1
	v_bfe_u32 v9, v5, 3, 4
	v_lshlrev_b32_e32 v10, 24, v5
	s_delay_alu instid0(VALU_DEP_2) | instskip(SKIP_1) | instid1(VALU_DEP_1)
	v_cmp_eq_u32_e32 vcc_lo, 0, v9
	v_and_b32_e32 v6, 7, v5
	v_clz_i32_u32_e32 v7, v6
	s_delay_alu instid0(VALU_DEP_1) | instskip(NEXT) | instid1(VALU_DEP_1)
	v_min_u32_e32 v7, 32, v7
	v_subrev_nc_u32_e32 v8, 28, v7
	v_sub_nc_u32_e32 v7, 29, v7
	s_delay_alu instid0(VALU_DEP_1) | instskip(NEXT) | instid1(VALU_DEP_1)
	v_dual_cndmask_b32 v7, v9, v7 :: v_dual_lshlrev_b32 v8, v8, v5
	v_and_b32_e32 v8, 7, v8
	s_delay_alu instid0(VALU_DEP_2) | instskip(NEXT) | instid1(VALU_DEP_2)
	v_lshl_add_u32 v7, v7, 23, 0x3b800000
	v_cndmask_b32_e32 v6, v6, v8, vcc_lo
	v_and_b32_e32 v8, 0x80000000, v10
	s_delay_alu instid0(VALU_DEP_2) | instskip(NEXT) | instid1(VALU_DEP_1)
	v_lshlrev_b32_e32 v6, 20, v6
	v_or3_b32 v6, v8, v7, v6
	s_delay_alu instid0(VALU_DEP_1)
	v_cvt_f16_f32_e32 v6, v6
.LBB313_8:                              ;   in Loop: Header=BB313_4 Depth=1
	s_or_b32 exec_lo, exec_lo, s19
	v_lshrrev_b32_e32 v8, 8, v5
	s_mov_b32 s2, 0
	s_mov_b32 s20, exec_lo
                                        ; implicit-def: $sgpr19
	s_delay_alu instid0(VALU_DEP_1) | instskip(NEXT) | instid1(VALU_DEP_1)
	v_and_b32_e32 v9, 0xff, v8
	v_cmpx_lt_i16_e32 0x7f, v9
	s_xor_b32 s20, exec_lo, s20
	s_cbranch_execnz .LBB313_23
; %bb.9:                                ;   in Loop: Header=BB313_4 Depth=1
	s_or_saveexec_b32 s20, s20
	v_mov_b32_e32 v7, s19
	s_xor_b32 exec_lo, exec_lo, s20
	s_cbranch_execnz .LBB313_26
.LBB313_10:                             ;   in Loop: Header=BB313_4 Depth=1
	s_or_b32 exec_lo, exec_lo, s20
	s_and_saveexec_b32 s19, s2
	s_cbranch_execz .LBB313_12
.LBB313_11:                             ;   in Loop: Header=BB313_4 Depth=1
	v_bfe_u32 v7, v5, 8, 3
	v_bfe_u32 v11, v5, 11, 4
	s_delay_alu instid0(VALU_DEP_2) | instskip(NEXT) | instid1(VALU_DEP_2)
	v_clz_i32_u32_e32 v9, v7
	v_cmp_eq_u32_e32 vcc_lo, 0, v11
	s_delay_alu instid0(VALU_DEP_2) | instskip(NEXT) | instid1(VALU_DEP_1)
	v_min_u32_e32 v9, 32, v9
	v_subrev_nc_u32_e32 v10, 28, v9
	v_sub_nc_u32_e32 v9, 29, v9
	s_delay_alu instid0(VALU_DEP_1) | instskip(NEXT) | instid1(VALU_DEP_1)
	v_dual_cndmask_b32 v9, v11, v9 :: v_dual_lshlrev_b32 v10, v10, v8
	v_and_b32_e32 v10, 7, v10
	v_lshlrev_b32_e32 v8, 24, v8
	s_delay_alu instid0(VALU_DEP_3) | instskip(NEXT) | instid1(VALU_DEP_2)
	v_lshl_add_u32 v9, v9, 23, 0x3b800000
	v_dual_cndmask_b32 v7, v7, v10 :: v_dual_and_b32 v8, 0x80000000, v8
	s_delay_alu instid0(VALU_DEP_1) | instskip(NEXT) | instid1(VALU_DEP_1)
	v_lshlrev_b32_e32 v7, 20, v7
	v_or3_b32 v7, v8, v9, v7
	s_delay_alu instid0(VALU_DEP_1)
	v_cvt_f16_f32_e32 v7, v7
.LBB313_12:                             ;   in Loop: Header=BB313_4 Depth=1
	s_or_b32 exec_lo, exec_lo, s19
	v_lshrrev_b32_e32 v9, 16, v5
	s_mov_b32 s2, 0
	s_mov_b32 s20, exec_lo
                                        ; implicit-def: $sgpr19
	s_delay_alu instid0(VALU_DEP_1) | instskip(NEXT) | instid1(VALU_DEP_1)
	v_and_b32_e32 v10, 0xff, v9
	v_cmpx_lt_i16_e32 0x7f, v10
	s_xor_b32 s20, exec_lo, s20
	s_cbranch_execnz .LBB313_27
; %bb.13:                               ;   in Loop: Header=BB313_4 Depth=1
	s_or_saveexec_b32 s20, s20
	v_mov_b32_e32 v8, s19
	s_xor_b32 exec_lo, exec_lo, s20
	s_cbranch_execnz .LBB313_30
.LBB313_14:                             ;   in Loop: Header=BB313_4 Depth=1
	s_or_b32 exec_lo, exec_lo, s20
	s_and_saveexec_b32 s19, s2
	s_cbranch_execz .LBB313_16
.LBB313_15:                             ;   in Loop: Header=BB313_4 Depth=1
	v_bfe_u32 v8, v5, 16, 3
	v_bfe_u32 v12, v5, 19, 4
	s_delay_alu instid0(VALU_DEP_2) | instskip(NEXT) | instid1(VALU_DEP_2)
	v_clz_i32_u32_e32 v10, v8
	v_cmp_eq_u32_e32 vcc_lo, 0, v12
	s_delay_alu instid0(VALU_DEP_2) | instskip(NEXT) | instid1(VALU_DEP_1)
	v_min_u32_e32 v10, 32, v10
	v_subrev_nc_u32_e32 v11, 28, v10
	v_sub_nc_u32_e32 v10, 29, v10
	s_delay_alu instid0(VALU_DEP_1) | instskip(NEXT) | instid1(VALU_DEP_1)
	v_dual_cndmask_b32 v10, v12, v10 :: v_dual_lshlrev_b32 v11, v11, v9
	v_and_b32_e32 v11, 7, v11
	v_lshlrev_b32_e32 v9, 24, v9
	s_delay_alu instid0(VALU_DEP_3) | instskip(NEXT) | instid1(VALU_DEP_2)
	v_lshl_add_u32 v10, v10, 23, 0x3b800000
	v_dual_cndmask_b32 v8, v8, v11 :: v_dual_and_b32 v9, 0x80000000, v9
	s_delay_alu instid0(VALU_DEP_1) | instskip(NEXT) | instid1(VALU_DEP_1)
	v_lshlrev_b32_e32 v8, 20, v8
	v_or3_b32 v8, v9, v10, v8
	s_delay_alu instid0(VALU_DEP_1)
	v_cvt_f16_f32_e32 v8, v8
.LBB313_16:                             ;   in Loop: Header=BB313_4 Depth=1
	s_or_b32 exec_lo, exec_lo, s19
	v_lshrrev_b32_e32 v9, 24, v5
	s_mov_b32 s2, 0
	s_mov_b32 s20, exec_lo
                                        ; implicit-def: $sgpr19
	s_delay_alu instid0(VALU_DEP_1)
	v_cmpx_lt_i16_e32 0x7f, v9
	s_xor_b32 s20, exec_lo, s20
	s_cbranch_execnz .LBB313_31
; %bb.17:                               ;   in Loop: Header=BB313_4 Depth=1
	s_or_saveexec_b32 s20, s20
	v_mov_b32_e32 v10, s19
	s_xor_b32 exec_lo, exec_lo, s20
	s_cbranch_execnz .LBB313_34
.LBB313_18:                             ;   in Loop: Header=BB313_4 Depth=1
	s_or_b32 exec_lo, exec_lo, s20
	s_and_saveexec_b32 s19, s2
	s_cbranch_execz .LBB313_3
	s_branch .LBB313_35
.LBB313_19:                             ;   in Loop: Header=BB313_4 Depth=1
	s_mov_b32 s2, -1
	s_mov_b32 s21, exec_lo
                                        ; implicit-def: $sgpr19
	v_cmpx_eq_u16_e32 0x80, v7
; %bb.20:                               ;   in Loop: Header=BB313_4 Depth=1
	s_movk_i32 s19, 0x7e00
	s_xor_b32 s2, exec_lo, -1
; %bb.21:                               ;   in Loop: Header=BB313_4 Depth=1
	s_or_b32 exec_lo, exec_lo, s21
	s_delay_alu instid0(SALU_CYCLE_1)
	s_and_b32 s2, s2, exec_lo
                                        ; implicit-def: $vgpr7
	s_or_saveexec_b32 s20, s20
	v_mov_b32_e32 v6, s19
	s_xor_b32 exec_lo, exec_lo, s20
	s_cbranch_execz .LBB313_6
.LBB313_22:                             ;   in Loop: Header=BB313_4 Depth=1
	v_cmp_ne_u16_e32 vcc_lo, 0, v7
	v_mov_b32_e32 v6, v7
	s_and_not1_b32 s2, s2, exec_lo
	s_and_b32 s19, vcc_lo, exec_lo
	s_delay_alu instid0(SALU_CYCLE_1)
	s_or_b32 s2, s2, s19
	s_or_b32 exec_lo, exec_lo, s20
	s_and_saveexec_b32 s19, s2
	s_cbranch_execnz .LBB313_7
	s_branch .LBB313_8
.LBB313_23:                             ;   in Loop: Header=BB313_4 Depth=1
	s_mov_b32 s2, -1
	s_mov_b32 s21, exec_lo
                                        ; implicit-def: $sgpr19
	v_cmpx_eq_u16_e32 0x80, v9
; %bb.24:                               ;   in Loop: Header=BB313_4 Depth=1
	s_movk_i32 s19, 0x7e00
	s_xor_b32 s2, exec_lo, -1
; %bb.25:                               ;   in Loop: Header=BB313_4 Depth=1
	s_or_b32 exec_lo, exec_lo, s21
	s_delay_alu instid0(SALU_CYCLE_1)
	s_and_b32 s2, s2, exec_lo
                                        ; implicit-def: $vgpr9
	s_or_saveexec_b32 s20, s20
	v_mov_b32_e32 v7, s19
	s_xor_b32 exec_lo, exec_lo, s20
	s_cbranch_execz .LBB313_10
.LBB313_26:                             ;   in Loop: Header=BB313_4 Depth=1
	v_cmp_ne_u16_e32 vcc_lo, 0, v9
	v_mov_b32_e32 v7, v9
	s_and_not1_b32 s2, s2, exec_lo
	s_and_b32 s19, vcc_lo, exec_lo
	s_delay_alu instid0(SALU_CYCLE_1)
	s_or_b32 s2, s2, s19
	s_or_b32 exec_lo, exec_lo, s20
	s_and_saveexec_b32 s19, s2
	s_cbranch_execnz .LBB313_11
	s_branch .LBB313_12
.LBB313_27:                             ;   in Loop: Header=BB313_4 Depth=1
	s_mov_b32 s2, -1
	s_mov_b32 s21, exec_lo
                                        ; implicit-def: $sgpr19
	v_cmpx_eq_u16_e32 0x80, v10
; %bb.28:                               ;   in Loop: Header=BB313_4 Depth=1
	s_movk_i32 s19, 0x7e00
	s_xor_b32 s2, exec_lo, -1
; %bb.29:                               ;   in Loop: Header=BB313_4 Depth=1
	s_or_b32 exec_lo, exec_lo, s21
	s_delay_alu instid0(SALU_CYCLE_1)
	s_and_b32 s2, s2, exec_lo
                                        ; implicit-def: $vgpr10
	s_or_saveexec_b32 s20, s20
	v_mov_b32_e32 v8, s19
	s_xor_b32 exec_lo, exec_lo, s20
	s_cbranch_execz .LBB313_14
.LBB313_30:                             ;   in Loop: Header=BB313_4 Depth=1
	v_cmp_ne_u16_e32 vcc_lo, 0, v10
	v_mov_b32_e32 v8, v10
	s_and_not1_b32 s2, s2, exec_lo
	s_and_b32 s19, vcc_lo, exec_lo
	s_delay_alu instid0(SALU_CYCLE_1)
	s_or_b32 s2, s2, s19
	s_or_b32 exec_lo, exec_lo, s20
	s_and_saveexec_b32 s19, s2
	s_cbranch_execnz .LBB313_15
	s_branch .LBB313_16
.LBB313_31:                             ;   in Loop: Header=BB313_4 Depth=1
	s_mov_b32 s2, -1
	s_mov_b32 s21, exec_lo
                                        ; implicit-def: $sgpr19
	v_cmpx_eq_u16_e32 0x80, v9
; %bb.32:                               ;   in Loop: Header=BB313_4 Depth=1
	s_movk_i32 s19, 0x7e00
	s_xor_b32 s2, exec_lo, -1
; %bb.33:                               ;   in Loop: Header=BB313_4 Depth=1
	s_or_b32 exec_lo, exec_lo, s21
	s_delay_alu instid0(SALU_CYCLE_1)
	s_and_b32 s2, s2, exec_lo
	s_or_saveexec_b32 s20, s20
	v_mov_b32_e32 v10, s19
	s_xor_b32 exec_lo, exec_lo, s20
	s_cbranch_execz .LBB313_18
.LBB313_34:                             ;   in Loop: Header=BB313_4 Depth=1
	v_cmp_ne_u16_e32 vcc_lo, 0, v9
	v_mov_b32_e32 v10, v9
	s_and_not1_b32 s2, s2, exec_lo
	s_and_b32 s19, vcc_lo, exec_lo
	s_delay_alu instid0(SALU_CYCLE_1)
	s_or_b32 s2, s2, s19
	s_or_b32 exec_lo, exec_lo, s20
	s_and_saveexec_b32 s19, s2
	s_cbranch_execz .LBB313_3
.LBB313_35:                             ;   in Loop: Header=BB313_4 Depth=1
	v_bfe_u32 v10, v5, 24, 3
	s_delay_alu instid0(VALU_DEP_1) | instskip(NEXT) | instid1(VALU_DEP_1)
	v_clz_i32_u32_e32 v11, v10
	v_min_u32_e32 v11, 32, v11
	s_delay_alu instid0(VALU_DEP_1) | instskip(SKIP_1) | instid1(VALU_DEP_2)
	v_subrev_nc_u32_e32 v12, 28, v11
	v_sub_nc_u32_e32 v11, 29, v11
	v_lshlrev_b32_e32 v9, v12, v9
	v_bfe_u32 v12, v5, 27, 4
	v_and_b32_e32 v5, 0x80000000, v5
	s_delay_alu instid0(VALU_DEP_3) | instskip(NEXT) | instid1(VALU_DEP_3)
	v_and_b32_e32 v9, 7, v9
	v_cmp_eq_u32_e32 vcc_lo, 0, v12
	v_cndmask_b32_e32 v11, v12, v11, vcc_lo
	s_delay_alu instid0(VALU_DEP_3) | instskip(NEXT) | instid1(VALU_DEP_2)
	v_cndmask_b32_e32 v9, v10, v9, vcc_lo
	v_lshl_add_u32 v10, v11, 23, 0x3b800000
	s_delay_alu instid0(VALU_DEP_2) | instskip(NEXT) | instid1(VALU_DEP_1)
	v_lshlrev_b32_e32 v9, 20, v9
	v_or3_b32 v5, v5, v10, v9
	s_delay_alu instid0(VALU_DEP_1)
	v_cvt_f16_f32_e32 v10, v5
	s_branch .LBB313_3
.LBB313_36:
	s_or_b32 exec_lo, exec_lo, s15
	s_mov_b32 s2, 0
.LBB313_37:
	s_delay_alu instid0(SALU_CYCLE_1)
	s_and_not1_b32 vcc_lo, exec_lo, s2
	s_cbranch_vccnz .LBB313_89
; %bb.38:
	v_cmp_lt_i64_e64 s2, s[4:5], 1
	s_delay_alu instid0(VALU_DEP_1)
	s_and_b32 vcc_lo, exec_lo, s2
	s_cbranch_vccnz .LBB313_89
; %bb.39:
	s_load_b32 s0, s[0:1], 0xc5c
	v_cmp_gt_u64_e64 s1, 0x10000, s[4:5]
	v_add_co_u32 v3, s2, s8, v0
	v_lshlrev_b32_e32 v1, 1, v0
	v_add_co_ci_u32_e64 v4, null, s9, 0, s2
	s_delay_alu instid0(VALU_DEP_3) | instskip(NEXT) | instid1(VALU_DEP_2)
	v_add_co_u32 v13, vcc_lo, s6, v3
                                        ; implicit-def: $vgpr27
                                        ; implicit-def: $vgpr28
                                        ; implicit-def: $vgpr29
                                        ; implicit-def: $vgpr30
	v_add_co_ci_u32_e32 v14, vcc_lo, s7, v4, vcc_lo
	s_waitcnt lgkmcnt(0)
	s_and_b32 s0, s0, 0xffff
	s_and_b32 s1, s1, exec_lo
	s_cselect_b32 s3, s5, 0
	s_cselect_b32 s2, s4, 0x10000
	s_lshl_b64 s[10:11], s[10:11], 17
	s_lshl_b32 s14, s0, 1
	s_lshl_b32 s1, s0, 2
	s_add_u32 s12, s12, s10
	s_mul_i32 s15, s0, 3
	s_addc_u32 s11, s13, s11
	s_lshl_b32 s10, s0, 3
	v_add_co_u32 v1, s16, s12, v1
	s_add_u32 s13, s8, s15
	v_add_co_ci_u32_e64 v2, null, s11, 0, s16
	s_addc_u32 s16, s9, 0
	s_add_u32 s13, s6, s13
	s_addc_u32 s16, s7, s16
	s_add_u32 s8, s8, s14
	;; [unrolled: 2-line block ×3, first 2 shown]
	s_addc_u32 s9, s7, s9
	v_add_co_u32 v19, s8, s8, v0
	s_delay_alu instid0(VALU_DEP_1) | instskip(SKIP_1) | instid1(VALU_DEP_1)
	v_add_co_ci_u32_e64 v20, null, s9, 0, s8
	v_add_co_u32 v21, s8, s14, v0
	v_add_co_ci_u32_e64 v22, null, 0, 0, s8
	v_add_co_u32 v23, s8, v0, s0
	v_add_co_u32 v15, s13, s13, v0
	s_add_u32 s6, s6, s0
	s_delay_alu instid0(VALU_DEP_2)
	v_lshlrev_b32_e32 v5, 1, v23
	v_add_co_ci_u32_e64 v16, null, s16, 0, s13
	v_add_co_u32 v17, s13, s15, v0
	s_addc_u32 s7, s7, 0
	v_add_co_u32 v25, vcc_lo, s6, v3
	v_add_co_u32 v3, s6, s12, v5
	v_add_co_ci_u32_e64 v18, null, 0, 0, s13
	v_add_co_ci_u32_e64 v24, null, 0, 0, s8
	v_add_co_ci_u32_e32 v26, vcc_lo, s7, v4, vcc_lo
	v_add_co_ci_u32_e64 v4, null, s11, 0, s6
	s_mul_i32 s8, s0, 6
	s_mov_b64 s[6:7], 0
	s_branch .LBB313_41
.LBB313_40:                             ;   in Loop: Header=BB313_41 Depth=1
	s_or_b32 exec_lo, exec_lo, s0
	s_add_u32 s6, s6, s1
	s_addc_u32 s7, s7, 0
	v_add_co_u32 v1, vcc_lo, v1, s10
	v_cmp_ge_i64_e64 s0, s[6:7], s[4:5]
	v_cmp_lt_u64_e64 s9, 0xffff, s[6:7]
	v_add_co_ci_u32_e32 v2, vcc_lo, 0, v2, vcc_lo
	v_add_co_u32 v3, vcc_lo, v3, s10
	v_add_co_ci_u32_e32 v4, vcc_lo, 0, v4, vcc_lo
	s_delay_alu instid0(VALU_DEP_4) | instskip(NEXT) | instid1(SALU_CYCLE_1)
	s_or_b32 s0, s0, s9
	s_and_b32 vcc_lo, exec_lo, s0
	s_cbranch_vccnz .LBB313_89
.LBB313_41:                             ; =>This Inner Loop Header: Depth=1
	v_add_co_u32 v5, s0, v0, s6
	s_delay_alu instid0(VALU_DEP_1) | instskip(NEXT) | instid1(VALU_DEP_1)
	v_add_co_ci_u32_e64 v6, null, 0, s7, s0
	v_cmp_gt_i64_e32 vcc_lo, s[4:5], v[5:6]
	v_cmp_gt_u64_e64 s0, 0x10000, v[5:6]
	s_delay_alu instid0(VALU_DEP_1) | instskip(NEXT) | instid1(SALU_CYCLE_1)
	s_and_b32 s9, vcc_lo, s0
	s_and_saveexec_b32 s0, s9
	s_cbranch_execz .LBB313_43
; %bb.42:                               ;   in Loop: Header=BB313_41 Depth=1
	v_add_co_u32 v7, vcc_lo, v13, s6
	v_add_co_ci_u32_e32 v8, vcc_lo, s7, v14, vcc_lo
	global_load_u8 v30, v[7:8], off
.LBB313_43:                             ;   in Loop: Header=BB313_41 Depth=1
	s_or_b32 exec_lo, exec_lo, s0
	v_add_co_u32 v7, vcc_lo, v23, s6
	v_add_co_ci_u32_e32 v8, vcc_lo, s7, v24, vcc_lo
	s_delay_alu instid0(VALU_DEP_1) | instskip(SKIP_1) | instid1(VALU_DEP_1)
	v_cmp_gt_i64_e32 vcc_lo, s[4:5], v[7:8]
	v_cmp_gt_u64_e64 s0, 0x10000, v[7:8]
	s_and_b32 s9, vcc_lo, s0
	s_delay_alu instid0(SALU_CYCLE_1)
	s_and_saveexec_b32 s0, s9
	s_cbranch_execz .LBB313_45
; %bb.44:                               ;   in Loop: Header=BB313_41 Depth=1
	v_add_co_u32 v9, vcc_lo, v25, s6
	v_add_co_ci_u32_e32 v10, vcc_lo, s7, v26, vcc_lo
	global_load_u8 v29, v[9:10], off
.LBB313_45:                             ;   in Loop: Header=BB313_41 Depth=1
	s_or_b32 exec_lo, exec_lo, s0
	v_add_co_u32 v9, vcc_lo, v21, s6
	v_add_co_ci_u32_e32 v10, vcc_lo, s7, v22, vcc_lo
	s_delay_alu instid0(VALU_DEP_1) | instskip(SKIP_1) | instid1(VALU_DEP_1)
	v_cmp_gt_i64_e32 vcc_lo, s[4:5], v[9:10]
	v_cmp_gt_u64_e64 s0, 0x10000, v[9:10]
	s_and_b32 s9, vcc_lo, s0
	s_delay_alu instid0(SALU_CYCLE_1)
	;; [unrolled: 15-line block ×3, first 2 shown]
	s_and_saveexec_b32 s0, s9
	s_cbranch_execz .LBB313_49
; %bb.48:                               ;   in Loop: Header=BB313_41 Depth=1
	v_add_co_u32 v31, vcc_lo, v15, s6
	v_add_co_ci_u32_e32 v32, vcc_lo, s7, v16, vcc_lo
	global_load_u8 v27, v[31:32], off
.LBB313_49:                             ;   in Loop: Header=BB313_41 Depth=1
	s_or_b32 exec_lo, exec_lo, s0
	s_waitcnt vmcnt(0)
	v_and_b32_e32 v32, 0xff, v30
	s_mov_b32 s0, 0
	s_mov_b32 s11, exec_lo
                                        ; implicit-def: $sgpr9
	s_delay_alu instid0(VALU_DEP_1)
	v_cmpx_lt_i16_e32 0x7f, v32
	s_xor_b32 s11, exec_lo, s11
	s_cbranch_execnz .LBB313_69
; %bb.50:                               ;   in Loop: Header=BB313_41 Depth=1
	s_or_saveexec_b32 s11, s11
	v_mov_b32_e32 v31, s9
	s_xor_b32 exec_lo, exec_lo, s11
	s_cbranch_execnz .LBB313_72
.LBB313_51:                             ;   in Loop: Header=BB313_41 Depth=1
	s_or_b32 exec_lo, exec_lo, s11
	s_and_saveexec_b32 s9, s0
	s_cbranch_execz .LBB313_53
.LBB313_52:                             ;   in Loop: Header=BB313_41 Depth=1
	v_lshrrev_b16 v34, 3, v30
	v_lshlrev_b32_e32 v35, 24, v30
	s_delay_alu instid0(VALU_DEP_2) | instskip(NEXT) | instid1(VALU_DEP_1)
	v_and_b32_e32 v34, 15, v34
	v_cmp_eq_u32_e32 vcc_lo, 0, v34
	v_and_b32_e32 v31, 7, v30
	s_delay_alu instid0(VALU_DEP_1) | instskip(NEXT) | instid1(VALU_DEP_1)
	v_clz_i32_u32_e32 v32, v31
	v_min_u32_e32 v32, 32, v32
	s_delay_alu instid0(VALU_DEP_1) | instskip(SKIP_1) | instid1(VALU_DEP_1)
	v_subrev_nc_u32_e32 v33, 28, v32
	v_sub_nc_u32_e32 v32, 29, v32
	v_dual_cndmask_b32 v32, v34, v32 :: v_dual_lshlrev_b32 v33, v33, v30
	s_delay_alu instid0(VALU_DEP_1) | instskip(NEXT) | instid1(VALU_DEP_2)
	v_and_b32_e32 v33, 7, v33
	v_lshl_add_u32 v32, v32, 23, 0x3b800000
	s_delay_alu instid0(VALU_DEP_2) | instskip(SKIP_1) | instid1(VALU_DEP_2)
	v_cndmask_b32_e32 v31, v31, v33, vcc_lo
	v_and_b32_e32 v33, 0x80000000, v35
	v_lshlrev_b32_e32 v31, 20, v31
	s_delay_alu instid0(VALU_DEP_1) | instskip(NEXT) | instid1(VALU_DEP_1)
	v_or3_b32 v31, v33, v32, v31
	v_cvt_f16_f32_e32 v31, v31
.LBB313_53:                             ;   in Loop: Header=BB313_41 Depth=1
	s_or_b32 exec_lo, exec_lo, s9
	v_and_b32_e32 v33, 0xff, v29
	s_mov_b32 s0, 0
	s_mov_b32 s11, exec_lo
                                        ; implicit-def: $sgpr9
	s_delay_alu instid0(VALU_DEP_1)
	v_cmpx_lt_i16_e32 0x7f, v33
	s_xor_b32 s11, exec_lo, s11
	s_cbranch_execnz .LBB313_73
; %bb.54:                               ;   in Loop: Header=BB313_41 Depth=1
	s_or_saveexec_b32 s11, s11
	v_mov_b32_e32 v32, s9
	s_xor_b32 exec_lo, exec_lo, s11
	s_cbranch_execnz .LBB313_76
.LBB313_55:                             ;   in Loop: Header=BB313_41 Depth=1
	s_or_b32 exec_lo, exec_lo, s11
	s_and_saveexec_b32 s9, s0
	s_cbranch_execz .LBB313_57
.LBB313_56:                             ;   in Loop: Header=BB313_41 Depth=1
	v_and_b32_e32 v32, 7, v29
	v_lshrrev_b16 v35, 3, v29
	v_lshlrev_b32_e32 v36, 24, v29
	s_delay_alu instid0(VALU_DEP_3) | instskip(NEXT) | instid1(VALU_DEP_1)
	v_clz_i32_u32_e32 v33, v32
	v_min_u32_e32 v33, 32, v33
	s_delay_alu instid0(VALU_DEP_1) | instskip(SKIP_1) | instid1(VALU_DEP_2)
	v_subrev_nc_u32_e32 v34, 28, v33
	v_sub_nc_u32_e32 v33, 29, v33
	v_lshlrev_b32_e32 v34, v34, v29
	s_delay_alu instid0(VALU_DEP_1) | instskip(SKIP_1) | instid1(VALU_DEP_1)
	v_and_b32_e32 v34, 7, v34
	v_and_b32_e32 v35, 15, v35
	v_cmp_eq_u32_e32 vcc_lo, 0, v35
	s_delay_alu instid0(VALU_DEP_3) | instskip(SKIP_1) | instid1(VALU_DEP_2)
	v_dual_cndmask_b32 v32, v32, v34 :: v_dual_cndmask_b32 v33, v35, v33
	v_and_b32_e32 v34, 0x80000000, v36
	v_lshlrev_b32_e32 v32, 20, v32
	s_delay_alu instid0(VALU_DEP_3) | instskip(NEXT) | instid1(VALU_DEP_1)
	v_lshl_add_u32 v33, v33, 23, 0x3b800000
	v_or3_b32 v32, v34, v33, v32
	s_delay_alu instid0(VALU_DEP_1)
	v_cvt_f16_f32_e32 v32, v32
.LBB313_57:                             ;   in Loop: Header=BB313_41 Depth=1
	s_or_b32 exec_lo, exec_lo, s9
	v_and_b32_e32 v34, 0xff, v28
	s_mov_b32 s0, 0
	s_mov_b32 s11, exec_lo
                                        ; implicit-def: $sgpr9
	s_delay_alu instid0(VALU_DEP_1)
	v_cmpx_lt_i16_e32 0x7f, v34
	s_xor_b32 s11, exec_lo, s11
	s_cbranch_execnz .LBB313_77
; %bb.58:                               ;   in Loop: Header=BB313_41 Depth=1
	s_or_saveexec_b32 s11, s11
	v_mov_b32_e32 v33, s9
	s_xor_b32 exec_lo, exec_lo, s11
	s_cbranch_execnz .LBB313_80
.LBB313_59:                             ;   in Loop: Header=BB313_41 Depth=1
	s_or_b32 exec_lo, exec_lo, s11
	s_and_saveexec_b32 s9, s0
	s_cbranch_execz .LBB313_61
.LBB313_60:                             ;   in Loop: Header=BB313_41 Depth=1
	v_lshrrev_b16 v36, 3, v28
	v_lshlrev_b32_e32 v37, 24, v28
	s_delay_alu instid0(VALU_DEP_2) | instskip(NEXT) | instid1(VALU_DEP_1)
	v_and_b32_e32 v36, 15, v36
	v_cmp_eq_u32_e32 vcc_lo, 0, v36
	v_and_b32_e32 v33, 7, v28
	s_delay_alu instid0(VALU_DEP_1) | instskip(NEXT) | instid1(VALU_DEP_1)
	v_clz_i32_u32_e32 v34, v33
	v_min_u32_e32 v34, 32, v34
	s_delay_alu instid0(VALU_DEP_1) | instskip(SKIP_1) | instid1(VALU_DEP_1)
	v_subrev_nc_u32_e32 v35, 28, v34
	v_sub_nc_u32_e32 v34, 29, v34
	v_dual_cndmask_b32 v34, v36, v34 :: v_dual_lshlrev_b32 v35, v35, v28
	s_delay_alu instid0(VALU_DEP_1) | instskip(NEXT) | instid1(VALU_DEP_2)
	v_and_b32_e32 v35, 7, v35
	v_lshl_add_u32 v34, v34, 23, 0x3b800000
	s_delay_alu instid0(VALU_DEP_2) | instskip(SKIP_1) | instid1(VALU_DEP_2)
	v_cndmask_b32_e32 v33, v33, v35, vcc_lo
	v_and_b32_e32 v35, 0x80000000, v37
	v_lshlrev_b32_e32 v33, 20, v33
	s_delay_alu instid0(VALU_DEP_1) | instskip(NEXT) | instid1(VALU_DEP_1)
	v_or3_b32 v33, v35, v34, v33
	v_cvt_f16_f32_e32 v33, v33
.LBB313_61:                             ;   in Loop: Header=BB313_41 Depth=1
	s_or_b32 exec_lo, exec_lo, s9
	v_and_b32_e32 v35, 0xff, v27
	s_mov_b32 s0, 0
	s_mov_b32 s11, exec_lo
                                        ; implicit-def: $sgpr9
	s_delay_alu instid0(VALU_DEP_1)
	v_cmpx_lt_i16_e32 0x7f, v35
	s_xor_b32 s11, exec_lo, s11
	s_cbranch_execnz .LBB313_81
; %bb.62:                               ;   in Loop: Header=BB313_41 Depth=1
	s_or_saveexec_b32 s11, s11
	v_mov_b32_e32 v34, s9
	s_xor_b32 exec_lo, exec_lo, s11
	s_cbranch_execnz .LBB313_84
.LBB313_63:                             ;   in Loop: Header=BB313_41 Depth=1
	s_or_b32 exec_lo, exec_lo, s11
	s_and_saveexec_b32 s9, s0
	s_cbranch_execz .LBB313_65
.LBB313_64:                             ;   in Loop: Header=BB313_41 Depth=1
	v_and_b32_e32 v34, 7, v27
	v_lshrrev_b16 v37, 3, v27
	v_lshlrev_b32_e32 v38, 24, v27
	s_delay_alu instid0(VALU_DEP_3) | instskip(NEXT) | instid1(VALU_DEP_1)
	v_clz_i32_u32_e32 v35, v34
	v_min_u32_e32 v35, 32, v35
	s_delay_alu instid0(VALU_DEP_1) | instskip(SKIP_1) | instid1(VALU_DEP_2)
	v_subrev_nc_u32_e32 v36, 28, v35
	v_sub_nc_u32_e32 v35, 29, v35
	v_lshlrev_b32_e32 v36, v36, v27
	s_delay_alu instid0(VALU_DEP_1) | instskip(SKIP_1) | instid1(VALU_DEP_1)
	v_and_b32_e32 v36, 7, v36
	v_and_b32_e32 v37, 15, v37
	v_cmp_eq_u32_e32 vcc_lo, 0, v37
	s_delay_alu instid0(VALU_DEP_3) | instskip(SKIP_1) | instid1(VALU_DEP_2)
	v_dual_cndmask_b32 v34, v34, v36 :: v_dual_cndmask_b32 v35, v37, v35
	v_and_b32_e32 v36, 0x80000000, v38
	v_lshlrev_b32_e32 v34, 20, v34
	s_delay_alu instid0(VALU_DEP_3) | instskip(NEXT) | instid1(VALU_DEP_1)
	v_lshl_add_u32 v35, v35, 23, 0x3b800000
	v_or3_b32 v34, v36, v35, v34
	s_delay_alu instid0(VALU_DEP_1)
	v_cvt_f16_f32_e32 v34, v34
.LBB313_65:                             ;   in Loop: Header=BB313_41 Depth=1
	s_or_b32 exec_lo, exec_lo, s9
	s_delay_alu instid0(SALU_CYCLE_1)
	s_mov_b32 s0, exec_lo
	v_cmpx_gt_u64_e64 s[2:3], v[5:6]
	s_xor_b32 s0, exec_lo, s0
	s_cbranch_execnz .LBB313_85
; %bb.66:                               ;   in Loop: Header=BB313_41 Depth=1
	s_or_b32 exec_lo, exec_lo, s0
	s_delay_alu instid0(SALU_CYCLE_1)
	s_mov_b32 s0, exec_lo
	v_cmpx_gt_u64_e64 s[2:3], v[7:8]
	s_cbranch_execnz .LBB313_86
.LBB313_67:                             ;   in Loop: Header=BB313_41 Depth=1
	s_or_b32 exec_lo, exec_lo, s0
	s_delay_alu instid0(SALU_CYCLE_1)
	s_mov_b32 s0, exec_lo
	v_cmpx_gt_u64_e64 s[2:3], v[9:10]
	s_cbranch_execnz .LBB313_87
.LBB313_68:                             ;   in Loop: Header=BB313_41 Depth=1
	s_or_b32 exec_lo, exec_lo, s0
	s_delay_alu instid0(SALU_CYCLE_1)
	s_mov_b32 s0, exec_lo
	v_cmpx_gt_u64_e64 s[2:3], v[11:12]
	s_cbranch_execz .LBB313_40
	s_branch .LBB313_88
.LBB313_69:                             ;   in Loop: Header=BB313_41 Depth=1
	s_mov_b32 s0, -1
	s_mov_b32 s12, exec_lo
                                        ; implicit-def: $sgpr9
	v_cmpx_eq_u16_e32 0x80, v32
; %bb.70:                               ;   in Loop: Header=BB313_41 Depth=1
	s_movk_i32 s9, 0x7e00
	s_xor_b32 s0, exec_lo, -1
; %bb.71:                               ;   in Loop: Header=BB313_41 Depth=1
	s_or_b32 exec_lo, exec_lo, s12
	s_delay_alu instid0(SALU_CYCLE_1)
	s_and_b32 s0, s0, exec_lo
                                        ; implicit-def: $vgpr32
	s_or_saveexec_b32 s11, s11
	v_mov_b32_e32 v31, s9
	s_xor_b32 exec_lo, exec_lo, s11
	s_cbranch_execz .LBB313_51
.LBB313_72:                             ;   in Loop: Header=BB313_41 Depth=1
	v_cmp_ne_u16_e32 vcc_lo, 0, v32
	v_mov_b32_e32 v31, v32
	s_and_not1_b32 s0, s0, exec_lo
	s_and_b32 s9, vcc_lo, exec_lo
	s_delay_alu instid0(SALU_CYCLE_1)
	s_or_b32 s0, s0, s9
	s_or_b32 exec_lo, exec_lo, s11
	s_and_saveexec_b32 s9, s0
	s_cbranch_execnz .LBB313_52
	s_branch .LBB313_53
.LBB313_73:                             ;   in Loop: Header=BB313_41 Depth=1
	s_mov_b32 s0, -1
	s_mov_b32 s12, exec_lo
                                        ; implicit-def: $sgpr9
	v_cmpx_eq_u16_e32 0x80, v33
; %bb.74:                               ;   in Loop: Header=BB313_41 Depth=1
	s_movk_i32 s9, 0x7e00
	s_xor_b32 s0, exec_lo, -1
; %bb.75:                               ;   in Loop: Header=BB313_41 Depth=1
	s_or_b32 exec_lo, exec_lo, s12
	s_delay_alu instid0(SALU_CYCLE_1)
	s_and_b32 s0, s0, exec_lo
                                        ; implicit-def: $vgpr33
	s_or_saveexec_b32 s11, s11
	v_mov_b32_e32 v32, s9
	s_xor_b32 exec_lo, exec_lo, s11
	s_cbranch_execz .LBB313_55
.LBB313_76:                             ;   in Loop: Header=BB313_41 Depth=1
	v_cmp_ne_u16_e32 vcc_lo, 0, v33
	v_mov_b32_e32 v32, v33
	s_and_not1_b32 s0, s0, exec_lo
	s_and_b32 s9, vcc_lo, exec_lo
	s_delay_alu instid0(SALU_CYCLE_1)
	s_or_b32 s0, s0, s9
	s_or_b32 exec_lo, exec_lo, s11
	s_and_saveexec_b32 s9, s0
	s_cbranch_execnz .LBB313_56
	s_branch .LBB313_57
.LBB313_77:                             ;   in Loop: Header=BB313_41 Depth=1
	s_mov_b32 s0, -1
	s_mov_b32 s12, exec_lo
                                        ; implicit-def: $sgpr9
	v_cmpx_eq_u16_e32 0x80, v34
; %bb.78:                               ;   in Loop: Header=BB313_41 Depth=1
	s_movk_i32 s9, 0x7e00
	s_xor_b32 s0, exec_lo, -1
; %bb.79:                               ;   in Loop: Header=BB313_41 Depth=1
	s_or_b32 exec_lo, exec_lo, s12
	s_delay_alu instid0(SALU_CYCLE_1)
	s_and_b32 s0, s0, exec_lo
                                        ; implicit-def: $vgpr34
	s_or_saveexec_b32 s11, s11
	v_mov_b32_e32 v33, s9
	s_xor_b32 exec_lo, exec_lo, s11
	s_cbranch_execz .LBB313_59
.LBB313_80:                             ;   in Loop: Header=BB313_41 Depth=1
	v_cmp_ne_u16_e32 vcc_lo, 0, v34
	v_mov_b32_e32 v33, v34
	s_and_not1_b32 s0, s0, exec_lo
	s_and_b32 s9, vcc_lo, exec_lo
	s_delay_alu instid0(SALU_CYCLE_1)
	s_or_b32 s0, s0, s9
	s_or_b32 exec_lo, exec_lo, s11
	s_and_saveexec_b32 s9, s0
	s_cbranch_execnz .LBB313_60
	s_branch .LBB313_61
.LBB313_81:                             ;   in Loop: Header=BB313_41 Depth=1
	s_mov_b32 s0, -1
	s_mov_b32 s12, exec_lo
                                        ; implicit-def: $sgpr9
	v_cmpx_eq_u16_e32 0x80, v35
; %bb.82:                               ;   in Loop: Header=BB313_41 Depth=1
	s_movk_i32 s9, 0x7e00
	s_xor_b32 s0, exec_lo, -1
; %bb.83:                               ;   in Loop: Header=BB313_41 Depth=1
	s_or_b32 exec_lo, exec_lo, s12
	s_delay_alu instid0(SALU_CYCLE_1)
	s_and_b32 s0, s0, exec_lo
                                        ; implicit-def: $vgpr35
	s_or_saveexec_b32 s11, s11
	v_mov_b32_e32 v34, s9
	s_xor_b32 exec_lo, exec_lo, s11
	s_cbranch_execz .LBB313_63
.LBB313_84:                             ;   in Loop: Header=BB313_41 Depth=1
	v_cmp_ne_u16_e32 vcc_lo, 0, v35
	v_mov_b32_e32 v34, v35
	s_and_not1_b32 s0, s0, exec_lo
	s_and_b32 s9, vcc_lo, exec_lo
	s_delay_alu instid0(SALU_CYCLE_1)
	s_or_b32 s0, s0, s9
	s_or_b32 exec_lo, exec_lo, s11
	s_and_saveexec_b32 s9, s0
	s_cbranch_execnz .LBB313_64
	s_branch .LBB313_65
.LBB313_85:                             ;   in Loop: Header=BB313_41 Depth=1
	global_store_b16 v[1:2], v31, off
	s_or_b32 exec_lo, exec_lo, s0
	s_delay_alu instid0(SALU_CYCLE_1)
	s_mov_b32 s0, exec_lo
	v_cmpx_gt_u64_e64 s[2:3], v[7:8]
	s_cbranch_execz .LBB313_67
.LBB313_86:                             ;   in Loop: Header=BB313_41 Depth=1
	global_store_b16 v[3:4], v32, off
	s_or_b32 exec_lo, exec_lo, s0
	s_delay_alu instid0(SALU_CYCLE_1)
	s_mov_b32 s0, exec_lo
	v_cmpx_gt_u64_e64 s[2:3], v[9:10]
	s_cbranch_execz .LBB313_68
.LBB313_87:                             ;   in Loop: Header=BB313_41 Depth=1
	v_add_co_u32 v5, vcc_lo, v1, s1
	v_add_co_ci_u32_e32 v6, vcc_lo, 0, v2, vcc_lo
	global_store_b16 v[5:6], v33, off
	s_or_b32 exec_lo, exec_lo, s0
	s_delay_alu instid0(SALU_CYCLE_1)
	s_mov_b32 s0, exec_lo
	v_cmpx_gt_u64_e64 s[2:3], v[11:12]
	s_cbranch_execz .LBB313_40
.LBB313_88:                             ;   in Loop: Header=BB313_41 Depth=1
	v_add_co_u32 v5, vcc_lo, v1, s8
	v_add_co_ci_u32_e32 v6, vcc_lo, 0, v2, vcc_lo
	global_store_b16 v[5:6], v34, off
	s_branch .LBB313_40
.LBB313_89:
	s_nop 0
	s_sendmsg sendmsg(MSG_DEALLOC_VGPRS)
	s_endpgm
	.section	.rodata,"a",@progbits
	.p2align	6, 0x0
	.amdhsa_kernel _ZN2at6native12_GLOBAL__N_125multi_tensor_apply_kernelINS1_18TensorListMetadataILi2EEENS1_11CopyFunctorIN3c104HalfENS6_15Float8_e4m3fnuzELi2ELi1ELi1EEEJNS0_4CopyIS7_S8_EEEEEvT_T0_DpT1_
		.amdhsa_group_segment_fixed_size 0
		.amdhsa_private_segment_fixed_size 0
		.amdhsa_kernarg_size 3408
		.amdhsa_user_sgpr_count 15
		.amdhsa_user_sgpr_dispatch_ptr 0
		.amdhsa_user_sgpr_queue_ptr 0
		.amdhsa_user_sgpr_kernarg_segment_ptr 1
		.amdhsa_user_sgpr_dispatch_id 0
		.amdhsa_user_sgpr_private_segment_size 0
		.amdhsa_wavefront_size32 1
		.amdhsa_uses_dynamic_stack 0
		.amdhsa_enable_private_segment 0
		.amdhsa_system_sgpr_workgroup_id_x 1
		.amdhsa_system_sgpr_workgroup_id_y 0
		.amdhsa_system_sgpr_workgroup_id_z 0
		.amdhsa_system_sgpr_workgroup_info 0
		.amdhsa_system_vgpr_workitem_id 0
		.amdhsa_next_free_vgpr 39
		.amdhsa_next_free_sgpr 22
		.amdhsa_reserve_vcc 1
		.amdhsa_float_round_mode_32 0
		.amdhsa_float_round_mode_16_64 0
		.amdhsa_float_denorm_mode_32 3
		.amdhsa_float_denorm_mode_16_64 3
		.amdhsa_dx10_clamp 1
		.amdhsa_ieee_mode 1
		.amdhsa_fp16_overflow 0
		.amdhsa_workgroup_processor_mode 1
		.amdhsa_memory_ordered 1
		.amdhsa_forward_progress 0
		.amdhsa_shared_vgpr_count 0
		.amdhsa_exception_fp_ieee_invalid_op 0
		.amdhsa_exception_fp_denorm_src 0
		.amdhsa_exception_fp_ieee_div_zero 0
		.amdhsa_exception_fp_ieee_overflow 0
		.amdhsa_exception_fp_ieee_underflow 0
		.amdhsa_exception_fp_ieee_inexact 0
		.amdhsa_exception_int_div_zero 0
	.end_amdhsa_kernel
	.section	.text._ZN2at6native12_GLOBAL__N_125multi_tensor_apply_kernelINS1_18TensorListMetadataILi2EEENS1_11CopyFunctorIN3c104HalfENS6_15Float8_e4m3fnuzELi2ELi1ELi1EEEJNS0_4CopyIS7_S8_EEEEEvT_T0_DpT1_,"axG",@progbits,_ZN2at6native12_GLOBAL__N_125multi_tensor_apply_kernelINS1_18TensorListMetadataILi2EEENS1_11CopyFunctorIN3c104HalfENS6_15Float8_e4m3fnuzELi2ELi1ELi1EEEJNS0_4CopyIS7_S8_EEEEEvT_T0_DpT1_,comdat
.Lfunc_end313:
	.size	_ZN2at6native12_GLOBAL__N_125multi_tensor_apply_kernelINS1_18TensorListMetadataILi2EEENS1_11CopyFunctorIN3c104HalfENS6_15Float8_e4m3fnuzELi2ELi1ELi1EEEJNS0_4CopyIS7_S8_EEEEEvT_T0_DpT1_, .Lfunc_end313-_ZN2at6native12_GLOBAL__N_125multi_tensor_apply_kernelINS1_18TensorListMetadataILi2EEENS1_11CopyFunctorIN3c104HalfENS6_15Float8_e4m3fnuzELi2ELi1ELi1EEEJNS0_4CopyIS7_S8_EEEEEvT_T0_DpT1_
                                        ; -- End function
	.section	.AMDGPU.csdata,"",@progbits
; Kernel info:
; codeLenInByte = 3552
; NumSgprs: 24
; NumVgprs: 39
; ScratchSize: 0
; MemoryBound: 0
; FloatMode: 240
; IeeeMode: 1
; LDSByteSize: 0 bytes/workgroup (compile time only)
; SGPRBlocks: 2
; VGPRBlocks: 4
; NumSGPRsForWavesPerEU: 24
; NumVGPRsForWavesPerEU: 39
; Occupancy: 16
; WaveLimiterHint : 0
; COMPUTE_PGM_RSRC2:SCRATCH_EN: 0
; COMPUTE_PGM_RSRC2:USER_SGPR: 15
; COMPUTE_PGM_RSRC2:TRAP_HANDLER: 0
; COMPUTE_PGM_RSRC2:TGID_X_EN: 1
; COMPUTE_PGM_RSRC2:TGID_Y_EN: 0
; COMPUTE_PGM_RSRC2:TGID_Z_EN: 0
; COMPUTE_PGM_RSRC2:TIDIG_COMP_CNT: 0
	.section	.text._ZN2at6native12_GLOBAL__N_125multi_tensor_apply_kernelINS1_18TensorListMetadataILi2EEENS1_11CopyFunctorIN3c104HalfENS6_11Float8_e5m2ELi2ELi1ELi1EEEJNS0_4CopyIS7_S8_EEEEEvT_T0_DpT1_,"axG",@progbits,_ZN2at6native12_GLOBAL__N_125multi_tensor_apply_kernelINS1_18TensorListMetadataILi2EEENS1_11CopyFunctorIN3c104HalfENS6_11Float8_e5m2ELi2ELi1ELi1EEEJNS0_4CopyIS7_S8_EEEEEvT_T0_DpT1_,comdat
	.globl	_ZN2at6native12_GLOBAL__N_125multi_tensor_apply_kernelINS1_18TensorListMetadataILi2EEENS1_11CopyFunctorIN3c104HalfENS6_11Float8_e5m2ELi2ELi1ELi1EEEJNS0_4CopyIS7_S8_EEEEEvT_T0_DpT1_ ; -- Begin function _ZN2at6native12_GLOBAL__N_125multi_tensor_apply_kernelINS1_18TensorListMetadataILi2EEENS1_11CopyFunctorIN3c104HalfENS6_11Float8_e5m2ELi2ELi1ELi1EEEJNS0_4CopyIS7_S8_EEEEEvT_T0_DpT1_
	.p2align	8
	.type	_ZN2at6native12_GLOBAL__N_125multi_tensor_apply_kernelINS1_18TensorListMetadataILi2EEENS1_11CopyFunctorIN3c104HalfENS6_11Float8_e5m2ELi2ELi1ELi1EEEJNS0_4CopyIS7_S8_EEEEEvT_T0_DpT1_,@function
_ZN2at6native12_GLOBAL__N_125multi_tensor_apply_kernelINS1_18TensorListMetadataILi2EEENS1_11CopyFunctorIN3c104HalfENS6_11Float8_e5m2ELi2ELi1ELi1EEEJNS0_4CopyIS7_S8_EEEEEvT_T0_DpT1_: ; @_ZN2at6native12_GLOBAL__N_125multi_tensor_apply_kernelINS1_18TensorListMetadataILi2EEENS1_11CopyFunctorIN3c104HalfENS6_11Float8_e5m2ELi2ELi1ELi1EEEJNS0_4CopyIS7_S8_EEEEEvT_T0_DpT1_
; %bb.0:
	v_mov_b32_e32 v1, s15
	s_add_u32 s2, s0, s15
	s_mul_hi_u32 s3, s15, 3
	s_mul_i32 s15, s15, 3
	s_addc_u32 s4, s1, 0
	global_load_u8 v1, v1, s[0:1] offset:1536
	s_add_u32 s2, s2, s15
	s_addc_u32 s3, s4, s3
	s_load_b32 s10, s[2:3], 0x740
	s_waitcnt lgkmcnt(0)
	s_ashr_i32 s11, s10, 31
	s_delay_alu instid0(SALU_CYCLE_1) | instskip(SKIP_2) | instid1(VALU_DEP_1)
	s_lshl_b64 s[8:9], s[10:11], 16
	s_waitcnt vmcnt(0)
	v_readfirstlane_b32 s5, v1
	s_lshl_b32 s2, s5, 3
	s_mov_b32 s5, 0
	s_clause 0x2
	s_load_b64 s[6:7], s[0:1], s2 offset:0x0
	s_load_b64 s[12:13], s[0:1], s2 offset:0x200
	;; [unrolled: 1-line block ×3, first 2 shown]
	s_waitcnt lgkmcnt(0)
	s_add_u32 s14, s6, s8
	s_addc_u32 s15, s7, s9
	s_and_b32 s16, s12, 7
	s_and_b32 s17, s2, 3
	s_and_b32 s4, s14, 3
	s_or_b32 s16, s17, s16
	s_mov_b32 s17, s5
	s_delay_alu instid0(SALU_CYCLE_1)
	s_or_b64 s[16:17], s[4:5], s[16:17]
	s_sub_u32 s4, s2, s8
	s_subb_u32 s5, s3, s9
	s_cmp_eq_u64 s[16:17], 0
	s_mov_b32 s2, -1
	s_cbranch_scc0 .LBB314_5
; %bb.1:
	v_dual_mov_b32 v2, 0 :: v_dual_lshlrev_b32 v1, 2, v0
	s_mov_b32 s16, exec_lo
	s_delay_alu instid0(VALU_DEP_1)
	v_cmpx_gt_i64_e64 s[4:5], v[1:2]
	s_cbranch_execz .LBB314_4
; %bb.2:
	s_load_b32 s17, s[0:1], 0xc5c
	v_lshlrev_b32_e32 v3, 3, v0
	s_lshl_b64 s[2:3], s[10:11], 17
	s_mov_b32 s18, 0
	s_mov_b32 s20, 0xfe00000
	s_waitcnt lgkmcnt(0)
	s_and_b32 s19, s17, 0xffff
	s_delay_alu instid0(SALU_CYCLE_1) | instskip(SKIP_3) | instid1(VALU_DEP_1)
	s_lshl_b32 s17, s19, 2
	s_add_u32 s2, s12, s2
	s_addc_u32 s3, s13, s3
	v_add_co_u32 v3, s2, s2, v3
	v_add_co_ci_u32_e64 v4, null, s3, 0, s2
	s_lshl_b32 s19, s19, 3
	s_delay_alu instid0(VALU_DEP_2) | instskip(NEXT) | instid1(VALU_DEP_2)
	v_add_co_u32 v3, vcc_lo, v3, 4
	v_add_co_ci_u32_e32 v4, vcc_lo, 0, v4, vcc_lo
.LBB314_3:                              ; =>This Inner Loop Header: Depth=1
	v_add_co_u32 v5, vcc_lo, s14, v1
	v_add_co_ci_u32_e32 v6, vcc_lo, s15, v2, vcc_lo
	v_add_co_u32 v1, vcc_lo, s17, v1
	v_add_co_ci_u32_e32 v2, vcc_lo, 0, v2, vcc_lo
	global_load_b32 v5, v[5:6], off
	v_cmp_le_i64_e32 vcc_lo, s[4:5], v[1:2]
	v_cmp_lt_u64_e64 s2, 0xffff, v[1:2]
	s_delay_alu instid0(VALU_DEP_1) | instskip(NEXT) | instid1(SALU_CYCLE_1)
	s_or_b32 s2, vcc_lo, s2
	s_and_b32 s21, exec_lo, s2
	s_delay_alu instid0(SALU_CYCLE_1)
	s_or_b32 s18, s21, s18
	s_waitcnt vmcnt(0)
	v_lshrrev_b32_e32 v12, 8, v5
	v_lshrrev_b32_e32 v13, 16, v5
	;; [unrolled: 1-line block ×3, first 2 shown]
	v_lshlrev_b16 v6, 8, v5
	v_and_or_b32 v11, 0x7f00, v5, 0.5
	v_lshlrev_b32_e32 v8, 17, v5
	v_lshlrev_b32_e32 v14, 8, v5
	v_and_or_b32 v16, v16, s20, 0x70000000
	v_lshlrev_b32_e32 v19, 17, v13
	v_and_or_b32 v13, 0x7f00, v13, 0.5
	v_lshlrev_b32_e32 v20, 17, v12
	v_and_or_b32 v12, 0x7f00, v12, 0.5
	v_lshlrev_b32_e32 v15, 5, v5
	v_bfe_i32 v17, v6, 0, 16
	v_and_or_b32 v6, 0x7f00, v6, 0.5
	s_delay_alu instid0(VALU_DEP_4) | instskip(NEXT) | instid1(VALU_DEP_4)
	v_dual_add_f32 v13, -0.5, v13 :: v_dual_add_f32 v12, -0.5, v12
	v_and_or_b32 v15, v15, s20, 0x70000000
	v_lshlrev_b32_e32 v10, 13, v5
	v_cmp_gt_u32_e32 vcc_lo, 0x8000000, v20
	v_dual_add_f32 v6, -0.5, v6 :: v_dual_lshlrev_b32 v7, 16, v5
	s_delay_alu instid0(VALU_DEP_4) | instskip(NEXT) | instid1(VALU_DEP_4)
	v_mul_f32_e32 v15, 0x7800000, v15
	v_and_or_b32 v10, v10, s20, 0x70000000
	v_lshlrev_b32_e32 v9, 25, v5
	v_dual_add_f32 v11, -0.5, v11 :: v_dual_mul_f32 v16, 0x7800000, v16
	v_cmp_gt_u32_e64 s2, 0x8000000, v19
	s_delay_alu instid0(VALU_DEP_4) | instskip(NEXT) | instid1(VALU_DEP_4)
	v_mul_f32_e32 v10, 0x7800000, v10
	v_lshrrev_b32_e32 v18, 4, v9
	v_cmp_gt_u32_e64 s3, 0x8000000, v8
	v_cndmask_b32_e32 v12, v15, v12, vcc_lo
	v_cmp_gt_u32_e32 vcc_lo, 0x8000000, v9
	s_delay_alu instid0(VALU_DEP_4) | instskip(NEXT) | instid1(VALU_DEP_4)
	v_or_b32_e32 v18, 0x70000000, v18
	v_cndmask_b32_e64 v10, v10, v11, s3
	v_cndmask_b32_e64 v11, v16, v13, s2
	s_delay_alu instid0(VALU_DEP_3) | instskip(NEXT) | instid1(VALU_DEP_3)
	v_mul_f32_e32 v8, 0x7800000, v18
	v_and_or_b32 v7, 0x80000000, v7, v10
	s_delay_alu instid0(VALU_DEP_3) | instskip(NEXT) | instid1(VALU_DEP_3)
	v_and_or_b32 v5, 0x80000000, v5, v11
	v_cndmask_b32_e32 v6, v8, v6, vcc_lo
	v_and_or_b32 v8, 0x80000000, v14, v12
	s_delay_alu instid0(VALU_DEP_4) | instskip(NEXT) | instid1(VALU_DEP_4)
	v_cvt_f16_f32_e32 v7, v7
	v_cvt_f16_f32_e32 v5, v5
	s_delay_alu instid0(VALU_DEP_4) | instskip(NEXT) | instid1(VALU_DEP_4)
	v_and_or_b32 v6, 0x80000000, v17, v6
	v_cvt_f16_f32_e32 v8, v8
	s_delay_alu instid0(VALU_DEP_2) | instskip(NEXT) | instid1(VALU_DEP_2)
	v_cvt_f16_f32_e32 v9, v6
	v_pack_b32_f16 v6, v8, v5
	s_delay_alu instid0(VALU_DEP_2)
	v_pack_b32_f16 v5, v9, v7
	global_store_b64 v[3:4], v[5:6], off offset:-4
	v_add_co_u32 v3, vcc_lo, v3, s19
	v_add_co_ci_u32_e32 v4, vcc_lo, 0, v4, vcc_lo
	s_and_not1_b32 exec_lo, exec_lo, s18
	s_cbranch_execnz .LBB314_3
.LBB314_4:
	s_or_b32 exec_lo, exec_lo, s16
	s_mov_b32 s2, 0
.LBB314_5:
	s_delay_alu instid0(SALU_CYCLE_1)
	s_and_not1_b32 vcc_lo, exec_lo, s2
	s_cbranch_vccnz .LBB314_25
; %bb.6:
	v_cmp_lt_i64_e64 s2, s[4:5], 1
	s_delay_alu instid0(VALU_DEP_1)
	s_and_b32 vcc_lo, exec_lo, s2
	s_cbranch_vccnz .LBB314_25
; %bb.7:
	s_load_b32 s0, s[0:1], 0xc5c
	v_cmp_gt_u64_e64 s1, 0x10000, s[4:5]
	v_add_co_u32 v3, s2, s8, v0
	v_lshlrev_b32_e32 v1, 1, v0
	v_add_co_ci_u32_e64 v4, null, s9, 0, s2
	s_delay_alu instid0(VALU_DEP_3) | instskip(NEXT) | instid1(VALU_DEP_2)
	v_add_co_u32 v13, vcc_lo, s6, v3
                                        ; implicit-def: $vgpr27
                                        ; implicit-def: $vgpr28
                                        ; implicit-def: $vgpr29
                                        ; implicit-def: $vgpr30
	v_add_co_ci_u32_e32 v14, vcc_lo, s7, v4, vcc_lo
	s_waitcnt lgkmcnt(0)
	s_and_b32 s0, s0, 0xffff
	s_and_b32 s1, s1, exec_lo
	s_cselect_b32 s3, s5, 0
	s_cselect_b32 s2, s4, 0x10000
	s_lshl_b64 s[10:11], s[10:11], 17
	s_lshl_b32 s14, s0, 1
	s_lshl_b32 s1, s0, 2
	s_add_u32 s12, s12, s10
	s_mul_i32 s15, s0, 3
	s_addc_u32 s11, s13, s11
	s_lshl_b32 s10, s0, 3
	v_add_co_u32 v1, s16, s12, v1
	s_add_u32 s13, s8, s15
	v_add_co_ci_u32_e64 v2, null, s11, 0, s16
	s_addc_u32 s16, s9, 0
	s_add_u32 s13, s6, s13
	s_addc_u32 s16, s7, s16
	s_add_u32 s8, s8, s14
	;; [unrolled: 2-line block ×3, first 2 shown]
	s_addc_u32 s9, s7, s9
	v_add_co_u32 v19, s8, s8, v0
	s_delay_alu instid0(VALU_DEP_1) | instskip(SKIP_1) | instid1(VALU_DEP_1)
	v_add_co_ci_u32_e64 v20, null, s9, 0, s8
	v_add_co_u32 v21, s8, s14, v0
	v_add_co_ci_u32_e64 v22, null, 0, 0, s8
	v_add_co_u32 v23, s8, v0, s0
	v_add_co_u32 v15, s13, s13, v0
	s_add_u32 s6, s6, s0
	s_delay_alu instid0(VALU_DEP_2)
	v_lshlrev_b32_e32 v5, 1, v23
	v_add_co_ci_u32_e64 v16, null, s16, 0, s13
	v_add_co_u32 v17, s13, s15, v0
	s_addc_u32 s7, s7, 0
	v_add_co_u32 v25, vcc_lo, s6, v3
	v_add_co_u32 v3, s6, s12, v5
	v_add_co_ci_u32_e64 v18, null, 0, 0, s13
	v_add_co_ci_u32_e64 v24, null, 0, 0, s8
	v_add_co_ci_u32_e32 v26, vcc_lo, s7, v4, vcc_lo
	v_add_co_ci_u32_e64 v4, null, s11, 0, s6
	s_mul_i32 s8, s0, 6
	s_mov_b64 s[6:7], 0
	s_branch .LBB314_9
.LBB314_8:                              ;   in Loop: Header=BB314_9 Depth=1
	s_or_b32 exec_lo, exec_lo, s0
	s_add_u32 s6, s6, s1
	s_addc_u32 s7, s7, 0
	v_add_co_u32 v1, vcc_lo, v1, s10
	v_cmp_ge_i64_e64 s0, s[6:7], s[4:5]
	v_cmp_lt_u64_e64 s9, 0xffff, s[6:7]
	v_add_co_ci_u32_e32 v2, vcc_lo, 0, v2, vcc_lo
	v_add_co_u32 v3, vcc_lo, v3, s10
	v_add_co_ci_u32_e32 v4, vcc_lo, 0, v4, vcc_lo
	s_delay_alu instid0(VALU_DEP_4) | instskip(NEXT) | instid1(SALU_CYCLE_1)
	s_or_b32 s0, s0, s9
	s_and_b32 vcc_lo, exec_lo, s0
	s_cbranch_vccnz .LBB314_25
.LBB314_9:                              ; =>This Inner Loop Header: Depth=1
	v_add_co_u32 v11, s0, v0, s6
	s_delay_alu instid0(VALU_DEP_1) | instskip(NEXT) | instid1(VALU_DEP_1)
	v_add_co_ci_u32_e64 v12, null, 0, s7, s0
	v_cmp_gt_i64_e32 vcc_lo, s[4:5], v[11:12]
	v_cmp_gt_u64_e64 s0, 0x10000, v[11:12]
	s_delay_alu instid0(VALU_DEP_1) | instskip(NEXT) | instid1(SALU_CYCLE_1)
	s_and_b32 s9, vcc_lo, s0
	s_and_saveexec_b32 s0, s9
	s_cbranch_execz .LBB314_11
; %bb.10:                               ;   in Loop: Header=BB314_9 Depth=1
	v_add_co_u32 v5, vcc_lo, v13, s6
	v_add_co_ci_u32_e32 v6, vcc_lo, s7, v14, vcc_lo
	global_load_u8 v30, v[5:6], off
.LBB314_11:                             ;   in Loop: Header=BB314_9 Depth=1
	s_or_b32 exec_lo, exec_lo, s0
	v_add_co_u32 v9, vcc_lo, v23, s6
	v_add_co_ci_u32_e32 v10, vcc_lo, s7, v24, vcc_lo
	s_delay_alu instid0(VALU_DEP_1) | instskip(SKIP_1) | instid1(VALU_DEP_1)
	v_cmp_gt_i64_e32 vcc_lo, s[4:5], v[9:10]
	v_cmp_gt_u64_e64 s0, 0x10000, v[9:10]
	s_and_b32 s9, vcc_lo, s0
	s_delay_alu instid0(SALU_CYCLE_1)
	s_and_saveexec_b32 s0, s9
	s_cbranch_execz .LBB314_13
; %bb.12:                               ;   in Loop: Header=BB314_9 Depth=1
	v_add_co_u32 v5, vcc_lo, v25, s6
	v_add_co_ci_u32_e32 v6, vcc_lo, s7, v26, vcc_lo
	global_load_u8 v29, v[5:6], off
.LBB314_13:                             ;   in Loop: Header=BB314_9 Depth=1
	s_or_b32 exec_lo, exec_lo, s0
	v_add_co_u32 v7, vcc_lo, v21, s6
	v_add_co_ci_u32_e32 v8, vcc_lo, s7, v22, vcc_lo
	s_delay_alu instid0(VALU_DEP_1) | instskip(SKIP_1) | instid1(VALU_DEP_1)
	v_cmp_gt_i64_e32 vcc_lo, s[4:5], v[7:8]
	v_cmp_gt_u64_e64 s0, 0x10000, v[7:8]
	s_and_b32 s9, vcc_lo, s0
	s_delay_alu instid0(SALU_CYCLE_1)
	;; [unrolled: 15-line block ×3, first 2 shown]
	s_and_saveexec_b32 s0, s9
	s_cbranch_execnz .LBB314_20
; %bb.16:                               ;   in Loop: Header=BB314_9 Depth=1
	s_or_b32 exec_lo, exec_lo, s0
	s_delay_alu instid0(SALU_CYCLE_1)
	s_mov_b32 s0, exec_lo
	v_cmpx_gt_u64_e64 s[2:3], v[11:12]
	s_cbranch_execnz .LBB314_21
.LBB314_17:                             ;   in Loop: Header=BB314_9 Depth=1
	s_or_b32 exec_lo, exec_lo, s0
	s_delay_alu instid0(SALU_CYCLE_1)
	s_mov_b32 s0, exec_lo
	v_cmpx_gt_u64_e64 s[2:3], v[9:10]
	s_cbranch_execnz .LBB314_22
.LBB314_18:                             ;   in Loop: Header=BB314_9 Depth=1
	s_or_b32 exec_lo, exec_lo, s0
	s_delay_alu instid0(SALU_CYCLE_1)
	s_mov_b32 s0, exec_lo
	v_cmpx_gt_u64_e64 s[2:3], v[7:8]
	s_cbranch_execnz .LBB314_23
.LBB314_19:                             ;   in Loop: Header=BB314_9 Depth=1
	s_or_b32 exec_lo, exec_lo, s0
	s_delay_alu instid0(SALU_CYCLE_1)
	s_mov_b32 s0, exec_lo
	v_cmpx_gt_u64_e64 s[2:3], v[5:6]
	s_cbranch_execz .LBB314_8
	s_branch .LBB314_24
.LBB314_20:                             ;   in Loop: Header=BB314_9 Depth=1
	v_add_co_u32 v31, vcc_lo, v15, s6
	v_add_co_ci_u32_e32 v32, vcc_lo, s7, v16, vcc_lo
	global_load_u8 v27, v[31:32], off
	s_or_b32 exec_lo, exec_lo, s0
	s_delay_alu instid0(SALU_CYCLE_1)
	s_mov_b32 s0, exec_lo
	v_cmpx_gt_u64_e64 s[2:3], v[11:12]
	s_cbranch_execz .LBB314_17
.LBB314_21:                             ;   in Loop: Header=BB314_9 Depth=1
	s_waitcnt vmcnt(0)
	v_lshlrev_b16 v12, 8, v30
	s_delay_alu instid0(VALU_DEP_1) | instskip(SKIP_2) | instid1(VALU_DEP_3)
	v_and_or_b32 v32, 0x7f00, v12, 0.5
	v_lshlrev_b32_e32 v11, 25, v30
	v_bfe_i32 v12, v12, 0, 16
	v_add_f32_e32 v32, -0.5, v32
	s_delay_alu instid0(VALU_DEP_3) | instskip(SKIP_1) | instid1(VALU_DEP_2)
	v_lshrrev_b32_e32 v31, 4, v11
	v_cmp_gt_u32_e32 vcc_lo, 0x8000000, v11
	v_or_b32_e32 v31, 0x70000000, v31
	s_delay_alu instid0(VALU_DEP_1) | instskip(NEXT) | instid1(VALU_DEP_1)
	v_mul_f32_e32 v31, 0x7800000, v31
	v_cndmask_b32_e32 v11, v31, v32, vcc_lo
	s_delay_alu instid0(VALU_DEP_1) | instskip(NEXT) | instid1(VALU_DEP_1)
	v_and_or_b32 v11, 0x80000000, v12, v11
	v_cvt_f16_f32_e32 v11, v11
	global_store_b16 v[1:2], v11, off
	s_or_b32 exec_lo, exec_lo, s0
	s_delay_alu instid0(SALU_CYCLE_1)
	s_mov_b32 s0, exec_lo
	v_cmpx_gt_u64_e64 s[2:3], v[9:10]
	s_cbranch_execz .LBB314_18
.LBB314_22:                             ;   in Loop: Header=BB314_9 Depth=1
	s_waitcnt vmcnt(0)
	v_lshlrev_b16 v10, 8, v29
	s_delay_alu instid0(VALU_DEP_1) | instskip(SKIP_2) | instid1(VALU_DEP_3)
	v_and_or_b32 v12, 0x7f00, v10, 0.5
	v_lshlrev_b32_e32 v9, 25, v29
	v_bfe_i32 v10, v10, 0, 16
	v_add_f32_e32 v12, -0.5, v12
	s_delay_alu instid0(VALU_DEP_3) | instskip(SKIP_1) | instid1(VALU_DEP_2)
	v_lshrrev_b32_e32 v11, 4, v9
	v_cmp_gt_u32_e32 vcc_lo, 0x8000000, v9
	v_or_b32_e32 v11, 0x70000000, v11
	s_delay_alu instid0(VALU_DEP_1) | instskip(NEXT) | instid1(VALU_DEP_1)
	v_mul_f32_e32 v11, 0x7800000, v11
	v_cndmask_b32_e32 v9, v11, v12, vcc_lo
	s_delay_alu instid0(VALU_DEP_1) | instskip(NEXT) | instid1(VALU_DEP_1)
	v_and_or_b32 v9, 0x80000000, v10, v9
	v_cvt_f16_f32_e32 v9, v9
	global_store_b16 v[3:4], v9, off
	s_or_b32 exec_lo, exec_lo, s0
	s_delay_alu instid0(SALU_CYCLE_1)
	s_mov_b32 s0, exec_lo
	v_cmpx_gt_u64_e64 s[2:3], v[7:8]
	s_cbranch_execz .LBB314_19
.LBB314_23:                             ;   in Loop: Header=BB314_9 Depth=1
	s_waitcnt vmcnt(0)
	v_lshlrev_b16 v8, 8, v28
	s_delay_alu instid0(VALU_DEP_1) | instskip(SKIP_2) | instid1(VALU_DEP_3)
	v_and_or_b32 v10, 0x7f00, v8, 0.5
	v_lshlrev_b32_e32 v7, 25, v28
	v_bfe_i32 v8, v8, 0, 16
	v_add_f32_e32 v10, -0.5, v10
	s_delay_alu instid0(VALU_DEP_3) | instskip(SKIP_1) | instid1(VALU_DEP_2)
	v_lshrrev_b32_e32 v9, 4, v7
	v_cmp_gt_u32_e32 vcc_lo, 0x8000000, v7
	v_or_b32_e32 v9, 0x70000000, v9
	s_delay_alu instid0(VALU_DEP_1) | instskip(NEXT) | instid1(VALU_DEP_1)
	v_mul_f32_e32 v9, 0x7800000, v9
	v_cndmask_b32_e32 v7, v9, v10, vcc_lo
	s_delay_alu instid0(VALU_DEP_1) | instskip(NEXT) | instid1(VALU_DEP_1)
	v_and_or_b32 v7, 0x80000000, v8, v7
	v_cvt_f16_f32_e32 v9, v7
	v_add_co_u32 v7, vcc_lo, v1, s1
	v_add_co_ci_u32_e32 v8, vcc_lo, 0, v2, vcc_lo
	global_store_b16 v[7:8], v9, off
	s_or_b32 exec_lo, exec_lo, s0
	s_delay_alu instid0(SALU_CYCLE_1)
	s_mov_b32 s0, exec_lo
	v_cmpx_gt_u64_e64 s[2:3], v[5:6]
	s_cbranch_execz .LBB314_8
.LBB314_24:                             ;   in Loop: Header=BB314_9 Depth=1
	s_waitcnt vmcnt(0)
	v_lshlrev_b16 v6, 8, v27
	s_delay_alu instid0(VALU_DEP_1) | instskip(SKIP_2) | instid1(VALU_DEP_3)
	v_and_or_b32 v8, 0x7f00, v6, 0.5
	v_lshlrev_b32_e32 v5, 25, v27
	v_bfe_i32 v6, v6, 0, 16
	v_add_f32_e32 v8, -0.5, v8
	s_delay_alu instid0(VALU_DEP_3) | instskip(SKIP_1) | instid1(VALU_DEP_2)
	v_lshrrev_b32_e32 v7, 4, v5
	v_cmp_gt_u32_e32 vcc_lo, 0x8000000, v5
	v_or_b32_e32 v7, 0x70000000, v7
	s_delay_alu instid0(VALU_DEP_1) | instskip(NEXT) | instid1(VALU_DEP_1)
	v_mul_f32_e32 v7, 0x7800000, v7
	v_cndmask_b32_e32 v5, v7, v8, vcc_lo
	s_delay_alu instid0(VALU_DEP_1) | instskip(NEXT) | instid1(VALU_DEP_1)
	v_and_or_b32 v5, 0x80000000, v6, v5
	v_cvt_f16_f32_e32 v7, v5
	v_add_co_u32 v5, vcc_lo, v1, s8
	v_add_co_ci_u32_e32 v6, vcc_lo, 0, v2, vcc_lo
	global_store_b16 v[5:6], v7, off
	s_branch .LBB314_8
.LBB314_25:
	s_nop 0
	s_sendmsg sendmsg(MSG_DEALLOC_VGPRS)
	s_endpgm
	.section	.rodata,"a",@progbits
	.p2align	6, 0x0
	.amdhsa_kernel _ZN2at6native12_GLOBAL__N_125multi_tensor_apply_kernelINS1_18TensorListMetadataILi2EEENS1_11CopyFunctorIN3c104HalfENS6_11Float8_e5m2ELi2ELi1ELi1EEEJNS0_4CopyIS7_S8_EEEEEvT_T0_DpT1_
		.amdhsa_group_segment_fixed_size 0
		.amdhsa_private_segment_fixed_size 0
		.amdhsa_kernarg_size 3408
		.amdhsa_user_sgpr_count 15
		.amdhsa_user_sgpr_dispatch_ptr 0
		.amdhsa_user_sgpr_queue_ptr 0
		.amdhsa_user_sgpr_kernarg_segment_ptr 1
		.amdhsa_user_sgpr_dispatch_id 0
		.amdhsa_user_sgpr_private_segment_size 0
		.amdhsa_wavefront_size32 1
		.amdhsa_uses_dynamic_stack 0
		.amdhsa_enable_private_segment 0
		.amdhsa_system_sgpr_workgroup_id_x 1
		.amdhsa_system_sgpr_workgroup_id_y 0
		.amdhsa_system_sgpr_workgroup_id_z 0
		.amdhsa_system_sgpr_workgroup_info 0
		.amdhsa_system_vgpr_workitem_id 0
		.amdhsa_next_free_vgpr 33
		.amdhsa_next_free_sgpr 22
		.amdhsa_reserve_vcc 1
		.amdhsa_float_round_mode_32 0
		.amdhsa_float_round_mode_16_64 0
		.amdhsa_float_denorm_mode_32 3
		.amdhsa_float_denorm_mode_16_64 3
		.amdhsa_dx10_clamp 1
		.amdhsa_ieee_mode 1
		.amdhsa_fp16_overflow 0
		.amdhsa_workgroup_processor_mode 1
		.amdhsa_memory_ordered 1
		.amdhsa_forward_progress 0
		.amdhsa_shared_vgpr_count 0
		.amdhsa_exception_fp_ieee_invalid_op 0
		.amdhsa_exception_fp_denorm_src 0
		.amdhsa_exception_fp_ieee_div_zero 0
		.amdhsa_exception_fp_ieee_overflow 0
		.amdhsa_exception_fp_ieee_underflow 0
		.amdhsa_exception_fp_ieee_inexact 0
		.amdhsa_exception_int_div_zero 0
	.end_amdhsa_kernel
	.section	.text._ZN2at6native12_GLOBAL__N_125multi_tensor_apply_kernelINS1_18TensorListMetadataILi2EEENS1_11CopyFunctorIN3c104HalfENS6_11Float8_e5m2ELi2ELi1ELi1EEEJNS0_4CopyIS7_S8_EEEEEvT_T0_DpT1_,"axG",@progbits,_ZN2at6native12_GLOBAL__N_125multi_tensor_apply_kernelINS1_18TensorListMetadataILi2EEENS1_11CopyFunctorIN3c104HalfENS6_11Float8_e5m2ELi2ELi1ELi1EEEJNS0_4CopyIS7_S8_EEEEEvT_T0_DpT1_,comdat
.Lfunc_end314:
	.size	_ZN2at6native12_GLOBAL__N_125multi_tensor_apply_kernelINS1_18TensorListMetadataILi2EEENS1_11CopyFunctorIN3c104HalfENS6_11Float8_e5m2ELi2ELi1ELi1EEEJNS0_4CopyIS7_S8_EEEEEvT_T0_DpT1_, .Lfunc_end314-_ZN2at6native12_GLOBAL__N_125multi_tensor_apply_kernelINS1_18TensorListMetadataILi2EEENS1_11CopyFunctorIN3c104HalfENS6_11Float8_e5m2ELi2ELi1ELi1EEEJNS0_4CopyIS7_S8_EEEEEvT_T0_DpT1_
                                        ; -- End function
	.section	.AMDGPU.csdata,"",@progbits
; Kernel info:
; codeLenInByte = 2156
; NumSgprs: 24
; NumVgprs: 33
; ScratchSize: 0
; MemoryBound: 0
; FloatMode: 240
; IeeeMode: 1
; LDSByteSize: 0 bytes/workgroup (compile time only)
; SGPRBlocks: 2
; VGPRBlocks: 4
; NumSGPRsForWavesPerEU: 24
; NumVGPRsForWavesPerEU: 33
; Occupancy: 16
; WaveLimiterHint : 0
; COMPUTE_PGM_RSRC2:SCRATCH_EN: 0
; COMPUTE_PGM_RSRC2:USER_SGPR: 15
; COMPUTE_PGM_RSRC2:TRAP_HANDLER: 0
; COMPUTE_PGM_RSRC2:TGID_X_EN: 1
; COMPUTE_PGM_RSRC2:TGID_Y_EN: 0
; COMPUTE_PGM_RSRC2:TGID_Z_EN: 0
; COMPUTE_PGM_RSRC2:TIDIG_COMP_CNT: 0
	.section	.text._ZN2at6native12_GLOBAL__N_125multi_tensor_apply_kernelINS1_18TensorListMetadataILi2EEENS1_11CopyFunctorIN3c104HalfENS6_15Float8_e5m2fnuzELi2ELi1ELi1EEEJNS0_4CopyIS7_S8_EEEEEvT_T0_DpT1_,"axG",@progbits,_ZN2at6native12_GLOBAL__N_125multi_tensor_apply_kernelINS1_18TensorListMetadataILi2EEENS1_11CopyFunctorIN3c104HalfENS6_15Float8_e5m2fnuzELi2ELi1ELi1EEEJNS0_4CopyIS7_S8_EEEEEvT_T0_DpT1_,comdat
	.globl	_ZN2at6native12_GLOBAL__N_125multi_tensor_apply_kernelINS1_18TensorListMetadataILi2EEENS1_11CopyFunctorIN3c104HalfENS6_15Float8_e5m2fnuzELi2ELi1ELi1EEEJNS0_4CopyIS7_S8_EEEEEvT_T0_DpT1_ ; -- Begin function _ZN2at6native12_GLOBAL__N_125multi_tensor_apply_kernelINS1_18TensorListMetadataILi2EEENS1_11CopyFunctorIN3c104HalfENS6_15Float8_e5m2fnuzELi2ELi1ELi1EEEJNS0_4CopyIS7_S8_EEEEEvT_T0_DpT1_
	.p2align	8
	.type	_ZN2at6native12_GLOBAL__N_125multi_tensor_apply_kernelINS1_18TensorListMetadataILi2EEENS1_11CopyFunctorIN3c104HalfENS6_15Float8_e5m2fnuzELi2ELi1ELi1EEEJNS0_4CopyIS7_S8_EEEEEvT_T0_DpT1_,@function
_ZN2at6native12_GLOBAL__N_125multi_tensor_apply_kernelINS1_18TensorListMetadataILi2EEENS1_11CopyFunctorIN3c104HalfENS6_15Float8_e5m2fnuzELi2ELi1ELi1EEEJNS0_4CopyIS7_S8_EEEEEvT_T0_DpT1_: ; @_ZN2at6native12_GLOBAL__N_125multi_tensor_apply_kernelINS1_18TensorListMetadataILi2EEENS1_11CopyFunctorIN3c104HalfENS6_15Float8_e5m2fnuzELi2ELi1ELi1EEEJNS0_4CopyIS7_S8_EEEEEvT_T0_DpT1_
; %bb.0:
	v_mov_b32_e32 v1, s15
	s_add_u32 s2, s0, s15
	s_mul_hi_u32 s3, s15, 3
	s_mul_i32 s15, s15, 3
	s_addc_u32 s4, s1, 0
	global_load_u8 v1, v1, s[0:1] offset:1536
	s_add_u32 s2, s2, s15
	s_addc_u32 s3, s4, s3
	s_mov_b32 s17, 0
	s_load_b32 s10, s[2:3], 0x740
	s_mov_b32 s19, s17
	s_waitcnt lgkmcnt(0)
	s_ashr_i32 s11, s10, 31
	s_delay_alu instid0(SALU_CYCLE_1) | instskip(SKIP_2) | instid1(VALU_DEP_1)
	s_lshl_b64 s[8:9], s[10:11], 16
	s_waitcnt vmcnt(0)
	v_readfirstlane_b32 s5, v1
	s_lshl_b32 s2, s5, 3
	s_clause 0x2
	s_load_b64 s[6:7], s[0:1], s2 offset:0x0
	s_load_b64 s[12:13], s[0:1], s2 offset:0x200
	;; [unrolled: 1-line block ×3, first 2 shown]
	s_waitcnt lgkmcnt(0)
	s_add_u32 s3, s6, s8
	s_addc_u32 s14, s7, s9
	s_and_b32 s2, s12, 7
	s_and_b32 s15, s4, 3
	;; [unrolled: 1-line block ×3, first 2 shown]
	s_or_b32 s18, s15, s2
	s_mov_b32 s2, -1
	s_or_b64 s[16:17], s[16:17], s[18:19]
	s_sub_u32 s4, s4, s8
	s_subb_u32 s5, s5, s9
	s_cmp_eq_u64 s[16:17], 0
	s_cbranch_scc0 .LBB315_37
; %bb.1:
	v_dual_mov_b32 v2, 0 :: v_dual_lshlrev_b32 v1, 2, v0
	s_mov_b32 s15, exec_lo
	s_delay_alu instid0(VALU_DEP_1)
	v_cmpx_gt_i64_e64 s[4:5], v[1:2]
	s_cbranch_execz .LBB315_36
; %bb.2:
	s_load_b32 s2, s[0:1], 0xc5c
	v_lshlrev_b32_e32 v3, 3, v0
	s_lshl_b64 s[18:19], s[10:11], 17
	s_waitcnt lgkmcnt(0)
	s_and_b32 s2, s2, 0xffff
	s_delay_alu instid0(SALU_CYCLE_1) | instskip(SKIP_3) | instid1(VALU_DEP_1)
	s_lshl_b32 s16, s2, 2
	s_add_u32 s17, s12, s18
	s_addc_u32 s18, s13, s19
	v_add_co_u32 v3, s17, s17, v3
	v_add_co_ci_u32_e64 v4, null, s18, 0, s17
	s_mov_b32 s17, 0
	s_lshl_b32 s18, s2, 3
	s_branch .LBB315_4
.LBB315_3:                              ;   in Loop: Header=BB315_4 Depth=1
	s_or_b32 exec_lo, exec_lo, s19
	v_add_co_u32 v1, vcc_lo, s16, v1
	v_add_co_ci_u32_e32 v2, vcc_lo, 0, v2, vcc_lo
	v_lshlrev_b32_e32 v5, 16, v10
	v_and_b32_e32 v8, 0xffff, v8
	v_lshlrev_b32_e32 v7, 16, v7
	v_and_b32_e32 v9, 0xffff, v6
	v_cmp_le_i64_e32 vcc_lo, s[4:5], v[1:2]
	v_cmp_lt_u64_e64 s2, 0xffff, v[1:2]
	v_or_b32_e32 v6, v5, v8
	s_delay_alu instid0(VALU_DEP_4) | instskip(NEXT) | instid1(VALU_DEP_3)
	v_or_b32_e32 v5, v7, v9
	s_or_b32 s2, vcc_lo, s2
	global_store_b64 v[3:4], v[5:6], off
	v_add_co_u32 v3, vcc_lo, v3, s18
	v_add_co_ci_u32_e32 v4, vcc_lo, 0, v4, vcc_lo
	s_and_b32 s2, exec_lo, s2
	s_delay_alu instid0(SALU_CYCLE_1) | instskip(NEXT) | instid1(SALU_CYCLE_1)
	s_or_b32 s17, s2, s17
	s_and_not1_b32 exec_lo, exec_lo, s17
	s_cbranch_execz .LBB315_36
.LBB315_4:                              ; =>This Inner Loop Header: Depth=1
	v_add_co_u32 v5, vcc_lo, s3, v1
	v_add_co_ci_u32_e32 v6, vcc_lo, s14, v2, vcc_lo
	s_mov_b32 s2, 0
	s_mov_b32 s20, exec_lo
                                        ; implicit-def: $sgpr19
	global_load_b32 v5, v[5:6], off
	s_waitcnt vmcnt(0)
	v_and_b32_e32 v7, 0xff, v5
	s_delay_alu instid0(VALU_DEP_1)
	v_cmpx_lt_i16_e32 0x7f, v7
	s_xor_b32 s20, exec_lo, s20
	s_cbranch_execnz .LBB315_19
; %bb.5:                                ;   in Loop: Header=BB315_4 Depth=1
	s_or_saveexec_b32 s20, s20
	v_mov_b32_e32 v6, s19
	s_xor_b32 exec_lo, exec_lo, s20
	s_cbranch_execnz .LBB315_22
.LBB315_6:                              ;   in Loop: Header=BB315_4 Depth=1
	s_or_b32 exec_lo, exec_lo, s20
	s_and_saveexec_b32 s19, s2
	s_cbranch_execz .LBB315_8
.LBB315_7:                              ;   in Loop: Header=BB315_4 Depth=1
	v_bfe_u32 v9, v5, 2, 5
	v_lshlrev_b32_e32 v10, 24, v5
	s_delay_alu instid0(VALU_DEP_2) | instskip(SKIP_1) | instid1(VALU_DEP_1)
	v_cmp_eq_u32_e32 vcc_lo, 0, v9
	v_and_b32_e32 v6, 3, v5
	v_clz_i32_u32_e32 v7, v6
	s_delay_alu instid0(VALU_DEP_1) | instskip(NEXT) | instid1(VALU_DEP_1)
	v_min_u32_e32 v7, 32, v7
	v_subrev_nc_u32_e32 v8, 29, v7
	v_sub_nc_u32_e32 v7, 30, v7
	s_delay_alu instid0(VALU_DEP_1) | instskip(NEXT) | instid1(VALU_DEP_1)
	v_dual_cndmask_b32 v7, v9, v7 :: v_dual_lshlrev_b32 v8, v8, v5
	v_and_b32_e32 v8, 3, v8
	s_delay_alu instid0(VALU_DEP_2) | instskip(NEXT) | instid1(VALU_DEP_2)
	v_lshl_add_u32 v7, v7, 23, 0x37800000
	v_cndmask_b32_e32 v6, v6, v8, vcc_lo
	v_and_b32_e32 v8, 0x80000000, v10
	s_delay_alu instid0(VALU_DEP_2) | instskip(NEXT) | instid1(VALU_DEP_1)
	v_lshlrev_b32_e32 v6, 21, v6
	v_or3_b32 v6, v8, v7, v6
	s_delay_alu instid0(VALU_DEP_1)
	v_cvt_f16_f32_e32 v6, v6
.LBB315_8:                              ;   in Loop: Header=BB315_4 Depth=1
	s_or_b32 exec_lo, exec_lo, s19
	v_lshrrev_b32_e32 v8, 8, v5
	s_mov_b32 s2, 0
	s_mov_b32 s20, exec_lo
                                        ; implicit-def: $sgpr19
	s_delay_alu instid0(VALU_DEP_1) | instskip(NEXT) | instid1(VALU_DEP_1)
	v_and_b32_e32 v9, 0xff, v8
	v_cmpx_lt_i16_e32 0x7f, v9
	s_xor_b32 s20, exec_lo, s20
	s_cbranch_execnz .LBB315_23
; %bb.9:                                ;   in Loop: Header=BB315_4 Depth=1
	s_or_saveexec_b32 s20, s20
	v_mov_b32_e32 v7, s19
	s_xor_b32 exec_lo, exec_lo, s20
	s_cbranch_execnz .LBB315_26
.LBB315_10:                             ;   in Loop: Header=BB315_4 Depth=1
	s_or_b32 exec_lo, exec_lo, s20
	s_and_saveexec_b32 s19, s2
	s_cbranch_execz .LBB315_12
.LBB315_11:                             ;   in Loop: Header=BB315_4 Depth=1
	v_bfe_u32 v7, v5, 8, 2
	v_bfe_u32 v11, v5, 10, 5
	s_delay_alu instid0(VALU_DEP_2) | instskip(NEXT) | instid1(VALU_DEP_2)
	v_clz_i32_u32_e32 v9, v7
	v_cmp_eq_u32_e32 vcc_lo, 0, v11
	s_delay_alu instid0(VALU_DEP_2) | instskip(NEXT) | instid1(VALU_DEP_1)
	v_min_u32_e32 v9, 32, v9
	v_subrev_nc_u32_e32 v10, 29, v9
	v_sub_nc_u32_e32 v9, 30, v9
	s_delay_alu instid0(VALU_DEP_1) | instskip(NEXT) | instid1(VALU_DEP_1)
	v_dual_cndmask_b32 v9, v11, v9 :: v_dual_lshlrev_b32 v10, v10, v8
	v_and_b32_e32 v10, 3, v10
	v_lshlrev_b32_e32 v8, 24, v8
	s_delay_alu instid0(VALU_DEP_3) | instskip(NEXT) | instid1(VALU_DEP_2)
	v_lshl_add_u32 v9, v9, 23, 0x37800000
	v_dual_cndmask_b32 v7, v7, v10 :: v_dual_and_b32 v8, 0x80000000, v8
	s_delay_alu instid0(VALU_DEP_1) | instskip(NEXT) | instid1(VALU_DEP_1)
	v_lshlrev_b32_e32 v7, 21, v7
	v_or3_b32 v7, v8, v9, v7
	s_delay_alu instid0(VALU_DEP_1)
	v_cvt_f16_f32_e32 v7, v7
.LBB315_12:                             ;   in Loop: Header=BB315_4 Depth=1
	s_or_b32 exec_lo, exec_lo, s19
	v_lshrrev_b32_e32 v9, 16, v5
	s_mov_b32 s2, 0
	s_mov_b32 s20, exec_lo
                                        ; implicit-def: $sgpr19
	s_delay_alu instid0(VALU_DEP_1) | instskip(NEXT) | instid1(VALU_DEP_1)
	v_and_b32_e32 v10, 0xff, v9
	v_cmpx_lt_i16_e32 0x7f, v10
	s_xor_b32 s20, exec_lo, s20
	s_cbranch_execnz .LBB315_27
; %bb.13:                               ;   in Loop: Header=BB315_4 Depth=1
	s_or_saveexec_b32 s20, s20
	v_mov_b32_e32 v8, s19
	s_xor_b32 exec_lo, exec_lo, s20
	s_cbranch_execnz .LBB315_30
.LBB315_14:                             ;   in Loop: Header=BB315_4 Depth=1
	s_or_b32 exec_lo, exec_lo, s20
	s_and_saveexec_b32 s19, s2
	s_cbranch_execz .LBB315_16
.LBB315_15:                             ;   in Loop: Header=BB315_4 Depth=1
	v_bfe_u32 v8, v5, 16, 2
	v_bfe_u32 v12, v5, 18, 5
	s_delay_alu instid0(VALU_DEP_2) | instskip(NEXT) | instid1(VALU_DEP_2)
	v_clz_i32_u32_e32 v10, v8
	v_cmp_eq_u32_e32 vcc_lo, 0, v12
	s_delay_alu instid0(VALU_DEP_2) | instskip(NEXT) | instid1(VALU_DEP_1)
	v_min_u32_e32 v10, 32, v10
	v_subrev_nc_u32_e32 v11, 29, v10
	v_sub_nc_u32_e32 v10, 30, v10
	s_delay_alu instid0(VALU_DEP_1) | instskip(NEXT) | instid1(VALU_DEP_1)
	v_dual_cndmask_b32 v10, v12, v10 :: v_dual_lshlrev_b32 v11, v11, v9
	v_and_b32_e32 v11, 3, v11
	v_lshlrev_b32_e32 v9, 24, v9
	s_delay_alu instid0(VALU_DEP_3) | instskip(NEXT) | instid1(VALU_DEP_2)
	v_lshl_add_u32 v10, v10, 23, 0x37800000
	v_dual_cndmask_b32 v8, v8, v11 :: v_dual_and_b32 v9, 0x80000000, v9
	s_delay_alu instid0(VALU_DEP_1) | instskip(NEXT) | instid1(VALU_DEP_1)
	v_lshlrev_b32_e32 v8, 21, v8
	v_or3_b32 v8, v9, v10, v8
	s_delay_alu instid0(VALU_DEP_1)
	v_cvt_f16_f32_e32 v8, v8
.LBB315_16:                             ;   in Loop: Header=BB315_4 Depth=1
	s_or_b32 exec_lo, exec_lo, s19
	v_lshrrev_b32_e32 v9, 24, v5
	s_mov_b32 s2, 0
	s_mov_b32 s20, exec_lo
                                        ; implicit-def: $sgpr19
	s_delay_alu instid0(VALU_DEP_1)
	v_cmpx_lt_i16_e32 0x7f, v9
	s_xor_b32 s20, exec_lo, s20
	s_cbranch_execnz .LBB315_31
; %bb.17:                               ;   in Loop: Header=BB315_4 Depth=1
	s_or_saveexec_b32 s20, s20
	v_mov_b32_e32 v10, s19
	s_xor_b32 exec_lo, exec_lo, s20
	s_cbranch_execnz .LBB315_34
.LBB315_18:                             ;   in Loop: Header=BB315_4 Depth=1
	s_or_b32 exec_lo, exec_lo, s20
	s_and_saveexec_b32 s19, s2
	s_cbranch_execz .LBB315_3
	s_branch .LBB315_35
.LBB315_19:                             ;   in Loop: Header=BB315_4 Depth=1
	s_mov_b32 s2, -1
	s_mov_b32 s21, exec_lo
                                        ; implicit-def: $sgpr19
	v_cmpx_eq_u16_e32 0x80, v7
; %bb.20:                               ;   in Loop: Header=BB315_4 Depth=1
	s_movk_i32 s19, 0x7e00
	s_xor_b32 s2, exec_lo, -1
; %bb.21:                               ;   in Loop: Header=BB315_4 Depth=1
	s_or_b32 exec_lo, exec_lo, s21
	s_delay_alu instid0(SALU_CYCLE_1)
	s_and_b32 s2, s2, exec_lo
                                        ; implicit-def: $vgpr7
	s_or_saveexec_b32 s20, s20
	v_mov_b32_e32 v6, s19
	s_xor_b32 exec_lo, exec_lo, s20
	s_cbranch_execz .LBB315_6
.LBB315_22:                             ;   in Loop: Header=BB315_4 Depth=1
	v_cmp_ne_u16_e32 vcc_lo, 0, v7
	v_mov_b32_e32 v6, v7
	s_and_not1_b32 s2, s2, exec_lo
	s_and_b32 s19, vcc_lo, exec_lo
	s_delay_alu instid0(SALU_CYCLE_1)
	s_or_b32 s2, s2, s19
	s_or_b32 exec_lo, exec_lo, s20
	s_and_saveexec_b32 s19, s2
	s_cbranch_execnz .LBB315_7
	s_branch .LBB315_8
.LBB315_23:                             ;   in Loop: Header=BB315_4 Depth=1
	s_mov_b32 s2, -1
	s_mov_b32 s21, exec_lo
                                        ; implicit-def: $sgpr19
	v_cmpx_eq_u16_e32 0x80, v9
; %bb.24:                               ;   in Loop: Header=BB315_4 Depth=1
	s_movk_i32 s19, 0x7e00
	s_xor_b32 s2, exec_lo, -1
; %bb.25:                               ;   in Loop: Header=BB315_4 Depth=1
	s_or_b32 exec_lo, exec_lo, s21
	s_delay_alu instid0(SALU_CYCLE_1)
	s_and_b32 s2, s2, exec_lo
                                        ; implicit-def: $vgpr9
	s_or_saveexec_b32 s20, s20
	v_mov_b32_e32 v7, s19
	s_xor_b32 exec_lo, exec_lo, s20
	s_cbranch_execz .LBB315_10
.LBB315_26:                             ;   in Loop: Header=BB315_4 Depth=1
	v_cmp_ne_u16_e32 vcc_lo, 0, v9
	v_mov_b32_e32 v7, v9
	s_and_not1_b32 s2, s2, exec_lo
	s_and_b32 s19, vcc_lo, exec_lo
	s_delay_alu instid0(SALU_CYCLE_1)
	s_or_b32 s2, s2, s19
	s_or_b32 exec_lo, exec_lo, s20
	s_and_saveexec_b32 s19, s2
	s_cbranch_execnz .LBB315_11
	s_branch .LBB315_12
.LBB315_27:                             ;   in Loop: Header=BB315_4 Depth=1
	s_mov_b32 s2, -1
	s_mov_b32 s21, exec_lo
                                        ; implicit-def: $sgpr19
	v_cmpx_eq_u16_e32 0x80, v10
; %bb.28:                               ;   in Loop: Header=BB315_4 Depth=1
	s_movk_i32 s19, 0x7e00
	s_xor_b32 s2, exec_lo, -1
; %bb.29:                               ;   in Loop: Header=BB315_4 Depth=1
	s_or_b32 exec_lo, exec_lo, s21
	s_delay_alu instid0(SALU_CYCLE_1)
	s_and_b32 s2, s2, exec_lo
                                        ; implicit-def: $vgpr10
	s_or_saveexec_b32 s20, s20
	v_mov_b32_e32 v8, s19
	s_xor_b32 exec_lo, exec_lo, s20
	s_cbranch_execz .LBB315_14
.LBB315_30:                             ;   in Loop: Header=BB315_4 Depth=1
	v_cmp_ne_u16_e32 vcc_lo, 0, v10
	v_mov_b32_e32 v8, v10
	s_and_not1_b32 s2, s2, exec_lo
	s_and_b32 s19, vcc_lo, exec_lo
	s_delay_alu instid0(SALU_CYCLE_1)
	s_or_b32 s2, s2, s19
	s_or_b32 exec_lo, exec_lo, s20
	s_and_saveexec_b32 s19, s2
	s_cbranch_execnz .LBB315_15
	s_branch .LBB315_16
.LBB315_31:                             ;   in Loop: Header=BB315_4 Depth=1
	s_mov_b32 s2, -1
	s_mov_b32 s21, exec_lo
                                        ; implicit-def: $sgpr19
	v_cmpx_eq_u16_e32 0x80, v9
; %bb.32:                               ;   in Loop: Header=BB315_4 Depth=1
	s_movk_i32 s19, 0x7e00
	s_xor_b32 s2, exec_lo, -1
; %bb.33:                               ;   in Loop: Header=BB315_4 Depth=1
	s_or_b32 exec_lo, exec_lo, s21
	s_delay_alu instid0(SALU_CYCLE_1)
	s_and_b32 s2, s2, exec_lo
	s_or_saveexec_b32 s20, s20
	v_mov_b32_e32 v10, s19
	s_xor_b32 exec_lo, exec_lo, s20
	s_cbranch_execz .LBB315_18
.LBB315_34:                             ;   in Loop: Header=BB315_4 Depth=1
	v_cmp_ne_u16_e32 vcc_lo, 0, v9
	v_mov_b32_e32 v10, v9
	s_and_not1_b32 s2, s2, exec_lo
	s_and_b32 s19, vcc_lo, exec_lo
	s_delay_alu instid0(SALU_CYCLE_1)
	s_or_b32 s2, s2, s19
	s_or_b32 exec_lo, exec_lo, s20
	s_and_saveexec_b32 s19, s2
	s_cbranch_execz .LBB315_3
.LBB315_35:                             ;   in Loop: Header=BB315_4 Depth=1
	v_bfe_u32 v10, v5, 24, 2
	s_delay_alu instid0(VALU_DEP_1) | instskip(NEXT) | instid1(VALU_DEP_1)
	v_clz_i32_u32_e32 v11, v10
	v_min_u32_e32 v11, 32, v11
	s_delay_alu instid0(VALU_DEP_1) | instskip(SKIP_1) | instid1(VALU_DEP_2)
	v_subrev_nc_u32_e32 v12, 29, v11
	v_sub_nc_u32_e32 v11, 30, v11
	v_lshlrev_b32_e32 v9, v12, v9
	v_bfe_u32 v12, v5, 26, 5
	v_and_b32_e32 v5, 0x80000000, v5
	s_delay_alu instid0(VALU_DEP_3) | instskip(NEXT) | instid1(VALU_DEP_3)
	v_and_b32_e32 v9, 3, v9
	v_cmp_eq_u32_e32 vcc_lo, 0, v12
	v_cndmask_b32_e32 v11, v12, v11, vcc_lo
	s_delay_alu instid0(VALU_DEP_3) | instskip(NEXT) | instid1(VALU_DEP_2)
	v_cndmask_b32_e32 v9, v10, v9, vcc_lo
	v_lshl_add_u32 v10, v11, 23, 0x37800000
	s_delay_alu instid0(VALU_DEP_2) | instskip(NEXT) | instid1(VALU_DEP_1)
	v_lshlrev_b32_e32 v9, 21, v9
	v_or3_b32 v5, v5, v10, v9
	s_delay_alu instid0(VALU_DEP_1)
	v_cvt_f16_f32_e32 v10, v5
	s_branch .LBB315_3
.LBB315_36:
	s_or_b32 exec_lo, exec_lo, s15
	s_mov_b32 s2, 0
.LBB315_37:
	s_delay_alu instid0(SALU_CYCLE_1)
	s_and_not1_b32 vcc_lo, exec_lo, s2
	s_cbranch_vccnz .LBB315_89
; %bb.38:
	v_cmp_lt_i64_e64 s2, s[4:5], 1
	s_delay_alu instid0(VALU_DEP_1)
	s_and_b32 vcc_lo, exec_lo, s2
	s_cbranch_vccnz .LBB315_89
; %bb.39:
	s_load_b32 s0, s[0:1], 0xc5c
	v_cmp_gt_u64_e64 s1, 0x10000, s[4:5]
	v_add_co_u32 v3, s2, s8, v0
	v_lshlrev_b32_e32 v1, 1, v0
	v_add_co_ci_u32_e64 v4, null, s9, 0, s2
	s_delay_alu instid0(VALU_DEP_3) | instskip(NEXT) | instid1(VALU_DEP_2)
	v_add_co_u32 v13, vcc_lo, s6, v3
                                        ; implicit-def: $vgpr27
                                        ; implicit-def: $vgpr28
                                        ; implicit-def: $vgpr29
                                        ; implicit-def: $vgpr30
	v_add_co_ci_u32_e32 v14, vcc_lo, s7, v4, vcc_lo
	s_waitcnt lgkmcnt(0)
	s_and_b32 s0, s0, 0xffff
	s_and_b32 s1, s1, exec_lo
	s_cselect_b32 s3, s5, 0
	s_cselect_b32 s2, s4, 0x10000
	s_lshl_b64 s[10:11], s[10:11], 17
	s_lshl_b32 s14, s0, 1
	s_lshl_b32 s1, s0, 2
	s_add_u32 s12, s12, s10
	s_mul_i32 s15, s0, 3
	s_addc_u32 s11, s13, s11
	s_lshl_b32 s10, s0, 3
	v_add_co_u32 v1, s16, s12, v1
	s_add_u32 s13, s8, s15
	v_add_co_ci_u32_e64 v2, null, s11, 0, s16
	s_addc_u32 s16, s9, 0
	s_add_u32 s13, s6, s13
	s_addc_u32 s16, s7, s16
	s_add_u32 s8, s8, s14
	;; [unrolled: 2-line block ×3, first 2 shown]
	s_addc_u32 s9, s7, s9
	v_add_co_u32 v19, s8, s8, v0
	s_delay_alu instid0(VALU_DEP_1) | instskip(SKIP_1) | instid1(VALU_DEP_1)
	v_add_co_ci_u32_e64 v20, null, s9, 0, s8
	v_add_co_u32 v21, s8, s14, v0
	v_add_co_ci_u32_e64 v22, null, 0, 0, s8
	v_add_co_u32 v23, s8, v0, s0
	v_add_co_u32 v15, s13, s13, v0
	s_add_u32 s6, s6, s0
	s_delay_alu instid0(VALU_DEP_2)
	v_lshlrev_b32_e32 v5, 1, v23
	v_add_co_ci_u32_e64 v16, null, s16, 0, s13
	v_add_co_u32 v17, s13, s15, v0
	s_addc_u32 s7, s7, 0
	v_add_co_u32 v25, vcc_lo, s6, v3
	v_add_co_u32 v3, s6, s12, v5
	v_add_co_ci_u32_e64 v18, null, 0, 0, s13
	v_add_co_ci_u32_e64 v24, null, 0, 0, s8
	v_add_co_ci_u32_e32 v26, vcc_lo, s7, v4, vcc_lo
	v_add_co_ci_u32_e64 v4, null, s11, 0, s6
	s_mul_i32 s8, s0, 6
	s_mov_b64 s[6:7], 0
	s_branch .LBB315_41
.LBB315_40:                             ;   in Loop: Header=BB315_41 Depth=1
	s_or_b32 exec_lo, exec_lo, s0
	s_add_u32 s6, s6, s1
	s_addc_u32 s7, s7, 0
	v_add_co_u32 v1, vcc_lo, v1, s10
	v_cmp_ge_i64_e64 s0, s[6:7], s[4:5]
	v_cmp_lt_u64_e64 s9, 0xffff, s[6:7]
	v_add_co_ci_u32_e32 v2, vcc_lo, 0, v2, vcc_lo
	v_add_co_u32 v3, vcc_lo, v3, s10
	v_add_co_ci_u32_e32 v4, vcc_lo, 0, v4, vcc_lo
	s_delay_alu instid0(VALU_DEP_4) | instskip(NEXT) | instid1(SALU_CYCLE_1)
	s_or_b32 s0, s0, s9
	s_and_b32 vcc_lo, exec_lo, s0
	s_cbranch_vccnz .LBB315_89
.LBB315_41:                             ; =>This Inner Loop Header: Depth=1
	v_add_co_u32 v5, s0, v0, s6
	s_delay_alu instid0(VALU_DEP_1) | instskip(NEXT) | instid1(VALU_DEP_1)
	v_add_co_ci_u32_e64 v6, null, 0, s7, s0
	v_cmp_gt_i64_e32 vcc_lo, s[4:5], v[5:6]
	v_cmp_gt_u64_e64 s0, 0x10000, v[5:6]
	s_delay_alu instid0(VALU_DEP_1) | instskip(NEXT) | instid1(SALU_CYCLE_1)
	s_and_b32 s9, vcc_lo, s0
	s_and_saveexec_b32 s0, s9
	s_cbranch_execz .LBB315_43
; %bb.42:                               ;   in Loop: Header=BB315_41 Depth=1
	v_add_co_u32 v7, vcc_lo, v13, s6
	v_add_co_ci_u32_e32 v8, vcc_lo, s7, v14, vcc_lo
	global_load_u8 v30, v[7:8], off
.LBB315_43:                             ;   in Loop: Header=BB315_41 Depth=1
	s_or_b32 exec_lo, exec_lo, s0
	v_add_co_u32 v7, vcc_lo, v23, s6
	v_add_co_ci_u32_e32 v8, vcc_lo, s7, v24, vcc_lo
	s_delay_alu instid0(VALU_DEP_1) | instskip(SKIP_1) | instid1(VALU_DEP_1)
	v_cmp_gt_i64_e32 vcc_lo, s[4:5], v[7:8]
	v_cmp_gt_u64_e64 s0, 0x10000, v[7:8]
	s_and_b32 s9, vcc_lo, s0
	s_delay_alu instid0(SALU_CYCLE_1)
	s_and_saveexec_b32 s0, s9
	s_cbranch_execz .LBB315_45
; %bb.44:                               ;   in Loop: Header=BB315_41 Depth=1
	v_add_co_u32 v9, vcc_lo, v25, s6
	v_add_co_ci_u32_e32 v10, vcc_lo, s7, v26, vcc_lo
	global_load_u8 v29, v[9:10], off
.LBB315_45:                             ;   in Loop: Header=BB315_41 Depth=1
	s_or_b32 exec_lo, exec_lo, s0
	v_add_co_u32 v9, vcc_lo, v21, s6
	v_add_co_ci_u32_e32 v10, vcc_lo, s7, v22, vcc_lo
	s_delay_alu instid0(VALU_DEP_1) | instskip(SKIP_1) | instid1(VALU_DEP_1)
	v_cmp_gt_i64_e32 vcc_lo, s[4:5], v[9:10]
	v_cmp_gt_u64_e64 s0, 0x10000, v[9:10]
	s_and_b32 s9, vcc_lo, s0
	s_delay_alu instid0(SALU_CYCLE_1)
	;; [unrolled: 15-line block ×3, first 2 shown]
	s_and_saveexec_b32 s0, s9
	s_cbranch_execz .LBB315_49
; %bb.48:                               ;   in Loop: Header=BB315_41 Depth=1
	v_add_co_u32 v31, vcc_lo, v15, s6
	v_add_co_ci_u32_e32 v32, vcc_lo, s7, v16, vcc_lo
	global_load_u8 v27, v[31:32], off
.LBB315_49:                             ;   in Loop: Header=BB315_41 Depth=1
	s_or_b32 exec_lo, exec_lo, s0
	s_waitcnt vmcnt(0)
	v_and_b32_e32 v32, 0xff, v30
	s_mov_b32 s0, 0
	s_mov_b32 s11, exec_lo
                                        ; implicit-def: $sgpr9
	s_delay_alu instid0(VALU_DEP_1)
	v_cmpx_lt_i16_e32 0x7f, v32
	s_xor_b32 s11, exec_lo, s11
	s_cbranch_execnz .LBB315_69
; %bb.50:                               ;   in Loop: Header=BB315_41 Depth=1
	s_or_saveexec_b32 s11, s11
	v_mov_b32_e32 v31, s9
	s_xor_b32 exec_lo, exec_lo, s11
	s_cbranch_execnz .LBB315_72
.LBB315_51:                             ;   in Loop: Header=BB315_41 Depth=1
	s_or_b32 exec_lo, exec_lo, s11
	s_and_saveexec_b32 s9, s0
	s_cbranch_execz .LBB315_53
.LBB315_52:                             ;   in Loop: Header=BB315_41 Depth=1
	v_lshrrev_b16 v34, 2, v30
	v_lshlrev_b32_e32 v35, 24, v30
	s_delay_alu instid0(VALU_DEP_2) | instskip(NEXT) | instid1(VALU_DEP_1)
	v_and_b32_e32 v34, 31, v34
	v_cmp_eq_u32_e32 vcc_lo, 0, v34
	v_and_b32_e32 v31, 3, v30
	s_delay_alu instid0(VALU_DEP_1) | instskip(NEXT) | instid1(VALU_DEP_1)
	v_clz_i32_u32_e32 v32, v31
	v_min_u32_e32 v32, 32, v32
	s_delay_alu instid0(VALU_DEP_1) | instskip(SKIP_1) | instid1(VALU_DEP_1)
	v_subrev_nc_u32_e32 v33, 29, v32
	v_sub_nc_u32_e32 v32, 30, v32
	v_dual_cndmask_b32 v32, v34, v32 :: v_dual_lshlrev_b32 v33, v33, v30
	s_delay_alu instid0(VALU_DEP_1) | instskip(NEXT) | instid1(VALU_DEP_2)
	v_and_b32_e32 v33, 3, v33
	v_lshl_add_u32 v32, v32, 23, 0x37800000
	s_delay_alu instid0(VALU_DEP_2) | instskip(SKIP_1) | instid1(VALU_DEP_2)
	v_cndmask_b32_e32 v31, v31, v33, vcc_lo
	v_and_b32_e32 v33, 0x80000000, v35
	v_lshlrev_b32_e32 v31, 21, v31
	s_delay_alu instid0(VALU_DEP_1) | instskip(NEXT) | instid1(VALU_DEP_1)
	v_or3_b32 v31, v33, v32, v31
	v_cvt_f16_f32_e32 v31, v31
.LBB315_53:                             ;   in Loop: Header=BB315_41 Depth=1
	s_or_b32 exec_lo, exec_lo, s9
	v_and_b32_e32 v33, 0xff, v29
	s_mov_b32 s0, 0
	s_mov_b32 s11, exec_lo
                                        ; implicit-def: $sgpr9
	s_delay_alu instid0(VALU_DEP_1)
	v_cmpx_lt_i16_e32 0x7f, v33
	s_xor_b32 s11, exec_lo, s11
	s_cbranch_execnz .LBB315_73
; %bb.54:                               ;   in Loop: Header=BB315_41 Depth=1
	s_or_saveexec_b32 s11, s11
	v_mov_b32_e32 v32, s9
	s_xor_b32 exec_lo, exec_lo, s11
	s_cbranch_execnz .LBB315_76
.LBB315_55:                             ;   in Loop: Header=BB315_41 Depth=1
	s_or_b32 exec_lo, exec_lo, s11
	s_and_saveexec_b32 s9, s0
	s_cbranch_execz .LBB315_57
.LBB315_56:                             ;   in Loop: Header=BB315_41 Depth=1
	v_and_b32_e32 v32, 3, v29
	v_lshrrev_b16 v35, 2, v29
	v_lshlrev_b32_e32 v36, 24, v29
	s_delay_alu instid0(VALU_DEP_3) | instskip(NEXT) | instid1(VALU_DEP_1)
	v_clz_i32_u32_e32 v33, v32
	v_min_u32_e32 v33, 32, v33
	s_delay_alu instid0(VALU_DEP_1) | instskip(SKIP_1) | instid1(VALU_DEP_2)
	v_subrev_nc_u32_e32 v34, 29, v33
	v_sub_nc_u32_e32 v33, 30, v33
	v_lshlrev_b32_e32 v34, v34, v29
	s_delay_alu instid0(VALU_DEP_1) | instskip(SKIP_1) | instid1(VALU_DEP_1)
	v_and_b32_e32 v34, 3, v34
	v_and_b32_e32 v35, 31, v35
	v_cmp_eq_u32_e32 vcc_lo, 0, v35
	s_delay_alu instid0(VALU_DEP_3) | instskip(SKIP_1) | instid1(VALU_DEP_2)
	v_dual_cndmask_b32 v32, v32, v34 :: v_dual_cndmask_b32 v33, v35, v33
	v_and_b32_e32 v34, 0x80000000, v36
	v_lshlrev_b32_e32 v32, 21, v32
	s_delay_alu instid0(VALU_DEP_3) | instskip(NEXT) | instid1(VALU_DEP_1)
	v_lshl_add_u32 v33, v33, 23, 0x37800000
	v_or3_b32 v32, v34, v33, v32
	s_delay_alu instid0(VALU_DEP_1)
	v_cvt_f16_f32_e32 v32, v32
.LBB315_57:                             ;   in Loop: Header=BB315_41 Depth=1
	s_or_b32 exec_lo, exec_lo, s9
	v_and_b32_e32 v34, 0xff, v28
	s_mov_b32 s0, 0
	s_mov_b32 s11, exec_lo
                                        ; implicit-def: $sgpr9
	s_delay_alu instid0(VALU_DEP_1)
	v_cmpx_lt_i16_e32 0x7f, v34
	s_xor_b32 s11, exec_lo, s11
	s_cbranch_execnz .LBB315_77
; %bb.58:                               ;   in Loop: Header=BB315_41 Depth=1
	s_or_saveexec_b32 s11, s11
	v_mov_b32_e32 v33, s9
	s_xor_b32 exec_lo, exec_lo, s11
	s_cbranch_execnz .LBB315_80
.LBB315_59:                             ;   in Loop: Header=BB315_41 Depth=1
	s_or_b32 exec_lo, exec_lo, s11
	s_and_saveexec_b32 s9, s0
	s_cbranch_execz .LBB315_61
.LBB315_60:                             ;   in Loop: Header=BB315_41 Depth=1
	v_lshrrev_b16 v36, 2, v28
	v_lshlrev_b32_e32 v37, 24, v28
	s_delay_alu instid0(VALU_DEP_2) | instskip(NEXT) | instid1(VALU_DEP_1)
	v_and_b32_e32 v36, 31, v36
	v_cmp_eq_u32_e32 vcc_lo, 0, v36
	v_and_b32_e32 v33, 3, v28
	s_delay_alu instid0(VALU_DEP_1) | instskip(NEXT) | instid1(VALU_DEP_1)
	v_clz_i32_u32_e32 v34, v33
	v_min_u32_e32 v34, 32, v34
	s_delay_alu instid0(VALU_DEP_1) | instskip(SKIP_1) | instid1(VALU_DEP_1)
	v_subrev_nc_u32_e32 v35, 29, v34
	v_sub_nc_u32_e32 v34, 30, v34
	v_dual_cndmask_b32 v34, v36, v34 :: v_dual_lshlrev_b32 v35, v35, v28
	s_delay_alu instid0(VALU_DEP_1) | instskip(NEXT) | instid1(VALU_DEP_2)
	v_and_b32_e32 v35, 3, v35
	v_lshl_add_u32 v34, v34, 23, 0x37800000
	s_delay_alu instid0(VALU_DEP_2) | instskip(SKIP_1) | instid1(VALU_DEP_2)
	v_cndmask_b32_e32 v33, v33, v35, vcc_lo
	v_and_b32_e32 v35, 0x80000000, v37
	v_lshlrev_b32_e32 v33, 21, v33
	s_delay_alu instid0(VALU_DEP_1) | instskip(NEXT) | instid1(VALU_DEP_1)
	v_or3_b32 v33, v35, v34, v33
	v_cvt_f16_f32_e32 v33, v33
.LBB315_61:                             ;   in Loop: Header=BB315_41 Depth=1
	s_or_b32 exec_lo, exec_lo, s9
	v_and_b32_e32 v35, 0xff, v27
	s_mov_b32 s0, 0
	s_mov_b32 s11, exec_lo
                                        ; implicit-def: $sgpr9
	s_delay_alu instid0(VALU_DEP_1)
	v_cmpx_lt_i16_e32 0x7f, v35
	s_xor_b32 s11, exec_lo, s11
	s_cbranch_execnz .LBB315_81
; %bb.62:                               ;   in Loop: Header=BB315_41 Depth=1
	s_or_saveexec_b32 s11, s11
	v_mov_b32_e32 v34, s9
	s_xor_b32 exec_lo, exec_lo, s11
	s_cbranch_execnz .LBB315_84
.LBB315_63:                             ;   in Loop: Header=BB315_41 Depth=1
	s_or_b32 exec_lo, exec_lo, s11
	s_and_saveexec_b32 s9, s0
	s_cbranch_execz .LBB315_65
.LBB315_64:                             ;   in Loop: Header=BB315_41 Depth=1
	v_and_b32_e32 v34, 3, v27
	v_lshrrev_b16 v37, 2, v27
	v_lshlrev_b32_e32 v38, 24, v27
	s_delay_alu instid0(VALU_DEP_3) | instskip(NEXT) | instid1(VALU_DEP_1)
	v_clz_i32_u32_e32 v35, v34
	v_min_u32_e32 v35, 32, v35
	s_delay_alu instid0(VALU_DEP_1) | instskip(SKIP_1) | instid1(VALU_DEP_2)
	v_subrev_nc_u32_e32 v36, 29, v35
	v_sub_nc_u32_e32 v35, 30, v35
	v_lshlrev_b32_e32 v36, v36, v27
	s_delay_alu instid0(VALU_DEP_1) | instskip(SKIP_1) | instid1(VALU_DEP_1)
	v_and_b32_e32 v36, 3, v36
	v_and_b32_e32 v37, 31, v37
	v_cmp_eq_u32_e32 vcc_lo, 0, v37
	s_delay_alu instid0(VALU_DEP_3) | instskip(SKIP_1) | instid1(VALU_DEP_2)
	v_dual_cndmask_b32 v34, v34, v36 :: v_dual_cndmask_b32 v35, v37, v35
	v_and_b32_e32 v36, 0x80000000, v38
	v_lshlrev_b32_e32 v34, 21, v34
	s_delay_alu instid0(VALU_DEP_3) | instskip(NEXT) | instid1(VALU_DEP_1)
	v_lshl_add_u32 v35, v35, 23, 0x37800000
	v_or3_b32 v34, v36, v35, v34
	s_delay_alu instid0(VALU_DEP_1)
	v_cvt_f16_f32_e32 v34, v34
.LBB315_65:                             ;   in Loop: Header=BB315_41 Depth=1
	s_or_b32 exec_lo, exec_lo, s9
	s_delay_alu instid0(SALU_CYCLE_1)
	s_mov_b32 s0, exec_lo
	v_cmpx_gt_u64_e64 s[2:3], v[5:6]
	s_xor_b32 s0, exec_lo, s0
	s_cbranch_execnz .LBB315_85
; %bb.66:                               ;   in Loop: Header=BB315_41 Depth=1
	s_or_b32 exec_lo, exec_lo, s0
	s_delay_alu instid0(SALU_CYCLE_1)
	s_mov_b32 s0, exec_lo
	v_cmpx_gt_u64_e64 s[2:3], v[7:8]
	s_cbranch_execnz .LBB315_86
.LBB315_67:                             ;   in Loop: Header=BB315_41 Depth=1
	s_or_b32 exec_lo, exec_lo, s0
	s_delay_alu instid0(SALU_CYCLE_1)
	s_mov_b32 s0, exec_lo
	v_cmpx_gt_u64_e64 s[2:3], v[9:10]
	s_cbranch_execnz .LBB315_87
.LBB315_68:                             ;   in Loop: Header=BB315_41 Depth=1
	s_or_b32 exec_lo, exec_lo, s0
	s_delay_alu instid0(SALU_CYCLE_1)
	s_mov_b32 s0, exec_lo
	v_cmpx_gt_u64_e64 s[2:3], v[11:12]
	s_cbranch_execz .LBB315_40
	s_branch .LBB315_88
.LBB315_69:                             ;   in Loop: Header=BB315_41 Depth=1
	s_mov_b32 s0, -1
	s_mov_b32 s12, exec_lo
                                        ; implicit-def: $sgpr9
	v_cmpx_eq_u16_e32 0x80, v32
; %bb.70:                               ;   in Loop: Header=BB315_41 Depth=1
	s_movk_i32 s9, 0x7e00
	s_xor_b32 s0, exec_lo, -1
; %bb.71:                               ;   in Loop: Header=BB315_41 Depth=1
	s_or_b32 exec_lo, exec_lo, s12
	s_delay_alu instid0(SALU_CYCLE_1)
	s_and_b32 s0, s0, exec_lo
                                        ; implicit-def: $vgpr32
	s_or_saveexec_b32 s11, s11
	v_mov_b32_e32 v31, s9
	s_xor_b32 exec_lo, exec_lo, s11
	s_cbranch_execz .LBB315_51
.LBB315_72:                             ;   in Loop: Header=BB315_41 Depth=1
	v_cmp_ne_u16_e32 vcc_lo, 0, v32
	v_mov_b32_e32 v31, v32
	s_and_not1_b32 s0, s0, exec_lo
	s_and_b32 s9, vcc_lo, exec_lo
	s_delay_alu instid0(SALU_CYCLE_1)
	s_or_b32 s0, s0, s9
	s_or_b32 exec_lo, exec_lo, s11
	s_and_saveexec_b32 s9, s0
	s_cbranch_execnz .LBB315_52
	s_branch .LBB315_53
.LBB315_73:                             ;   in Loop: Header=BB315_41 Depth=1
	s_mov_b32 s0, -1
	s_mov_b32 s12, exec_lo
                                        ; implicit-def: $sgpr9
	v_cmpx_eq_u16_e32 0x80, v33
; %bb.74:                               ;   in Loop: Header=BB315_41 Depth=1
	s_movk_i32 s9, 0x7e00
	s_xor_b32 s0, exec_lo, -1
; %bb.75:                               ;   in Loop: Header=BB315_41 Depth=1
	s_or_b32 exec_lo, exec_lo, s12
	s_delay_alu instid0(SALU_CYCLE_1)
	s_and_b32 s0, s0, exec_lo
                                        ; implicit-def: $vgpr33
	s_or_saveexec_b32 s11, s11
	v_mov_b32_e32 v32, s9
	s_xor_b32 exec_lo, exec_lo, s11
	s_cbranch_execz .LBB315_55
.LBB315_76:                             ;   in Loop: Header=BB315_41 Depth=1
	v_cmp_ne_u16_e32 vcc_lo, 0, v33
	v_mov_b32_e32 v32, v33
	s_and_not1_b32 s0, s0, exec_lo
	s_and_b32 s9, vcc_lo, exec_lo
	s_delay_alu instid0(SALU_CYCLE_1)
	s_or_b32 s0, s0, s9
	s_or_b32 exec_lo, exec_lo, s11
	s_and_saveexec_b32 s9, s0
	s_cbranch_execnz .LBB315_56
	s_branch .LBB315_57
.LBB315_77:                             ;   in Loop: Header=BB315_41 Depth=1
	s_mov_b32 s0, -1
	s_mov_b32 s12, exec_lo
                                        ; implicit-def: $sgpr9
	v_cmpx_eq_u16_e32 0x80, v34
; %bb.78:                               ;   in Loop: Header=BB315_41 Depth=1
	s_movk_i32 s9, 0x7e00
	s_xor_b32 s0, exec_lo, -1
; %bb.79:                               ;   in Loop: Header=BB315_41 Depth=1
	s_or_b32 exec_lo, exec_lo, s12
	s_delay_alu instid0(SALU_CYCLE_1)
	s_and_b32 s0, s0, exec_lo
                                        ; implicit-def: $vgpr34
	s_or_saveexec_b32 s11, s11
	v_mov_b32_e32 v33, s9
	s_xor_b32 exec_lo, exec_lo, s11
	s_cbranch_execz .LBB315_59
.LBB315_80:                             ;   in Loop: Header=BB315_41 Depth=1
	v_cmp_ne_u16_e32 vcc_lo, 0, v34
	v_mov_b32_e32 v33, v34
	s_and_not1_b32 s0, s0, exec_lo
	s_and_b32 s9, vcc_lo, exec_lo
	s_delay_alu instid0(SALU_CYCLE_1)
	s_or_b32 s0, s0, s9
	s_or_b32 exec_lo, exec_lo, s11
	s_and_saveexec_b32 s9, s0
	s_cbranch_execnz .LBB315_60
	s_branch .LBB315_61
.LBB315_81:                             ;   in Loop: Header=BB315_41 Depth=1
	s_mov_b32 s0, -1
	s_mov_b32 s12, exec_lo
                                        ; implicit-def: $sgpr9
	v_cmpx_eq_u16_e32 0x80, v35
; %bb.82:                               ;   in Loop: Header=BB315_41 Depth=1
	s_movk_i32 s9, 0x7e00
	s_xor_b32 s0, exec_lo, -1
; %bb.83:                               ;   in Loop: Header=BB315_41 Depth=1
	s_or_b32 exec_lo, exec_lo, s12
	s_delay_alu instid0(SALU_CYCLE_1)
	s_and_b32 s0, s0, exec_lo
                                        ; implicit-def: $vgpr35
	s_or_saveexec_b32 s11, s11
	v_mov_b32_e32 v34, s9
	s_xor_b32 exec_lo, exec_lo, s11
	s_cbranch_execz .LBB315_63
.LBB315_84:                             ;   in Loop: Header=BB315_41 Depth=1
	v_cmp_ne_u16_e32 vcc_lo, 0, v35
	v_mov_b32_e32 v34, v35
	s_and_not1_b32 s0, s0, exec_lo
	s_and_b32 s9, vcc_lo, exec_lo
	s_delay_alu instid0(SALU_CYCLE_1)
	s_or_b32 s0, s0, s9
	s_or_b32 exec_lo, exec_lo, s11
	s_and_saveexec_b32 s9, s0
	s_cbranch_execnz .LBB315_64
	s_branch .LBB315_65
.LBB315_85:                             ;   in Loop: Header=BB315_41 Depth=1
	global_store_b16 v[1:2], v31, off
	s_or_b32 exec_lo, exec_lo, s0
	s_delay_alu instid0(SALU_CYCLE_1)
	s_mov_b32 s0, exec_lo
	v_cmpx_gt_u64_e64 s[2:3], v[7:8]
	s_cbranch_execz .LBB315_67
.LBB315_86:                             ;   in Loop: Header=BB315_41 Depth=1
	global_store_b16 v[3:4], v32, off
	s_or_b32 exec_lo, exec_lo, s0
	s_delay_alu instid0(SALU_CYCLE_1)
	s_mov_b32 s0, exec_lo
	v_cmpx_gt_u64_e64 s[2:3], v[9:10]
	s_cbranch_execz .LBB315_68
.LBB315_87:                             ;   in Loop: Header=BB315_41 Depth=1
	v_add_co_u32 v5, vcc_lo, v1, s1
	v_add_co_ci_u32_e32 v6, vcc_lo, 0, v2, vcc_lo
	global_store_b16 v[5:6], v33, off
	s_or_b32 exec_lo, exec_lo, s0
	s_delay_alu instid0(SALU_CYCLE_1)
	s_mov_b32 s0, exec_lo
	v_cmpx_gt_u64_e64 s[2:3], v[11:12]
	s_cbranch_execz .LBB315_40
.LBB315_88:                             ;   in Loop: Header=BB315_41 Depth=1
	v_add_co_u32 v5, vcc_lo, v1, s8
	v_add_co_ci_u32_e32 v6, vcc_lo, 0, v2, vcc_lo
	global_store_b16 v[5:6], v34, off
	s_branch .LBB315_40
.LBB315_89:
	s_nop 0
	s_sendmsg sendmsg(MSG_DEALLOC_VGPRS)
	s_endpgm
	.section	.rodata,"a",@progbits
	.p2align	6, 0x0
	.amdhsa_kernel _ZN2at6native12_GLOBAL__N_125multi_tensor_apply_kernelINS1_18TensorListMetadataILi2EEENS1_11CopyFunctorIN3c104HalfENS6_15Float8_e5m2fnuzELi2ELi1ELi1EEEJNS0_4CopyIS7_S8_EEEEEvT_T0_DpT1_
		.amdhsa_group_segment_fixed_size 0
		.amdhsa_private_segment_fixed_size 0
		.amdhsa_kernarg_size 3408
		.amdhsa_user_sgpr_count 15
		.amdhsa_user_sgpr_dispatch_ptr 0
		.amdhsa_user_sgpr_queue_ptr 0
		.amdhsa_user_sgpr_kernarg_segment_ptr 1
		.amdhsa_user_sgpr_dispatch_id 0
		.amdhsa_user_sgpr_private_segment_size 0
		.amdhsa_wavefront_size32 1
		.amdhsa_uses_dynamic_stack 0
		.amdhsa_enable_private_segment 0
		.amdhsa_system_sgpr_workgroup_id_x 1
		.amdhsa_system_sgpr_workgroup_id_y 0
		.amdhsa_system_sgpr_workgroup_id_z 0
		.amdhsa_system_sgpr_workgroup_info 0
		.amdhsa_system_vgpr_workitem_id 0
		.amdhsa_next_free_vgpr 39
		.amdhsa_next_free_sgpr 22
		.amdhsa_reserve_vcc 1
		.amdhsa_float_round_mode_32 0
		.amdhsa_float_round_mode_16_64 0
		.amdhsa_float_denorm_mode_32 3
		.amdhsa_float_denorm_mode_16_64 3
		.amdhsa_dx10_clamp 1
		.amdhsa_ieee_mode 1
		.amdhsa_fp16_overflow 0
		.amdhsa_workgroup_processor_mode 1
		.amdhsa_memory_ordered 1
		.amdhsa_forward_progress 0
		.amdhsa_shared_vgpr_count 0
		.amdhsa_exception_fp_ieee_invalid_op 0
		.amdhsa_exception_fp_denorm_src 0
		.amdhsa_exception_fp_ieee_div_zero 0
		.amdhsa_exception_fp_ieee_overflow 0
		.amdhsa_exception_fp_ieee_underflow 0
		.amdhsa_exception_fp_ieee_inexact 0
		.amdhsa_exception_int_div_zero 0
	.end_amdhsa_kernel
	.section	.text._ZN2at6native12_GLOBAL__N_125multi_tensor_apply_kernelINS1_18TensorListMetadataILi2EEENS1_11CopyFunctorIN3c104HalfENS6_15Float8_e5m2fnuzELi2ELi1ELi1EEEJNS0_4CopyIS7_S8_EEEEEvT_T0_DpT1_,"axG",@progbits,_ZN2at6native12_GLOBAL__N_125multi_tensor_apply_kernelINS1_18TensorListMetadataILi2EEENS1_11CopyFunctorIN3c104HalfENS6_15Float8_e5m2fnuzELi2ELi1ELi1EEEJNS0_4CopyIS7_S8_EEEEEvT_T0_DpT1_,comdat
.Lfunc_end315:
	.size	_ZN2at6native12_GLOBAL__N_125multi_tensor_apply_kernelINS1_18TensorListMetadataILi2EEENS1_11CopyFunctorIN3c104HalfENS6_15Float8_e5m2fnuzELi2ELi1ELi1EEEJNS0_4CopyIS7_S8_EEEEEvT_T0_DpT1_, .Lfunc_end315-_ZN2at6native12_GLOBAL__N_125multi_tensor_apply_kernelINS1_18TensorListMetadataILi2EEENS1_11CopyFunctorIN3c104HalfENS6_15Float8_e5m2fnuzELi2ELi1ELi1EEEJNS0_4CopyIS7_S8_EEEEEvT_T0_DpT1_
                                        ; -- End function
	.section	.AMDGPU.csdata,"",@progbits
; Kernel info:
; codeLenInByte = 3552
; NumSgprs: 24
; NumVgprs: 39
; ScratchSize: 0
; MemoryBound: 0
; FloatMode: 240
; IeeeMode: 1
; LDSByteSize: 0 bytes/workgroup (compile time only)
; SGPRBlocks: 2
; VGPRBlocks: 4
; NumSGPRsForWavesPerEU: 24
; NumVGPRsForWavesPerEU: 39
; Occupancy: 16
; WaveLimiterHint : 0
; COMPUTE_PGM_RSRC2:SCRATCH_EN: 0
; COMPUTE_PGM_RSRC2:USER_SGPR: 15
; COMPUTE_PGM_RSRC2:TRAP_HANDLER: 0
; COMPUTE_PGM_RSRC2:TGID_X_EN: 1
; COMPUTE_PGM_RSRC2:TGID_Y_EN: 0
; COMPUTE_PGM_RSRC2:TGID_Z_EN: 0
; COMPUTE_PGM_RSRC2:TIDIG_COMP_CNT: 0
	.section	.text._ZN2at6native12_GLOBAL__N_125multi_tensor_apply_kernelINS1_18TensorListMetadataILi2EEENS1_11CopyFunctorIN3c108BFloat16EhLi2ELi1ELi1EEEJNS0_4CopyIS7_hEEEEEvT_T0_DpT1_,"axG",@progbits,_ZN2at6native12_GLOBAL__N_125multi_tensor_apply_kernelINS1_18TensorListMetadataILi2EEENS1_11CopyFunctorIN3c108BFloat16EhLi2ELi1ELi1EEEJNS0_4CopyIS7_hEEEEEvT_T0_DpT1_,comdat
	.globl	_ZN2at6native12_GLOBAL__N_125multi_tensor_apply_kernelINS1_18TensorListMetadataILi2EEENS1_11CopyFunctorIN3c108BFloat16EhLi2ELi1ELi1EEEJNS0_4CopyIS7_hEEEEEvT_T0_DpT1_ ; -- Begin function _ZN2at6native12_GLOBAL__N_125multi_tensor_apply_kernelINS1_18TensorListMetadataILi2EEENS1_11CopyFunctorIN3c108BFloat16EhLi2ELi1ELi1EEEJNS0_4CopyIS7_hEEEEEvT_T0_DpT1_
	.p2align	8
	.type	_ZN2at6native12_GLOBAL__N_125multi_tensor_apply_kernelINS1_18TensorListMetadataILi2EEENS1_11CopyFunctorIN3c108BFloat16EhLi2ELi1ELi1EEEJNS0_4CopyIS7_hEEEEEvT_T0_DpT1_,@function
_ZN2at6native12_GLOBAL__N_125multi_tensor_apply_kernelINS1_18TensorListMetadataILi2EEENS1_11CopyFunctorIN3c108BFloat16EhLi2ELi1ELi1EEEJNS0_4CopyIS7_hEEEEEvT_T0_DpT1_: ; @_ZN2at6native12_GLOBAL__N_125multi_tensor_apply_kernelINS1_18TensorListMetadataILi2EEENS1_11CopyFunctorIN3c108BFloat16EhLi2ELi1ELi1EEEJNS0_4CopyIS7_hEEEEEvT_T0_DpT1_
; %bb.0:
	v_mov_b32_e32 v1, s15
	s_add_u32 s2, s0, s15
	s_mul_hi_u32 s3, s15, 3
	s_mul_i32 s15, s15, 3
	s_addc_u32 s4, s1, 0
	global_load_u8 v1, v1, s[0:1] offset:1536
	s_add_u32 s2, s2, s15
	s_addc_u32 s3, s4, s3
	s_mov_b32 s17, 0
	s_load_b32 s10, s[2:3], 0x740
	s_mov_b32 s19, s17
	s_waitcnt lgkmcnt(0)
	s_ashr_i32 s11, s10, 31
	s_delay_alu instid0(SALU_CYCLE_1) | instskip(SKIP_2) | instid1(VALU_DEP_1)
	s_lshl_b64 s[8:9], s[10:11], 16
	s_waitcnt vmcnt(0)
	v_readfirstlane_b32 s5, v1
	s_lshl_b32 s2, s5, 3
	s_clause 0x2
	s_load_b64 s[6:7], s[0:1], s2 offset:0x0
	s_load_b64 s[12:13], s[0:1], s2 offset:0x200
	;; [unrolled: 1-line block ×3, first 2 shown]
	s_waitcnt lgkmcnt(0)
	s_add_u32 s3, s6, s8
	s_addc_u32 s14, s7, s9
	s_and_b32 s2, s12, 7
	s_and_b32 s15, s4, 3
	;; [unrolled: 1-line block ×3, first 2 shown]
	s_or_b32 s18, s15, s2
	s_mov_b32 s2, -1
	s_or_b64 s[16:17], s[16:17], s[18:19]
	s_sub_u32 s4, s4, s8
	s_subb_u32 s5, s5, s9
	s_cmp_eq_u64 s[16:17], 0
	s_cbranch_scc0 .LBB316_5
; %bb.1:
	v_dual_mov_b32 v2, 0 :: v_dual_lshlrev_b32 v1, 2, v0
	s_mov_b32 s15, exec_lo
	s_delay_alu instid0(VALU_DEP_1)
	v_cmpx_gt_i64_e64 s[4:5], v[1:2]
	s_cbranch_execz .LBB316_4
; %bb.2:
	s_load_b32 s2, s[0:1], 0xc5c
	v_lshlrev_b32_e32 v3, 3, v0
	s_lshl_b64 s[18:19], s[10:11], 17
	s_waitcnt lgkmcnt(0)
	s_and_b32 s2, s2, 0xffff
	s_delay_alu instid0(SALU_CYCLE_1) | instskip(SKIP_3) | instid1(VALU_DEP_1)
	s_lshl_b32 s16, s2, 2
	s_add_u32 s17, s12, s18
	s_addc_u32 s18, s13, s19
	v_add_co_u32 v3, s17, s17, v3
	v_add_co_ci_u32_e64 v4, null, s18, 0, s17
	s_mov_b32 s17, 0
	s_lshl_b32 s18, s2, 3
.LBB316_3:                              ; =>This Inner Loop Header: Depth=1
	v_add_co_u32 v5, vcc_lo, s3, v1
	v_add_co_ci_u32_e32 v6, vcc_lo, s14, v2, vcc_lo
	v_add_co_u32 v1, vcc_lo, s16, v1
	v_add_co_ci_u32_e32 v2, vcc_lo, 0, v2, vcc_lo
	global_load_b32 v5, v[5:6], off
	v_cmp_le_i64_e32 vcc_lo, s[4:5], v[1:2]
	v_cmp_lt_u64_e64 s2, 0xffff, v[1:2]
	s_delay_alu instid0(VALU_DEP_1) | instskip(NEXT) | instid1(SALU_CYCLE_1)
	s_or_b32 s2, vcc_lo, s2
	s_and_b32 s2, exec_lo, s2
	s_delay_alu instid0(SALU_CYCLE_1)
	s_or_b32 s17, s2, s17
	s_waitcnt vmcnt(0)
	v_cvt_f32_ubyte2_e32 v6, v5
	v_cvt_f32_ubyte3_e32 v7, v5
	v_cvt_f32_ubyte0_e32 v8, v5
	v_cvt_f32_ubyte1_e32 v5, v5
	s_delay_alu instid0(VALU_DEP_4) | instskip(NEXT) | instid1(VALU_DEP_4)
	v_bfe_u32 v9, v6, 16, 1
	v_bfe_u32 v10, v7, 16, 1
	s_delay_alu instid0(VALU_DEP_4) | instskip(NEXT) | instid1(VALU_DEP_4)
	v_bfe_u32 v11, v8, 16, 1
	v_bfe_u32 v12, v5, 16, 1
	s_delay_alu instid0(VALU_DEP_4) | instskip(NEXT) | instid1(VALU_DEP_4)
	v_add3_u32 v6, v6, v9, 0x7fff
	v_add3_u32 v7, v7, v10, 0x7fff
	s_delay_alu instid0(VALU_DEP_4) | instskip(NEXT) | instid1(VALU_DEP_4)
	v_add3_u32 v8, v8, v11, 0x7fff
	v_add3_u32 v5, v5, v12, 0x7fff
	s_delay_alu instid0(VALU_DEP_4) | instskip(NEXT) | instid1(VALU_DEP_4)
	v_lshrrev_b32_e32 v6, 16, v6
	v_and_b32_e32 v7, 0xffff0000, v7
	s_delay_alu instid0(VALU_DEP_4) | instskip(NEXT) | instid1(VALU_DEP_2)
	v_lshrrev_b32_e32 v8, 16, v8
	v_or_b32_e32 v6, v7, v6
	s_delay_alu instid0(VALU_DEP_2)
	v_and_or_b32 v5, 0xffff0000, v5, v8
	global_store_b64 v[3:4], v[5:6], off
	v_add_co_u32 v3, vcc_lo, v3, s18
	v_add_co_ci_u32_e32 v4, vcc_lo, 0, v4, vcc_lo
	s_and_not1_b32 exec_lo, exec_lo, s17
	s_cbranch_execnz .LBB316_3
.LBB316_4:
	s_or_b32 exec_lo, exec_lo, s15
	s_mov_b32 s2, 0
.LBB316_5:
	s_delay_alu instid0(SALU_CYCLE_1)
	s_and_not1_b32 vcc_lo, exec_lo, s2
	s_cbranch_vccnz .LBB316_25
; %bb.6:
	v_cmp_lt_i64_e64 s2, s[4:5], 1
	s_delay_alu instid0(VALU_DEP_1)
	s_and_b32 vcc_lo, exec_lo, s2
	s_cbranch_vccnz .LBB316_25
; %bb.7:
	s_load_b32 s0, s[0:1], 0xc5c
	v_cmp_gt_u64_e64 s1, 0x10000, s[4:5]
	v_add_co_u32 v3, s2, s8, v0
	v_lshlrev_b32_e32 v1, 1, v0
	v_add_co_ci_u32_e64 v4, null, s9, 0, s2
	s_delay_alu instid0(VALU_DEP_3) | instskip(NEXT) | instid1(VALU_DEP_2)
	v_add_co_u32 v13, vcc_lo, s6, v3
                                        ; implicit-def: $vgpr27
                                        ; implicit-def: $vgpr28
                                        ; implicit-def: $vgpr29
                                        ; implicit-def: $vgpr30
	v_add_co_ci_u32_e32 v14, vcc_lo, s7, v4, vcc_lo
	s_waitcnt lgkmcnt(0)
	s_and_b32 s0, s0, 0xffff
	s_and_b32 s1, s1, exec_lo
	s_cselect_b32 s3, s5, 0
	s_cselect_b32 s2, s4, 0x10000
	s_lshl_b64 s[10:11], s[10:11], 17
	s_lshl_b32 s14, s0, 1
	s_lshl_b32 s1, s0, 2
	s_add_u32 s12, s12, s10
	s_mul_i32 s15, s0, 3
	s_addc_u32 s11, s13, s11
	s_lshl_b32 s10, s0, 3
	v_add_co_u32 v1, s16, s12, v1
	s_add_u32 s13, s8, s15
	v_add_co_ci_u32_e64 v2, null, s11, 0, s16
	s_addc_u32 s16, s9, 0
	s_add_u32 s13, s6, s13
	s_addc_u32 s16, s7, s16
	s_add_u32 s8, s8, s14
	;; [unrolled: 2-line block ×3, first 2 shown]
	s_addc_u32 s9, s7, s9
	v_add_co_u32 v19, s8, s8, v0
	s_delay_alu instid0(VALU_DEP_1) | instskip(SKIP_1) | instid1(VALU_DEP_1)
	v_add_co_ci_u32_e64 v20, null, s9, 0, s8
	v_add_co_u32 v21, s8, s14, v0
	v_add_co_ci_u32_e64 v22, null, 0, 0, s8
	v_add_co_u32 v23, s8, v0, s0
	v_add_co_u32 v15, s13, s13, v0
	s_add_u32 s6, s6, s0
	s_delay_alu instid0(VALU_DEP_2)
	v_lshlrev_b32_e32 v5, 1, v23
	v_add_co_ci_u32_e64 v16, null, s16, 0, s13
	v_add_co_u32 v17, s13, s15, v0
	s_addc_u32 s7, s7, 0
	v_add_co_u32 v25, vcc_lo, s6, v3
	v_add_co_u32 v3, s6, s12, v5
	v_add_co_ci_u32_e64 v18, null, 0, 0, s13
	v_add_co_ci_u32_e64 v24, null, 0, 0, s8
	v_add_co_ci_u32_e32 v26, vcc_lo, s7, v4, vcc_lo
	v_add_co_ci_u32_e64 v4, null, s11, 0, s6
	s_mul_i32 s8, s0, 6
	s_mov_b64 s[6:7], 0
	s_branch .LBB316_9
.LBB316_8:                              ;   in Loop: Header=BB316_9 Depth=1
	s_or_b32 exec_lo, exec_lo, s0
	s_add_u32 s6, s6, s1
	s_addc_u32 s7, s7, 0
	v_add_co_u32 v1, vcc_lo, v1, s10
	v_cmp_ge_i64_e64 s0, s[6:7], s[4:5]
	v_cmp_lt_u64_e64 s9, 0xffff, s[6:7]
	v_add_co_ci_u32_e32 v2, vcc_lo, 0, v2, vcc_lo
	v_add_co_u32 v3, vcc_lo, v3, s10
	v_add_co_ci_u32_e32 v4, vcc_lo, 0, v4, vcc_lo
	s_delay_alu instid0(VALU_DEP_4) | instskip(NEXT) | instid1(SALU_CYCLE_1)
	s_or_b32 s0, s0, s9
	s_and_b32 vcc_lo, exec_lo, s0
	s_cbranch_vccnz .LBB316_25
.LBB316_9:                              ; =>This Inner Loop Header: Depth=1
	v_add_co_u32 v5, s0, v0, s6
	s_delay_alu instid0(VALU_DEP_1) | instskip(NEXT) | instid1(VALU_DEP_1)
	v_add_co_ci_u32_e64 v6, null, 0, s7, s0
	v_cmp_gt_i64_e32 vcc_lo, s[4:5], v[5:6]
	v_cmp_gt_u64_e64 s0, 0x10000, v[5:6]
	s_delay_alu instid0(VALU_DEP_1) | instskip(NEXT) | instid1(SALU_CYCLE_1)
	s_and_b32 s9, vcc_lo, s0
	s_and_saveexec_b32 s0, s9
	s_cbranch_execz .LBB316_11
; %bb.10:                               ;   in Loop: Header=BB316_9 Depth=1
	v_add_co_u32 v7, vcc_lo, v13, s6
	v_add_co_ci_u32_e32 v8, vcc_lo, s7, v14, vcc_lo
	global_load_u8 v27, v[7:8], off
.LBB316_11:                             ;   in Loop: Header=BB316_9 Depth=1
	s_or_b32 exec_lo, exec_lo, s0
	v_add_co_u32 v7, vcc_lo, v23, s6
	v_add_co_ci_u32_e32 v8, vcc_lo, s7, v24, vcc_lo
	s_delay_alu instid0(VALU_DEP_1) | instskip(SKIP_1) | instid1(VALU_DEP_1)
	v_cmp_gt_i64_e32 vcc_lo, s[4:5], v[7:8]
	v_cmp_gt_u64_e64 s0, 0x10000, v[7:8]
	s_and_b32 s9, vcc_lo, s0
	s_delay_alu instid0(SALU_CYCLE_1)
	s_and_saveexec_b32 s0, s9
	s_cbranch_execz .LBB316_13
; %bb.12:                               ;   in Loop: Header=BB316_9 Depth=1
	v_add_co_u32 v9, vcc_lo, v25, s6
	v_add_co_ci_u32_e32 v10, vcc_lo, s7, v26, vcc_lo
	global_load_u8 v28, v[9:10], off
.LBB316_13:                             ;   in Loop: Header=BB316_9 Depth=1
	s_or_b32 exec_lo, exec_lo, s0
	v_add_co_u32 v9, vcc_lo, v21, s6
	v_add_co_ci_u32_e32 v10, vcc_lo, s7, v22, vcc_lo
	s_delay_alu instid0(VALU_DEP_1) | instskip(SKIP_1) | instid1(VALU_DEP_1)
	v_cmp_gt_i64_e32 vcc_lo, s[4:5], v[9:10]
	v_cmp_gt_u64_e64 s0, 0x10000, v[9:10]
	s_and_b32 s9, vcc_lo, s0
	s_delay_alu instid0(SALU_CYCLE_1)
	;; [unrolled: 15-line block ×3, first 2 shown]
	s_and_saveexec_b32 s0, s9
	s_cbranch_execnz .LBB316_20
; %bb.16:                               ;   in Loop: Header=BB316_9 Depth=1
	s_or_b32 exec_lo, exec_lo, s0
	s_delay_alu instid0(SALU_CYCLE_1)
	s_mov_b32 s0, exec_lo
	v_cmpx_gt_u64_e64 s[2:3], v[5:6]
	s_cbranch_execnz .LBB316_21
.LBB316_17:                             ;   in Loop: Header=BB316_9 Depth=1
	s_or_b32 exec_lo, exec_lo, s0
	s_delay_alu instid0(SALU_CYCLE_1)
	s_mov_b32 s0, exec_lo
	v_cmpx_gt_u64_e64 s[2:3], v[7:8]
	s_cbranch_execnz .LBB316_22
.LBB316_18:                             ;   in Loop: Header=BB316_9 Depth=1
	s_or_b32 exec_lo, exec_lo, s0
	s_delay_alu instid0(SALU_CYCLE_1)
	s_mov_b32 s0, exec_lo
	v_cmpx_gt_u64_e64 s[2:3], v[9:10]
	s_cbranch_execnz .LBB316_23
.LBB316_19:                             ;   in Loop: Header=BB316_9 Depth=1
	s_or_b32 exec_lo, exec_lo, s0
	s_delay_alu instid0(SALU_CYCLE_1)
	s_mov_b32 s0, exec_lo
	v_cmpx_gt_u64_e64 s[2:3], v[11:12]
	s_cbranch_execz .LBB316_8
	s_branch .LBB316_24
.LBB316_20:                             ;   in Loop: Header=BB316_9 Depth=1
	s_waitcnt vmcnt(0)
	v_add_co_u32 v30, vcc_lo, v15, s6
	v_add_co_ci_u32_e32 v31, vcc_lo, s7, v16, vcc_lo
	global_load_u8 v30, v[30:31], off
	s_or_b32 exec_lo, exec_lo, s0
	s_delay_alu instid0(SALU_CYCLE_1)
	s_mov_b32 s0, exec_lo
	v_cmpx_gt_u64_e64 s[2:3], v[5:6]
	s_cbranch_execz .LBB316_17
.LBB316_21:                             ;   in Loop: Header=BB316_9 Depth=1
	s_waitcnt vmcnt(0)
	v_cvt_f32_ubyte0_e32 v5, v27
	s_delay_alu instid0(VALU_DEP_1) | instskip(NEXT) | instid1(VALU_DEP_1)
	v_bfe_u32 v6, v5, 16, 1
	v_add3_u32 v5, v5, v6, 0x7fff
	global_store_d16_hi_b16 v[1:2], v5, off
	s_or_b32 exec_lo, exec_lo, s0
	s_delay_alu instid0(SALU_CYCLE_1)
	s_mov_b32 s0, exec_lo
	v_cmpx_gt_u64_e64 s[2:3], v[7:8]
	s_cbranch_execz .LBB316_18
.LBB316_22:                             ;   in Loop: Header=BB316_9 Depth=1
	s_waitcnt vmcnt(0)
	v_cvt_f32_ubyte0_e32 v5, v28
	s_delay_alu instid0(VALU_DEP_1) | instskip(NEXT) | instid1(VALU_DEP_1)
	v_bfe_u32 v6, v5, 16, 1
	v_add3_u32 v5, v5, v6, 0x7fff
	global_store_d16_hi_b16 v[3:4], v5, off
	s_or_b32 exec_lo, exec_lo, s0
	s_delay_alu instid0(SALU_CYCLE_1)
	s_mov_b32 s0, exec_lo
	v_cmpx_gt_u64_e64 s[2:3], v[9:10]
	s_cbranch_execz .LBB316_19
.LBB316_23:                             ;   in Loop: Header=BB316_9 Depth=1
	s_waitcnt vmcnt(0)
	v_cvt_f32_ubyte0_e32 v5, v29
	s_delay_alu instid0(VALU_DEP_1) | instskip(NEXT) | instid1(VALU_DEP_1)
	v_bfe_u32 v6, v5, 16, 1
	v_add3_u32 v7, v5, v6, 0x7fff
	v_add_co_u32 v5, vcc_lo, v1, s1
	v_add_co_ci_u32_e32 v6, vcc_lo, 0, v2, vcc_lo
	global_store_d16_hi_b16 v[5:6], v7, off
	s_or_b32 exec_lo, exec_lo, s0
	s_delay_alu instid0(SALU_CYCLE_1)
	s_mov_b32 s0, exec_lo
	v_cmpx_gt_u64_e64 s[2:3], v[11:12]
	s_cbranch_execz .LBB316_8
.LBB316_24:                             ;   in Loop: Header=BB316_9 Depth=1
	s_waitcnt vmcnt(0)
	v_cvt_f32_ubyte0_e32 v5, v30
	s_delay_alu instid0(VALU_DEP_1) | instskip(NEXT) | instid1(VALU_DEP_1)
	v_bfe_u32 v6, v5, 16, 1
	v_add3_u32 v7, v5, v6, 0x7fff
	v_add_co_u32 v5, vcc_lo, v1, s8
	v_add_co_ci_u32_e32 v6, vcc_lo, 0, v2, vcc_lo
	global_store_d16_hi_b16 v[5:6], v7, off
	s_branch .LBB316_8
.LBB316_25:
	s_nop 0
	s_sendmsg sendmsg(MSG_DEALLOC_VGPRS)
	s_endpgm
	.section	.rodata,"a",@progbits
	.p2align	6, 0x0
	.amdhsa_kernel _ZN2at6native12_GLOBAL__N_125multi_tensor_apply_kernelINS1_18TensorListMetadataILi2EEENS1_11CopyFunctorIN3c108BFloat16EhLi2ELi1ELi1EEEJNS0_4CopyIS7_hEEEEEvT_T0_DpT1_
		.amdhsa_group_segment_fixed_size 0
		.amdhsa_private_segment_fixed_size 0
		.amdhsa_kernarg_size 3408
		.amdhsa_user_sgpr_count 15
		.amdhsa_user_sgpr_dispatch_ptr 0
		.amdhsa_user_sgpr_queue_ptr 0
		.amdhsa_user_sgpr_kernarg_segment_ptr 1
		.amdhsa_user_sgpr_dispatch_id 0
		.amdhsa_user_sgpr_private_segment_size 0
		.amdhsa_wavefront_size32 1
		.amdhsa_uses_dynamic_stack 0
		.amdhsa_enable_private_segment 0
		.amdhsa_system_sgpr_workgroup_id_x 1
		.amdhsa_system_sgpr_workgroup_id_y 0
		.amdhsa_system_sgpr_workgroup_id_z 0
		.amdhsa_system_sgpr_workgroup_info 0
		.amdhsa_system_vgpr_workitem_id 0
		.amdhsa_next_free_vgpr 32
		.amdhsa_next_free_sgpr 20
		.amdhsa_reserve_vcc 1
		.amdhsa_float_round_mode_32 0
		.amdhsa_float_round_mode_16_64 0
		.amdhsa_float_denorm_mode_32 3
		.amdhsa_float_denorm_mode_16_64 3
		.amdhsa_dx10_clamp 1
		.amdhsa_ieee_mode 1
		.amdhsa_fp16_overflow 0
		.amdhsa_workgroup_processor_mode 1
		.amdhsa_memory_ordered 1
		.amdhsa_forward_progress 0
		.amdhsa_shared_vgpr_count 0
		.amdhsa_exception_fp_ieee_invalid_op 0
		.amdhsa_exception_fp_denorm_src 0
		.amdhsa_exception_fp_ieee_div_zero 0
		.amdhsa_exception_fp_ieee_overflow 0
		.amdhsa_exception_fp_ieee_underflow 0
		.amdhsa_exception_fp_ieee_inexact 0
		.amdhsa_exception_int_div_zero 0
	.end_amdhsa_kernel
	.section	.text._ZN2at6native12_GLOBAL__N_125multi_tensor_apply_kernelINS1_18TensorListMetadataILi2EEENS1_11CopyFunctorIN3c108BFloat16EhLi2ELi1ELi1EEEJNS0_4CopyIS7_hEEEEEvT_T0_DpT1_,"axG",@progbits,_ZN2at6native12_GLOBAL__N_125multi_tensor_apply_kernelINS1_18TensorListMetadataILi2EEENS1_11CopyFunctorIN3c108BFloat16EhLi2ELi1ELi1EEEJNS0_4CopyIS7_hEEEEEvT_T0_DpT1_,comdat
.Lfunc_end316:
	.size	_ZN2at6native12_GLOBAL__N_125multi_tensor_apply_kernelINS1_18TensorListMetadataILi2EEENS1_11CopyFunctorIN3c108BFloat16EhLi2ELi1ELi1EEEJNS0_4CopyIS7_hEEEEEvT_T0_DpT1_, .Lfunc_end316-_ZN2at6native12_GLOBAL__N_125multi_tensor_apply_kernelINS1_18TensorListMetadataILi2EEENS1_11CopyFunctorIN3c108BFloat16EhLi2ELi1ELi1EEEJNS0_4CopyIS7_hEEEEEvT_T0_DpT1_
                                        ; -- End function
	.section	.AMDGPU.csdata,"",@progbits
; Kernel info:
; codeLenInByte = 1612
; NumSgprs: 22
; NumVgprs: 32
; ScratchSize: 0
; MemoryBound: 0
; FloatMode: 240
; IeeeMode: 1
; LDSByteSize: 0 bytes/workgroup (compile time only)
; SGPRBlocks: 2
; VGPRBlocks: 3
; NumSGPRsForWavesPerEU: 22
; NumVGPRsForWavesPerEU: 32
; Occupancy: 16
; WaveLimiterHint : 0
; COMPUTE_PGM_RSRC2:SCRATCH_EN: 0
; COMPUTE_PGM_RSRC2:USER_SGPR: 15
; COMPUTE_PGM_RSRC2:TRAP_HANDLER: 0
; COMPUTE_PGM_RSRC2:TGID_X_EN: 1
; COMPUTE_PGM_RSRC2:TGID_Y_EN: 0
; COMPUTE_PGM_RSRC2:TGID_Z_EN: 0
; COMPUTE_PGM_RSRC2:TIDIG_COMP_CNT: 0
	.section	.text._ZN2at6native12_GLOBAL__N_125multi_tensor_apply_kernelINS1_18TensorListMetadataILi2EEENS1_11CopyFunctorIN3c108BFloat16EaLi2ELi1ELi1EEEJNS0_4CopyIS7_aEEEEEvT_T0_DpT1_,"axG",@progbits,_ZN2at6native12_GLOBAL__N_125multi_tensor_apply_kernelINS1_18TensorListMetadataILi2EEENS1_11CopyFunctorIN3c108BFloat16EaLi2ELi1ELi1EEEJNS0_4CopyIS7_aEEEEEvT_T0_DpT1_,comdat
	.globl	_ZN2at6native12_GLOBAL__N_125multi_tensor_apply_kernelINS1_18TensorListMetadataILi2EEENS1_11CopyFunctorIN3c108BFloat16EaLi2ELi1ELi1EEEJNS0_4CopyIS7_aEEEEEvT_T0_DpT1_ ; -- Begin function _ZN2at6native12_GLOBAL__N_125multi_tensor_apply_kernelINS1_18TensorListMetadataILi2EEENS1_11CopyFunctorIN3c108BFloat16EaLi2ELi1ELi1EEEJNS0_4CopyIS7_aEEEEEvT_T0_DpT1_
	.p2align	8
	.type	_ZN2at6native12_GLOBAL__N_125multi_tensor_apply_kernelINS1_18TensorListMetadataILi2EEENS1_11CopyFunctorIN3c108BFloat16EaLi2ELi1ELi1EEEJNS0_4CopyIS7_aEEEEEvT_T0_DpT1_,@function
_ZN2at6native12_GLOBAL__N_125multi_tensor_apply_kernelINS1_18TensorListMetadataILi2EEENS1_11CopyFunctorIN3c108BFloat16EaLi2ELi1ELi1EEEJNS0_4CopyIS7_aEEEEEvT_T0_DpT1_: ; @_ZN2at6native12_GLOBAL__N_125multi_tensor_apply_kernelINS1_18TensorListMetadataILi2EEENS1_11CopyFunctorIN3c108BFloat16EaLi2ELi1ELi1EEEJNS0_4CopyIS7_aEEEEEvT_T0_DpT1_
; %bb.0:
	v_mov_b32_e32 v1, s15
	s_add_u32 s2, s0, s15
	s_mul_hi_u32 s3, s15, 3
	s_mul_i32 s15, s15, 3
	s_addc_u32 s4, s1, 0
	global_load_u8 v1, v1, s[0:1] offset:1536
	s_add_u32 s2, s2, s15
	s_addc_u32 s3, s4, s3
	s_mov_b32 s17, 0
	s_load_b32 s10, s[2:3], 0x740
	s_mov_b32 s19, s17
	s_waitcnt lgkmcnt(0)
	s_ashr_i32 s11, s10, 31
	s_delay_alu instid0(SALU_CYCLE_1) | instskip(SKIP_2) | instid1(VALU_DEP_1)
	s_lshl_b64 s[8:9], s[10:11], 16
	s_waitcnt vmcnt(0)
	v_readfirstlane_b32 s5, v1
	s_lshl_b32 s2, s5, 3
	s_clause 0x2
	s_load_b64 s[6:7], s[0:1], s2 offset:0x0
	s_load_b64 s[12:13], s[0:1], s2 offset:0x200
	;; [unrolled: 1-line block ×3, first 2 shown]
	s_waitcnt lgkmcnt(0)
	s_add_u32 s3, s6, s8
	s_addc_u32 s14, s7, s9
	s_and_b32 s2, s12, 7
	s_and_b32 s15, s4, 3
	;; [unrolled: 1-line block ×3, first 2 shown]
	s_or_b32 s18, s15, s2
	s_mov_b32 s2, -1
	s_or_b64 s[16:17], s[16:17], s[18:19]
	s_sub_u32 s4, s4, s8
	s_subb_u32 s5, s5, s9
	s_cmp_eq_u64 s[16:17], 0
	s_cbranch_scc0 .LBB317_5
; %bb.1:
	v_dual_mov_b32 v2, 0 :: v_dual_lshlrev_b32 v1, 2, v0
	s_mov_b32 s15, exec_lo
	s_delay_alu instid0(VALU_DEP_1)
	v_cmpx_gt_i64_e64 s[4:5], v[1:2]
	s_cbranch_execz .LBB317_4
; %bb.2:
	s_load_b32 s2, s[0:1], 0xc5c
	v_lshlrev_b32_e32 v3, 3, v0
	s_lshl_b64 s[18:19], s[10:11], 17
	s_waitcnt lgkmcnt(0)
	s_and_b32 s2, s2, 0xffff
	s_delay_alu instid0(SALU_CYCLE_1) | instskip(SKIP_3) | instid1(VALU_DEP_1)
	s_lshl_b32 s16, s2, 2
	s_add_u32 s17, s12, s18
	s_addc_u32 s18, s13, s19
	v_add_co_u32 v3, s17, s17, v3
	v_add_co_ci_u32_e64 v4, null, s18, 0, s17
	s_mov_b32 s17, 0
	s_lshl_b32 s18, s2, 3
.LBB317_3:                              ; =>This Inner Loop Header: Depth=1
	v_add_co_u32 v5, vcc_lo, s3, v1
	v_add_co_ci_u32_e32 v6, vcc_lo, s14, v2, vcc_lo
	v_add_co_u32 v1, vcc_lo, s16, v1
	v_add_co_ci_u32_e32 v2, vcc_lo, 0, v2, vcc_lo
	global_load_b32 v5, v[5:6], off
	v_cmp_le_i64_e32 vcc_lo, s[4:5], v[1:2]
	v_cmp_lt_u64_e64 s2, 0xffff, v[1:2]
	s_delay_alu instid0(VALU_DEP_1) | instskip(NEXT) | instid1(SALU_CYCLE_1)
	s_or_b32 s2, vcc_lo, s2
	s_and_b32 s2, exec_lo, s2
	s_delay_alu instid0(SALU_CYCLE_1)
	s_or_b32 s17, s2, s17
	s_waitcnt vmcnt(0)
	v_lshrrev_b32_e32 v6, 16, v5
	v_lshrrev_b32_e32 v7, 24, v5
	v_bfe_i32 v8, v5, 0, 8
	v_lshrrev_b32_e32 v5, 8, v5
	s_delay_alu instid0(VALU_DEP_4) | instskip(NEXT) | instid1(VALU_DEP_4)
	v_bfe_i32 v6, v6, 0, 8
	v_bfe_i32 v7, v7, 0, 8
	s_delay_alu instid0(VALU_DEP_4) | instskip(NEXT) | instid1(VALU_DEP_4)
	v_bfe_i32 v8, v8, 0, 16
	v_bfe_i32 v5, v5, 0, 8
	;; [unrolled: 3-line block ×3, first 2 shown]
	s_delay_alu instid0(VALU_DEP_4) | instskip(NEXT) | instid1(VALU_DEP_4)
	v_cvt_f32_i32_e32 v8, v8
	v_bfe_i32 v5, v5, 0, 16
	s_delay_alu instid0(VALU_DEP_4) | instskip(NEXT) | instid1(VALU_DEP_4)
	v_cvt_f32_i32_e32 v6, v6
	v_cvt_f32_i32_e32 v7, v7
	s_delay_alu instid0(VALU_DEP_4) | instskip(NEXT) | instid1(VALU_DEP_4)
	v_bfe_u32 v9, v8, 16, 1
	v_cvt_f32_i32_e32 v5, v5
	s_delay_alu instid0(VALU_DEP_4) | instskip(NEXT) | instid1(VALU_DEP_4)
	v_bfe_u32 v10, v6, 16, 1
	v_bfe_u32 v11, v7, 16, 1
	s_delay_alu instid0(VALU_DEP_4) | instskip(NEXT) | instid1(VALU_DEP_4)
	v_add3_u32 v8, v8, v9, 0x7fff
	v_bfe_u32 v9, v5, 16, 1
	s_delay_alu instid0(VALU_DEP_4) | instskip(NEXT) | instid1(VALU_DEP_4)
	v_add3_u32 v6, v6, v10, 0x7fff
	v_add3_u32 v7, v7, v11, 0x7fff
	s_delay_alu instid0(VALU_DEP_4) | instskip(NEXT) | instid1(VALU_DEP_4)
	v_lshrrev_b32_e32 v8, 16, v8
	v_add3_u32 v5, v5, v9, 0x7fff
	s_delay_alu instid0(VALU_DEP_4) | instskip(NEXT) | instid1(VALU_DEP_4)
	v_lshrrev_b32_e32 v6, 16, v6
	v_and_b32_e32 v7, 0xffff0000, v7
	s_delay_alu instid0(VALU_DEP_3) | instskip(NEXT) | instid1(VALU_DEP_2)
	v_and_or_b32 v5, 0xffff0000, v5, v8
	v_or_b32_e32 v6, v7, v6
	global_store_b64 v[3:4], v[5:6], off
	v_add_co_u32 v3, vcc_lo, v3, s18
	v_add_co_ci_u32_e32 v4, vcc_lo, 0, v4, vcc_lo
	s_and_not1_b32 exec_lo, exec_lo, s17
	s_cbranch_execnz .LBB317_3
.LBB317_4:
	s_or_b32 exec_lo, exec_lo, s15
	s_mov_b32 s2, 0
.LBB317_5:
	s_delay_alu instid0(SALU_CYCLE_1)
	s_and_not1_b32 vcc_lo, exec_lo, s2
	s_cbranch_vccnz .LBB317_25
; %bb.6:
	v_cmp_lt_i64_e64 s2, s[4:5], 1
	s_delay_alu instid0(VALU_DEP_1)
	s_and_b32 vcc_lo, exec_lo, s2
	s_cbranch_vccnz .LBB317_25
; %bb.7:
	s_load_b32 s0, s[0:1], 0xc5c
	v_cmp_gt_u64_e64 s1, 0x10000, s[4:5]
	v_add_co_u32 v3, s2, s8, v0
	v_lshlrev_b32_e32 v1, 1, v0
	v_add_co_ci_u32_e64 v4, null, s9, 0, s2
	s_delay_alu instid0(VALU_DEP_3) | instskip(NEXT) | instid1(VALU_DEP_2)
	v_add_co_u32 v13, vcc_lo, s6, v3
                                        ; implicit-def: $vgpr27
                                        ; implicit-def: $vgpr28
                                        ; implicit-def: $vgpr29
                                        ; implicit-def: $vgpr30
	v_add_co_ci_u32_e32 v14, vcc_lo, s7, v4, vcc_lo
	s_waitcnt lgkmcnt(0)
	s_and_b32 s0, s0, 0xffff
	s_and_b32 s1, s1, exec_lo
	s_cselect_b32 s3, s5, 0
	s_cselect_b32 s2, s4, 0x10000
	s_lshl_b64 s[10:11], s[10:11], 17
	s_lshl_b32 s14, s0, 1
	s_lshl_b32 s1, s0, 2
	s_add_u32 s12, s12, s10
	s_mul_i32 s15, s0, 3
	s_addc_u32 s11, s13, s11
	s_lshl_b32 s10, s0, 3
	v_add_co_u32 v1, s16, s12, v1
	s_add_u32 s13, s8, s15
	v_add_co_ci_u32_e64 v2, null, s11, 0, s16
	s_addc_u32 s16, s9, 0
	s_add_u32 s13, s6, s13
	s_addc_u32 s16, s7, s16
	s_add_u32 s8, s8, s14
	;; [unrolled: 2-line block ×3, first 2 shown]
	s_addc_u32 s9, s7, s9
	v_add_co_u32 v19, s8, s8, v0
	s_delay_alu instid0(VALU_DEP_1) | instskip(SKIP_1) | instid1(VALU_DEP_1)
	v_add_co_ci_u32_e64 v20, null, s9, 0, s8
	v_add_co_u32 v21, s8, s14, v0
	v_add_co_ci_u32_e64 v22, null, 0, 0, s8
	v_add_co_u32 v23, s8, v0, s0
	v_add_co_u32 v15, s13, s13, v0
	s_add_u32 s6, s6, s0
	s_delay_alu instid0(VALU_DEP_2)
	v_lshlrev_b32_e32 v5, 1, v23
	v_add_co_ci_u32_e64 v16, null, s16, 0, s13
	v_add_co_u32 v17, s13, s15, v0
	s_addc_u32 s7, s7, 0
	v_add_co_u32 v25, vcc_lo, s6, v3
	v_add_co_u32 v3, s6, s12, v5
	v_add_co_ci_u32_e64 v18, null, 0, 0, s13
	v_add_co_ci_u32_e64 v24, null, 0, 0, s8
	v_add_co_ci_u32_e32 v26, vcc_lo, s7, v4, vcc_lo
	v_add_co_ci_u32_e64 v4, null, s11, 0, s6
	s_mul_i32 s8, s0, 6
	s_mov_b64 s[6:7], 0
	s_branch .LBB317_9
.LBB317_8:                              ;   in Loop: Header=BB317_9 Depth=1
	s_or_b32 exec_lo, exec_lo, s0
	s_add_u32 s6, s6, s1
	s_addc_u32 s7, s7, 0
	v_add_co_u32 v1, vcc_lo, v1, s10
	v_cmp_ge_i64_e64 s0, s[6:7], s[4:5]
	v_cmp_lt_u64_e64 s9, 0xffff, s[6:7]
	v_add_co_ci_u32_e32 v2, vcc_lo, 0, v2, vcc_lo
	v_add_co_u32 v3, vcc_lo, v3, s10
	v_add_co_ci_u32_e32 v4, vcc_lo, 0, v4, vcc_lo
	s_delay_alu instid0(VALU_DEP_4) | instskip(NEXT) | instid1(SALU_CYCLE_1)
	s_or_b32 s0, s0, s9
	s_and_b32 vcc_lo, exec_lo, s0
	s_cbranch_vccnz .LBB317_25
.LBB317_9:                              ; =>This Inner Loop Header: Depth=1
	v_add_co_u32 v5, s0, v0, s6
	s_delay_alu instid0(VALU_DEP_1) | instskip(NEXT) | instid1(VALU_DEP_1)
	v_add_co_ci_u32_e64 v6, null, 0, s7, s0
	v_cmp_gt_i64_e32 vcc_lo, s[4:5], v[5:6]
	v_cmp_gt_u64_e64 s0, 0x10000, v[5:6]
	s_delay_alu instid0(VALU_DEP_1) | instskip(NEXT) | instid1(SALU_CYCLE_1)
	s_and_b32 s9, vcc_lo, s0
	s_and_saveexec_b32 s0, s9
	s_cbranch_execz .LBB317_11
; %bb.10:                               ;   in Loop: Header=BB317_9 Depth=1
	v_add_co_u32 v7, vcc_lo, v13, s6
	v_add_co_ci_u32_e32 v8, vcc_lo, s7, v14, vcc_lo
	global_load_u8 v27, v[7:8], off
.LBB317_11:                             ;   in Loop: Header=BB317_9 Depth=1
	s_or_b32 exec_lo, exec_lo, s0
	v_add_co_u32 v7, vcc_lo, v23, s6
	v_add_co_ci_u32_e32 v8, vcc_lo, s7, v24, vcc_lo
	s_delay_alu instid0(VALU_DEP_1) | instskip(SKIP_1) | instid1(VALU_DEP_1)
	v_cmp_gt_i64_e32 vcc_lo, s[4:5], v[7:8]
	v_cmp_gt_u64_e64 s0, 0x10000, v[7:8]
	s_and_b32 s9, vcc_lo, s0
	s_delay_alu instid0(SALU_CYCLE_1)
	s_and_saveexec_b32 s0, s9
	s_cbranch_execz .LBB317_13
; %bb.12:                               ;   in Loop: Header=BB317_9 Depth=1
	v_add_co_u32 v9, vcc_lo, v25, s6
	v_add_co_ci_u32_e32 v10, vcc_lo, s7, v26, vcc_lo
	global_load_u8 v28, v[9:10], off
.LBB317_13:                             ;   in Loop: Header=BB317_9 Depth=1
	s_or_b32 exec_lo, exec_lo, s0
	v_add_co_u32 v9, vcc_lo, v21, s6
	v_add_co_ci_u32_e32 v10, vcc_lo, s7, v22, vcc_lo
	s_delay_alu instid0(VALU_DEP_1) | instskip(SKIP_1) | instid1(VALU_DEP_1)
	v_cmp_gt_i64_e32 vcc_lo, s[4:5], v[9:10]
	v_cmp_gt_u64_e64 s0, 0x10000, v[9:10]
	s_and_b32 s9, vcc_lo, s0
	s_delay_alu instid0(SALU_CYCLE_1)
	;; [unrolled: 15-line block ×3, first 2 shown]
	s_and_saveexec_b32 s0, s9
	s_cbranch_execnz .LBB317_20
; %bb.16:                               ;   in Loop: Header=BB317_9 Depth=1
	s_or_b32 exec_lo, exec_lo, s0
	s_delay_alu instid0(SALU_CYCLE_1)
	s_mov_b32 s0, exec_lo
	v_cmpx_gt_u64_e64 s[2:3], v[5:6]
	s_cbranch_execnz .LBB317_21
.LBB317_17:                             ;   in Loop: Header=BB317_9 Depth=1
	s_or_b32 exec_lo, exec_lo, s0
	s_delay_alu instid0(SALU_CYCLE_1)
	s_mov_b32 s0, exec_lo
	v_cmpx_gt_u64_e64 s[2:3], v[7:8]
	s_cbranch_execnz .LBB317_22
.LBB317_18:                             ;   in Loop: Header=BB317_9 Depth=1
	s_or_b32 exec_lo, exec_lo, s0
	s_delay_alu instid0(SALU_CYCLE_1)
	s_mov_b32 s0, exec_lo
	v_cmpx_gt_u64_e64 s[2:3], v[9:10]
	s_cbranch_execnz .LBB317_23
.LBB317_19:                             ;   in Loop: Header=BB317_9 Depth=1
	s_or_b32 exec_lo, exec_lo, s0
	s_delay_alu instid0(SALU_CYCLE_1)
	s_mov_b32 s0, exec_lo
	v_cmpx_gt_u64_e64 s[2:3], v[11:12]
	s_cbranch_execz .LBB317_8
	s_branch .LBB317_24
.LBB317_20:                             ;   in Loop: Header=BB317_9 Depth=1
	s_waitcnt vmcnt(0)
	v_add_co_u32 v30, vcc_lo, v15, s6
	v_add_co_ci_u32_e32 v31, vcc_lo, s7, v16, vcc_lo
	global_load_u8 v30, v[30:31], off
	s_or_b32 exec_lo, exec_lo, s0
	s_delay_alu instid0(SALU_CYCLE_1)
	s_mov_b32 s0, exec_lo
	v_cmpx_gt_u64_e64 s[2:3], v[5:6]
	s_cbranch_execz .LBB317_17
.LBB317_21:                             ;   in Loop: Header=BB317_9 Depth=1
	s_waitcnt vmcnt(0)
	v_bfe_i32 v5, v27, 0, 8
	s_delay_alu instid0(VALU_DEP_1) | instskip(NEXT) | instid1(VALU_DEP_1)
	v_bfe_i32 v5, v5, 0, 16
	v_cvt_f32_i32_e32 v5, v5
	s_delay_alu instid0(VALU_DEP_1) | instskip(NEXT) | instid1(VALU_DEP_1)
	v_bfe_u32 v6, v5, 16, 1
	v_add3_u32 v5, v5, v6, 0x7fff
	global_store_d16_hi_b16 v[1:2], v5, off
	s_or_b32 exec_lo, exec_lo, s0
	s_delay_alu instid0(SALU_CYCLE_1)
	s_mov_b32 s0, exec_lo
	v_cmpx_gt_u64_e64 s[2:3], v[7:8]
	s_cbranch_execz .LBB317_18
.LBB317_22:                             ;   in Loop: Header=BB317_9 Depth=1
	s_waitcnt vmcnt(0)
	v_bfe_i32 v5, v28, 0, 8
	s_delay_alu instid0(VALU_DEP_1) | instskip(NEXT) | instid1(VALU_DEP_1)
	v_bfe_i32 v5, v5, 0, 16
	v_cvt_f32_i32_e32 v5, v5
	s_delay_alu instid0(VALU_DEP_1) | instskip(NEXT) | instid1(VALU_DEP_1)
	v_bfe_u32 v6, v5, 16, 1
	v_add3_u32 v5, v5, v6, 0x7fff
	global_store_d16_hi_b16 v[3:4], v5, off
	s_or_b32 exec_lo, exec_lo, s0
	s_delay_alu instid0(SALU_CYCLE_1)
	s_mov_b32 s0, exec_lo
	v_cmpx_gt_u64_e64 s[2:3], v[9:10]
	s_cbranch_execz .LBB317_19
.LBB317_23:                             ;   in Loop: Header=BB317_9 Depth=1
	s_waitcnt vmcnt(0)
	v_bfe_i32 v5, v29, 0, 8
	s_delay_alu instid0(VALU_DEP_1) | instskip(NEXT) | instid1(VALU_DEP_1)
	v_bfe_i32 v5, v5, 0, 16
	v_cvt_f32_i32_e32 v5, v5
	s_delay_alu instid0(VALU_DEP_1) | instskip(NEXT) | instid1(VALU_DEP_1)
	v_bfe_u32 v6, v5, 16, 1
	v_add3_u32 v7, v5, v6, 0x7fff
	v_add_co_u32 v5, vcc_lo, v1, s1
	v_add_co_ci_u32_e32 v6, vcc_lo, 0, v2, vcc_lo
	global_store_d16_hi_b16 v[5:6], v7, off
	s_or_b32 exec_lo, exec_lo, s0
	s_delay_alu instid0(SALU_CYCLE_1)
	s_mov_b32 s0, exec_lo
	v_cmpx_gt_u64_e64 s[2:3], v[11:12]
	s_cbranch_execz .LBB317_8
.LBB317_24:                             ;   in Loop: Header=BB317_9 Depth=1
	s_waitcnt vmcnt(0)
	v_bfe_i32 v5, v30, 0, 8
	s_delay_alu instid0(VALU_DEP_1) | instskip(NEXT) | instid1(VALU_DEP_1)
	v_bfe_i32 v5, v5, 0, 16
	v_cvt_f32_i32_e32 v5, v5
	s_delay_alu instid0(VALU_DEP_1) | instskip(NEXT) | instid1(VALU_DEP_1)
	v_bfe_u32 v6, v5, 16, 1
	v_add3_u32 v7, v5, v6, 0x7fff
	v_add_co_u32 v5, vcc_lo, v1, s8
	v_add_co_ci_u32_e32 v6, vcc_lo, 0, v2, vcc_lo
	global_store_d16_hi_b16 v[5:6], v7, off
	s_branch .LBB317_8
.LBB317_25:
	s_nop 0
	s_sendmsg sendmsg(MSG_DEALLOC_VGPRS)
	s_endpgm
	.section	.rodata,"a",@progbits
	.p2align	6, 0x0
	.amdhsa_kernel _ZN2at6native12_GLOBAL__N_125multi_tensor_apply_kernelINS1_18TensorListMetadataILi2EEENS1_11CopyFunctorIN3c108BFloat16EaLi2ELi1ELi1EEEJNS0_4CopyIS7_aEEEEEvT_T0_DpT1_
		.amdhsa_group_segment_fixed_size 0
		.amdhsa_private_segment_fixed_size 0
		.amdhsa_kernarg_size 3408
		.amdhsa_user_sgpr_count 15
		.amdhsa_user_sgpr_dispatch_ptr 0
		.amdhsa_user_sgpr_queue_ptr 0
		.amdhsa_user_sgpr_kernarg_segment_ptr 1
		.amdhsa_user_sgpr_dispatch_id 0
		.amdhsa_user_sgpr_private_segment_size 0
		.amdhsa_wavefront_size32 1
		.amdhsa_uses_dynamic_stack 0
		.amdhsa_enable_private_segment 0
		.amdhsa_system_sgpr_workgroup_id_x 1
		.amdhsa_system_sgpr_workgroup_id_y 0
		.amdhsa_system_sgpr_workgroup_id_z 0
		.amdhsa_system_sgpr_workgroup_info 0
		.amdhsa_system_vgpr_workitem_id 0
		.amdhsa_next_free_vgpr 32
		.amdhsa_next_free_sgpr 20
		.amdhsa_reserve_vcc 1
		.amdhsa_float_round_mode_32 0
		.amdhsa_float_round_mode_16_64 0
		.amdhsa_float_denorm_mode_32 3
		.amdhsa_float_denorm_mode_16_64 3
		.amdhsa_dx10_clamp 1
		.amdhsa_ieee_mode 1
		.amdhsa_fp16_overflow 0
		.amdhsa_workgroup_processor_mode 1
		.amdhsa_memory_ordered 1
		.amdhsa_forward_progress 0
		.amdhsa_shared_vgpr_count 0
		.amdhsa_exception_fp_ieee_invalid_op 0
		.amdhsa_exception_fp_denorm_src 0
		.amdhsa_exception_fp_ieee_div_zero 0
		.amdhsa_exception_fp_ieee_overflow 0
		.amdhsa_exception_fp_ieee_underflow 0
		.amdhsa_exception_fp_ieee_inexact 0
		.amdhsa_exception_int_div_zero 0
	.end_amdhsa_kernel
	.section	.text._ZN2at6native12_GLOBAL__N_125multi_tensor_apply_kernelINS1_18TensorListMetadataILi2EEENS1_11CopyFunctorIN3c108BFloat16EaLi2ELi1ELi1EEEJNS0_4CopyIS7_aEEEEEvT_T0_DpT1_,"axG",@progbits,_ZN2at6native12_GLOBAL__N_125multi_tensor_apply_kernelINS1_18TensorListMetadataILi2EEENS1_11CopyFunctorIN3c108BFloat16EaLi2ELi1ELi1EEEJNS0_4CopyIS7_aEEEEEvT_T0_DpT1_,comdat
.Lfunc_end317:
	.size	_ZN2at6native12_GLOBAL__N_125multi_tensor_apply_kernelINS1_18TensorListMetadataILi2EEENS1_11CopyFunctorIN3c108BFloat16EaLi2ELi1ELi1EEEJNS0_4CopyIS7_aEEEEEvT_T0_DpT1_, .Lfunc_end317-_ZN2at6native12_GLOBAL__N_125multi_tensor_apply_kernelINS1_18TensorListMetadataILi2EEENS1_11CopyFunctorIN3c108BFloat16EaLi2ELi1ELi1EEEJNS0_4CopyIS7_aEEEEEvT_T0_DpT1_
                                        ; -- End function
	.section	.AMDGPU.csdata,"",@progbits
; Kernel info:
; codeLenInByte = 1788
; NumSgprs: 22
; NumVgprs: 32
; ScratchSize: 0
; MemoryBound: 0
; FloatMode: 240
; IeeeMode: 1
; LDSByteSize: 0 bytes/workgroup (compile time only)
; SGPRBlocks: 2
; VGPRBlocks: 3
; NumSGPRsForWavesPerEU: 22
; NumVGPRsForWavesPerEU: 32
; Occupancy: 16
; WaveLimiterHint : 0
; COMPUTE_PGM_RSRC2:SCRATCH_EN: 0
; COMPUTE_PGM_RSRC2:USER_SGPR: 15
; COMPUTE_PGM_RSRC2:TRAP_HANDLER: 0
; COMPUTE_PGM_RSRC2:TGID_X_EN: 1
; COMPUTE_PGM_RSRC2:TGID_Y_EN: 0
; COMPUTE_PGM_RSRC2:TGID_Z_EN: 0
; COMPUTE_PGM_RSRC2:TIDIG_COMP_CNT: 0
	.section	.text._ZN2at6native12_GLOBAL__N_125multi_tensor_apply_kernelINS1_18TensorListMetadataILi2EEENS1_11CopyFunctorIN3c108BFloat16ElLi2ELi1ELi1EEEJNS0_4CopyIS7_lEEEEEvT_T0_DpT1_,"axG",@progbits,_ZN2at6native12_GLOBAL__N_125multi_tensor_apply_kernelINS1_18TensorListMetadataILi2EEENS1_11CopyFunctorIN3c108BFloat16ElLi2ELi1ELi1EEEJNS0_4CopyIS7_lEEEEEvT_T0_DpT1_,comdat
	.globl	_ZN2at6native12_GLOBAL__N_125multi_tensor_apply_kernelINS1_18TensorListMetadataILi2EEENS1_11CopyFunctorIN3c108BFloat16ElLi2ELi1ELi1EEEJNS0_4CopyIS7_lEEEEEvT_T0_DpT1_ ; -- Begin function _ZN2at6native12_GLOBAL__N_125multi_tensor_apply_kernelINS1_18TensorListMetadataILi2EEENS1_11CopyFunctorIN3c108BFloat16ElLi2ELi1ELi1EEEJNS0_4CopyIS7_lEEEEEvT_T0_DpT1_
	.p2align	8
	.type	_ZN2at6native12_GLOBAL__N_125multi_tensor_apply_kernelINS1_18TensorListMetadataILi2EEENS1_11CopyFunctorIN3c108BFloat16ElLi2ELi1ELi1EEEJNS0_4CopyIS7_lEEEEEvT_T0_DpT1_,@function
_ZN2at6native12_GLOBAL__N_125multi_tensor_apply_kernelINS1_18TensorListMetadataILi2EEENS1_11CopyFunctorIN3c108BFloat16ElLi2ELi1ELi1EEEJNS0_4CopyIS7_lEEEEEvT_T0_DpT1_: ; @_ZN2at6native12_GLOBAL__N_125multi_tensor_apply_kernelINS1_18TensorListMetadataILi2EEENS1_11CopyFunctorIN3c108BFloat16ElLi2ELi1ELi1EEEJNS0_4CopyIS7_lEEEEEvT_T0_DpT1_
; %bb.0:
	v_mov_b32_e32 v1, s15
	s_add_u32 s2, s0, s15
	s_mul_hi_u32 s3, s15, 3
	s_mul_i32 s15, s15, 3
	s_addc_u32 s4, s1, 0
	global_load_u8 v1, v1, s[0:1] offset:1536
	s_add_u32 s2, s2, s15
	s_addc_u32 s3, s4, s3
	s_mov_b32 s15, 0
	s_load_b32 s8, s[2:3], 0x740
	s_waitcnt lgkmcnt(0)
	s_ashr_i32 s9, s8, 31
	s_delay_alu instid0(SALU_CYCLE_1) | instskip(SKIP_3) | instid1(VALU_DEP_1)
	s_lshl_b64 s[10:11], s[8:9], 19
	s_lshl_b64 s[16:17], s[8:9], 16
	s_waitcnt vmcnt(0)
	v_readfirstlane_b32 s5, v1
	s_lshl_b32 s4, s5, 3
	s_clause 0x2
	s_load_b64 s[2:3], s[0:1], s4 offset:0x0
	s_load_b64 s[6:7], s[0:1], s4 offset:0x200
	;; [unrolled: 1-line block ×3, first 2 shown]
	s_waitcnt lgkmcnt(0)
	s_add_u32 s12, s2, s10
	s_addc_u32 s13, s3, s11
	s_and_b32 s18, s6, 7
	s_and_b32 s19, s4, 3
	;; [unrolled: 1-line block ×3, first 2 shown]
	s_or_b32 s18, s19, s18
	s_mov_b32 s19, s15
	s_delay_alu instid0(SALU_CYCLE_1)
	s_or_b64 s[14:15], s[14:15], s[18:19]
	s_sub_u32 s4, s4, s16
	s_subb_u32 s5, s5, s17
	s_cmp_eq_u64 s[14:15], 0
	s_mov_b32 s14, -1
	s_cbranch_scc0 .LBB318_5
; %bb.1:
	v_dual_mov_b32 v2, 0 :: v_dual_lshlrev_b32 v1, 2, v0
	s_mov_b32 s14, exec_lo
	s_delay_alu instid0(VALU_DEP_1)
	v_cmpx_gt_i64_e64 s[4:5], v[1:2]
	s_cbranch_execz .LBB318_4
; %bb.2:
	s_load_b32 s15, s[0:1], 0xc5c
	v_lshlrev_b32_e32 v3, 5, v0
	v_lshlrev_b32_e32 v5, 3, v0
	s_waitcnt lgkmcnt(0)
	s_and_b32 s16, s15, 0xffff
	s_delay_alu instid0(SALU_CYCLE_1)
	s_lshl_b32 s15, s16, 2
	s_add_u32 s17, s2, s10
	s_addc_u32 s11, s3, s11
	v_add_co_u32 v3, s17, s17, v3
	s_lshl_b64 s[2:3], s[8:9], 17
	s_lshl_b32 s10, s16, 5
	v_add_co_ci_u32_e64 v4, null, s11, 0, s17
	s_add_u32 s2, s6, s2
	s_addc_u32 s3, s7, s3
	v_add_co_u32 v3, vcc_lo, v3, 16
	v_add_co_u32 v5, s2, s2, v5
	v_add_lshl_u32 v1, v0, s16, 2
	v_add_co_ci_u32_e32 v4, vcc_lo, 0, v4, vcc_lo
	v_add_co_ci_u32_e64 v6, null, s3, 0, s2
	s_mov_b32 s11, 0
	s_lshl_b32 s16, s16, 3
.LBB318_3:                              ; =>This Inner Loop Header: Depth=1
	s_clause 0x1
	global_load_b128 v[7:10], v[3:4], off offset:-16
	global_load_b128 v[11:14], v[3:4], off
	v_cmp_le_i64_e32 vcc_lo, s[4:5], v[1:2]
	v_cmp_lt_u64_e64 s2, 0xffff, v[1:2]
	v_add_co_u32 v1, s3, v1, s15
	s_delay_alu instid0(VALU_DEP_1) | instskip(SKIP_1) | instid1(VALU_DEP_4)
	v_add_co_ci_u32_e64 v2, s3, 0, v2, s3
	v_add_co_u32 v3, s3, v3, s10
	s_or_b32 s2, vcc_lo, s2
	v_add_co_ci_u32_e64 v4, s3, 0, v4, s3
	s_and_b32 s2, exec_lo, s2
	s_delay_alu instid0(SALU_CYCLE_1)
	s_or_b32 s11, s2, s11
	s_waitcnt vmcnt(1)
	v_xor_b32_e32 v16, v7, v8
	s_waitcnt vmcnt(0)
	v_xor_b32_e32 v20, v11, v12
	v_xor_b32_e32 v22, v13, v14
	v_cls_i32_e32 v15, v8
	v_xor_b32_e32 v18, v9, v10
	v_cls_i32_e32 v19, v12
	v_cls_i32_e32 v21, v14
	v_ashrrev_i32_e32 v16, 31, v16
	v_ashrrev_i32_e32 v20, 31, v20
	;; [unrolled: 1-line block ×3, first 2 shown]
	v_cls_i32_e32 v17, v10
	v_add_nc_u32_e32 v15, -1, v15
	v_ashrrev_i32_e32 v18, 31, v18
	v_add_nc_u32_e32 v19, -1, v19
	v_add_nc_u32_e32 v21, -1, v21
	v_add_nc_u32_e32 v16, 32, v16
	v_add_nc_u32_e32 v20, 32, v20
	;; [unrolled: 1-line block ×3, first 2 shown]
	v_add_nc_u32_e32 v17, -1, v17
	v_add_nc_u32_e32 v18, 32, v18
	v_min_u32_e32 v15, v15, v16
	v_min_u32_e32 v16, v19, v20
	;; [unrolled: 1-line block ×3, first 2 shown]
	s_delay_alu instid0(VALU_DEP_4) | instskip(NEXT) | instid1(VALU_DEP_4)
	v_min_u32_e32 v17, v17, v18
	v_lshlrev_b64 v[7:8], v15, v[7:8]
	s_delay_alu instid0(VALU_DEP_4) | instskip(NEXT) | instid1(VALU_DEP_4)
	v_lshlrev_b64 v[11:12], v16, v[11:12]
	v_lshlrev_b64 v[13:14], v19, v[13:14]
	v_sub_nc_u32_e32 v15, 32, v15
	v_lshlrev_b64 v[9:10], v17, v[9:10]
	v_sub_nc_u32_e32 v16, 32, v16
	v_min_u32_e32 v7, 1, v7
	v_min_u32_e32 v11, 1, v11
	;; [unrolled: 1-line block ×3, first 2 shown]
	v_sub_nc_u32_e32 v18, 32, v19
	v_min_u32_e32 v9, 1, v9
	v_or_b32_e32 v7, v8, v7
	v_or_b32_e32 v11, v12, v11
	;; [unrolled: 1-line block ×3, first 2 shown]
	v_sub_nc_u32_e32 v17, 32, v17
	v_or_b32_e32 v8, v10, v9
	v_cvt_f32_i32_e32 v7, v7
	v_cvt_f32_i32_e32 v9, v11
	;; [unrolled: 1-line block ×3, first 2 shown]
	s_delay_alu instid0(VALU_DEP_4) | instskip(NEXT) | instid1(VALU_DEP_4)
	v_cvt_f32_i32_e32 v8, v8
	v_ldexp_f32 v7, v7, v15
	s_delay_alu instid0(VALU_DEP_4) | instskip(NEXT) | instid1(VALU_DEP_4)
	v_ldexp_f32 v9, v9, v16
	v_ldexp_f32 v10, v10, v18
	s_delay_alu instid0(VALU_DEP_4) | instskip(NEXT) | instid1(VALU_DEP_4)
	v_ldexp_f32 v8, v8, v17
	v_bfe_u32 v13, v7, 16, 1
	s_delay_alu instid0(VALU_DEP_4) | instskip(NEXT) | instid1(VALU_DEP_4)
	v_bfe_u32 v11, v9, 16, 1
	v_bfe_u32 v12, v10, 16, 1
	s_delay_alu instid0(VALU_DEP_4) | instskip(NEXT) | instid1(VALU_DEP_4)
	v_bfe_u32 v14, v8, 16, 1
	v_add3_u32 v7, v7, v13, 0x7fff
	s_delay_alu instid0(VALU_DEP_4) | instskip(NEXT) | instid1(VALU_DEP_4)
	v_add3_u32 v9, v9, v11, 0x7fff
	v_add3_u32 v10, v10, v12, 0x7fff
	s_delay_alu instid0(VALU_DEP_4) | instskip(NEXT) | instid1(VALU_DEP_4)
	v_add3_u32 v11, v8, v14, 0x7fff
	v_lshrrev_b32_e32 v7, 16, v7
	s_delay_alu instid0(VALU_DEP_4) | instskip(NEXT) | instid1(VALU_DEP_4)
	v_lshrrev_b32_e32 v8, 16, v9
	v_and_b32_e32 v9, 0xffff0000, v10
	s_delay_alu instid0(VALU_DEP_3) | instskip(NEXT) | instid1(VALU_DEP_2)
	v_and_or_b32 v7, 0xffff0000, v11, v7
	v_or_b32_e32 v8, v9, v8
	global_store_b64 v[5:6], v[7:8], off
	v_add_co_u32 v5, vcc_lo, v5, s16
	v_add_co_ci_u32_e32 v6, vcc_lo, 0, v6, vcc_lo
	s_and_not1_b32 exec_lo, exec_lo, s11
	s_cbranch_execnz .LBB318_3
.LBB318_4:
	s_or_b32 exec_lo, exec_lo, s14
	s_mov_b32 s14, 0
.LBB318_5:
	s_delay_alu instid0(SALU_CYCLE_1)
	s_and_not1_b32 vcc_lo, exec_lo, s14
	s_cbranch_vccnz .LBB318_25
; %bb.6:
	v_cmp_lt_i64_e64 s2, s[4:5], 1
	s_delay_alu instid0(VALU_DEP_1)
	s_and_b32 vcc_lo, exec_lo, s2
	s_cbranch_vccnz .LBB318_25
; %bb.7:
	s_load_b32 s0, s[0:1], 0xc5c
	v_cmp_gt_u64_e64 s1, 0x10000, s[4:5]
	v_dual_mov_b32 v2, 0 :: v_dual_lshlrev_b32 v5, 1, v0
	v_lshlrev_b32_e32 v1, 3, v0
                                        ; implicit-def: $vgpr9_vgpr10
                                        ; implicit-def: $vgpr11_vgpr12
                                        ; implicit-def: $vgpr13_vgpr14
                                        ; implicit-def: $vgpr15_vgpr16
	s_waitcnt lgkmcnt(0)
	s_and_b32 s0, s0, 0xffff
	s_delay_alu instid0(VALU_DEP_3)
	s_and_b32 s1, s1, exec_lo
	s_cselect_b32 s3, s5, 0
	s_cselect_b32 s2, s4, 0x10000
	s_lshl_b64 s[8:9], s[8:9], 17
	s_lshl_b32 s11, s0, 1
	s_lshl_b32 s1, s0, 2
	;; [unrolled: 1-line block ×3, first 2 shown]
	s_add_u32 s6, s6, s8
	s_addc_u32 s7, s7, s9
	v_add_co_u32 v5, s9, s6, v5
	s_delay_alu instid0(VALU_DEP_1) | instskip(SKIP_4) | instid1(VALU_DEP_3)
	v_add_co_ci_u32_e64 v6, null, s7, 0, s9
	v_add_co_u32 v26, s9, v0, s0
	s_mul_i32 s14, s0, 3
	v_mad_u64_u32 v[3:4], null, s0, 24, v[1:2]
	v_add_co_u32 v2, s8, s14, v0
	v_lshlrev_b32_e32 v7, 1, v26
	v_add_co_ci_u32_e64 v25, null, 0, 0, s8
	s_lshl_b32 s8, s0, 4
	v_add_co_ci_u32_e64 v29, null, 0, 0, s9
	v_add_co_u32 v27, s8, s8, v1
	s_delay_alu instid0(VALU_DEP_1)
	v_add_co_ci_u32_e64 v28, null, 0, 0, s8
	v_add_co_u32 v30, s8, s11, v0
	v_add_co_u32 v7, s6, s6, v7
	v_add_co_ci_u32_e64 v31, null, 0, 0, s8
	v_lshlrev_b32_e32 v32, 3, v26
	v_add_co_ci_u32_e64 v8, null, s7, 0, s6
	s_lshl_b32 s8, s0, 3
	s_mul_i32 s9, s0, 6
	s_mov_b64 s[6:7], 0
	s_branch .LBB318_9
.LBB318_8:                              ;   in Loop: Header=BB318_9 Depth=1
	s_or_b32 exec_lo, exec_lo, s0
	s_add_u32 s6, s6, s1
	s_addc_u32 s7, s7, 0
	v_add_co_u32 v5, vcc_lo, v5, s8
	v_cmp_ge_i64_e64 s0, s[6:7], s[4:5]
	v_cmp_lt_u64_e64 s11, 0xffff, s[6:7]
	v_add_co_ci_u32_e32 v6, vcc_lo, 0, v6, vcc_lo
	v_add_co_u32 v7, vcc_lo, v7, s8
	v_add_co_ci_u32_e32 v8, vcc_lo, 0, v8, vcc_lo
	s_delay_alu instid0(VALU_DEP_4)
	s_or_b32 s0, s0, s11
	s_add_u32 s12, s12, s10
	s_addc_u32 s13, s13, 0
	s_and_b32 vcc_lo, exec_lo, s0
	s_cbranch_vccnz .LBB318_25
.LBB318_9:                              ; =>This Inner Loop Header: Depth=1
	v_add_co_u32 v23, s0, v0, s6
	s_delay_alu instid0(VALU_DEP_1) | instskip(NEXT) | instid1(VALU_DEP_1)
	v_add_co_ci_u32_e64 v24, null, 0, s7, s0
	v_cmp_gt_i64_e32 vcc_lo, s[4:5], v[23:24]
	v_cmp_gt_u64_e64 s0, 0x10000, v[23:24]
	s_delay_alu instid0(VALU_DEP_1) | instskip(NEXT) | instid1(SALU_CYCLE_1)
	s_and_b32 s11, vcc_lo, s0
	s_and_saveexec_b32 s0, s11
	s_cbranch_execz .LBB318_11
; %bb.10:                               ;   in Loop: Header=BB318_9 Depth=1
	s_waitcnt vmcnt(0)
	v_add_co_u32 v15, s11, s12, v1
	s_delay_alu instid0(VALU_DEP_1)
	v_add_co_ci_u32_e64 v16, null, s13, 0, s11
	global_load_b64 v[15:16], v[15:16], off
.LBB318_11:                             ;   in Loop: Header=BB318_9 Depth=1
	s_or_b32 exec_lo, exec_lo, s0
	v_add_co_u32 v21, vcc_lo, v26, s6
	v_add_co_ci_u32_e32 v22, vcc_lo, s7, v29, vcc_lo
	s_delay_alu instid0(VALU_DEP_1) | instskip(SKIP_1) | instid1(VALU_DEP_1)
	v_cmp_gt_i64_e32 vcc_lo, s[4:5], v[21:22]
	v_cmp_gt_u64_e64 s0, 0x10000, v[21:22]
	s_and_b32 s11, vcc_lo, s0
	s_delay_alu instid0(SALU_CYCLE_1)
	s_and_saveexec_b32 s0, s11
	s_cbranch_execz .LBB318_13
; %bb.12:                               ;   in Loop: Header=BB318_9 Depth=1
	s_waitcnt vmcnt(0)
	v_add_co_u32 v13, s11, s12, v32
	s_delay_alu instid0(VALU_DEP_1)
	v_add_co_ci_u32_e64 v14, null, s13, 0, s11
	global_load_b64 v[13:14], v[13:14], off
.LBB318_13:                             ;   in Loop: Header=BB318_9 Depth=1
	s_or_b32 exec_lo, exec_lo, s0
	v_add_co_u32 v19, vcc_lo, v30, s6
	v_add_co_ci_u32_e32 v20, vcc_lo, s7, v31, vcc_lo
	s_delay_alu instid0(VALU_DEP_1) | instskip(SKIP_1) | instid1(VALU_DEP_1)
	v_cmp_gt_i64_e32 vcc_lo, s[4:5], v[19:20]
	v_cmp_gt_u64_e64 s0, 0x10000, v[19:20]
	s_and_b32 s11, vcc_lo, s0
	s_delay_alu instid0(SALU_CYCLE_1)
	s_and_saveexec_b32 s0, s11
	s_cbranch_execz .LBB318_15
; %bb.14:                               ;   in Loop: Header=BB318_9 Depth=1
	s_waitcnt vmcnt(0)
	v_add_co_u32 v11, vcc_lo, s12, v27
	v_add_co_ci_u32_e32 v12, vcc_lo, s13, v28, vcc_lo
	global_load_b64 v[11:12], v[11:12], off
.LBB318_15:                             ;   in Loop: Header=BB318_9 Depth=1
	s_or_b32 exec_lo, exec_lo, s0
	v_add_co_u32 v17, vcc_lo, v2, s6
	v_add_co_ci_u32_e32 v18, vcc_lo, s7, v25, vcc_lo
	s_delay_alu instid0(VALU_DEP_1) | instskip(SKIP_1) | instid1(VALU_DEP_1)
	v_cmp_gt_i64_e32 vcc_lo, s[4:5], v[17:18]
	v_cmp_gt_u64_e64 s0, 0x10000, v[17:18]
	s_and_b32 s11, vcc_lo, s0
	s_delay_alu instid0(SALU_CYCLE_1)
	s_and_saveexec_b32 s0, s11
	s_cbranch_execnz .LBB318_20
; %bb.16:                               ;   in Loop: Header=BB318_9 Depth=1
	s_or_b32 exec_lo, exec_lo, s0
	s_delay_alu instid0(SALU_CYCLE_1)
	s_mov_b32 s0, exec_lo
	v_cmpx_gt_u64_e64 s[2:3], v[23:24]
	s_cbranch_execnz .LBB318_21
.LBB318_17:                             ;   in Loop: Header=BB318_9 Depth=1
	s_or_b32 exec_lo, exec_lo, s0
	s_delay_alu instid0(SALU_CYCLE_1)
	s_mov_b32 s0, exec_lo
	v_cmpx_gt_u64_e64 s[2:3], v[21:22]
	s_cbranch_execnz .LBB318_22
.LBB318_18:                             ;   in Loop: Header=BB318_9 Depth=1
	s_or_b32 exec_lo, exec_lo, s0
	s_delay_alu instid0(SALU_CYCLE_1)
	s_mov_b32 s0, exec_lo
	v_cmpx_gt_u64_e64 s[2:3], v[19:20]
	s_cbranch_execnz .LBB318_23
.LBB318_19:                             ;   in Loop: Header=BB318_9 Depth=1
	s_or_b32 exec_lo, exec_lo, s0
	s_delay_alu instid0(SALU_CYCLE_1)
	s_mov_b32 s0, exec_lo
	v_cmpx_gt_u64_e64 s[2:3], v[17:18]
	s_cbranch_execz .LBB318_8
	s_branch .LBB318_24
.LBB318_20:                             ;   in Loop: Header=BB318_9 Depth=1
	s_waitcnt vmcnt(0)
	v_add_co_u32 v9, vcc_lo, s12, v3
	v_add_co_ci_u32_e32 v10, vcc_lo, s13, v4, vcc_lo
	global_load_b64 v[9:10], v[9:10], off
	s_or_b32 exec_lo, exec_lo, s0
	s_delay_alu instid0(SALU_CYCLE_1)
	s_mov_b32 s0, exec_lo
	v_cmpx_gt_u64_e64 s[2:3], v[23:24]
	s_cbranch_execz .LBB318_17
.LBB318_21:                             ;   in Loop: Header=BB318_9 Depth=1
	s_waitcnt vmcnt(0)
	v_xor_b32_e32 v23, v15, v16
	v_cls_i32_e32 v24, v16
	s_delay_alu instid0(VALU_DEP_2) | instskip(NEXT) | instid1(VALU_DEP_2)
	v_ashrrev_i32_e32 v23, 31, v23
	v_add_nc_u32_e32 v24, -1, v24
	s_delay_alu instid0(VALU_DEP_2) | instskip(NEXT) | instid1(VALU_DEP_1)
	v_add_nc_u32_e32 v23, 32, v23
	v_min_u32_e32 v33, v24, v23
	s_delay_alu instid0(VALU_DEP_1) | instskip(NEXT) | instid1(VALU_DEP_1)
	v_lshlrev_b64 v[23:24], v33, v[15:16]
	v_min_u32_e32 v23, 1, v23
	s_delay_alu instid0(VALU_DEP_1) | instskip(SKIP_1) | instid1(VALU_DEP_2)
	v_or_b32_e32 v23, v24, v23
	v_sub_nc_u32_e32 v24, 32, v33
	v_cvt_f32_i32_e32 v23, v23
	s_delay_alu instid0(VALU_DEP_1) | instskip(NEXT) | instid1(VALU_DEP_1)
	v_ldexp_f32 v23, v23, v24
	v_bfe_u32 v24, v23, 16, 1
	s_delay_alu instid0(VALU_DEP_1) | instskip(SKIP_2) | instid1(SALU_CYCLE_1)
	v_add3_u32 v23, v23, v24, 0x7fff
	global_store_d16_hi_b16 v[5:6], v23, off
	s_or_b32 exec_lo, exec_lo, s0
	s_mov_b32 s0, exec_lo
	v_cmpx_gt_u64_e64 s[2:3], v[21:22]
	s_cbranch_execz .LBB318_18
.LBB318_22:                             ;   in Loop: Header=BB318_9 Depth=1
	s_waitcnt vmcnt(0)
	v_xor_b32_e32 v21, v13, v14
	v_cls_i32_e32 v22, v14
	s_delay_alu instid0(VALU_DEP_2) | instskip(NEXT) | instid1(VALU_DEP_2)
	v_ashrrev_i32_e32 v21, 31, v21
	v_add_nc_u32_e32 v22, -1, v22
	s_delay_alu instid0(VALU_DEP_2) | instskip(NEXT) | instid1(VALU_DEP_1)
	v_add_nc_u32_e32 v21, 32, v21
	v_min_u32_e32 v23, v22, v21
	s_delay_alu instid0(VALU_DEP_1) | instskip(NEXT) | instid1(VALU_DEP_1)
	v_lshlrev_b64 v[21:22], v23, v[13:14]
	v_min_u32_e32 v21, 1, v21
	s_delay_alu instid0(VALU_DEP_1) | instskip(SKIP_1) | instid1(VALU_DEP_2)
	v_or_b32_e32 v21, v22, v21
	v_sub_nc_u32_e32 v22, 32, v23
	v_cvt_f32_i32_e32 v21, v21
	s_delay_alu instid0(VALU_DEP_1) | instskip(NEXT) | instid1(VALU_DEP_1)
	v_ldexp_f32 v21, v21, v22
	v_bfe_u32 v22, v21, 16, 1
	s_delay_alu instid0(VALU_DEP_1) | instskip(SKIP_2) | instid1(SALU_CYCLE_1)
	v_add3_u32 v21, v21, v22, 0x7fff
	global_store_d16_hi_b16 v[7:8], v21, off
	s_or_b32 exec_lo, exec_lo, s0
	s_mov_b32 s0, exec_lo
	v_cmpx_gt_u64_e64 s[2:3], v[19:20]
	s_cbranch_execz .LBB318_19
.LBB318_23:                             ;   in Loop: Header=BB318_9 Depth=1
	s_waitcnt vmcnt(0)
	v_xor_b32_e32 v19, v11, v12
	v_cls_i32_e32 v20, v12
	s_delay_alu instid0(VALU_DEP_2) | instskip(NEXT) | instid1(VALU_DEP_2)
	v_ashrrev_i32_e32 v19, 31, v19
	v_add_nc_u32_e32 v20, -1, v20
	s_delay_alu instid0(VALU_DEP_2) | instskip(NEXT) | instid1(VALU_DEP_1)
	v_add_nc_u32_e32 v19, 32, v19
	v_min_u32_e32 v21, v20, v19
	s_delay_alu instid0(VALU_DEP_1) | instskip(NEXT) | instid1(VALU_DEP_1)
	v_lshlrev_b64 v[19:20], v21, v[11:12]
	v_min_u32_e32 v19, 1, v19
	s_delay_alu instid0(VALU_DEP_1) | instskip(SKIP_1) | instid1(VALU_DEP_2)
	v_or_b32_e32 v19, v20, v19
	v_sub_nc_u32_e32 v20, 32, v21
	v_cvt_f32_i32_e32 v19, v19
	s_delay_alu instid0(VALU_DEP_1) | instskip(NEXT) | instid1(VALU_DEP_1)
	v_ldexp_f32 v19, v19, v20
	v_bfe_u32 v20, v19, 16, 1
	s_delay_alu instid0(VALU_DEP_1) | instskip(SKIP_4) | instid1(SALU_CYCLE_1)
	v_add3_u32 v21, v19, v20, 0x7fff
	v_add_co_u32 v19, vcc_lo, v5, s1
	v_add_co_ci_u32_e32 v20, vcc_lo, 0, v6, vcc_lo
	global_store_d16_hi_b16 v[19:20], v21, off
	s_or_b32 exec_lo, exec_lo, s0
	s_mov_b32 s0, exec_lo
	v_cmpx_gt_u64_e64 s[2:3], v[17:18]
	s_cbranch_execz .LBB318_8
.LBB318_24:                             ;   in Loop: Header=BB318_9 Depth=1
	s_waitcnt vmcnt(0)
	v_xor_b32_e32 v17, v9, v10
	v_cls_i32_e32 v18, v10
	s_delay_alu instid0(VALU_DEP_2) | instskip(NEXT) | instid1(VALU_DEP_2)
	v_ashrrev_i32_e32 v17, 31, v17
	v_add_nc_u32_e32 v18, -1, v18
	s_delay_alu instid0(VALU_DEP_2) | instskip(NEXT) | instid1(VALU_DEP_1)
	v_add_nc_u32_e32 v17, 32, v17
	v_min_u32_e32 v19, v18, v17
	s_delay_alu instid0(VALU_DEP_1) | instskip(NEXT) | instid1(VALU_DEP_1)
	v_lshlrev_b64 v[17:18], v19, v[9:10]
	v_min_u32_e32 v17, 1, v17
	s_delay_alu instid0(VALU_DEP_1) | instskip(SKIP_1) | instid1(VALU_DEP_2)
	v_or_b32_e32 v17, v18, v17
	v_sub_nc_u32_e32 v18, 32, v19
	v_cvt_f32_i32_e32 v17, v17
	s_delay_alu instid0(VALU_DEP_1) | instskip(NEXT) | instid1(VALU_DEP_1)
	v_ldexp_f32 v17, v17, v18
	v_bfe_u32 v18, v17, 16, 1
	s_delay_alu instid0(VALU_DEP_1)
	v_add3_u32 v19, v17, v18, 0x7fff
	v_add_co_u32 v17, vcc_lo, v5, s9
	v_add_co_ci_u32_e32 v18, vcc_lo, 0, v6, vcc_lo
	global_store_d16_hi_b16 v[17:18], v19, off
	s_branch .LBB318_8
.LBB318_25:
	s_nop 0
	s_sendmsg sendmsg(MSG_DEALLOC_VGPRS)
	s_endpgm
	.section	.rodata,"a",@progbits
	.p2align	6, 0x0
	.amdhsa_kernel _ZN2at6native12_GLOBAL__N_125multi_tensor_apply_kernelINS1_18TensorListMetadataILi2EEENS1_11CopyFunctorIN3c108BFloat16ElLi2ELi1ELi1EEEJNS0_4CopyIS7_lEEEEEvT_T0_DpT1_
		.amdhsa_group_segment_fixed_size 0
		.amdhsa_private_segment_fixed_size 0
		.amdhsa_kernarg_size 3408
		.amdhsa_user_sgpr_count 15
		.amdhsa_user_sgpr_dispatch_ptr 0
		.amdhsa_user_sgpr_queue_ptr 0
		.amdhsa_user_sgpr_kernarg_segment_ptr 1
		.amdhsa_user_sgpr_dispatch_id 0
		.amdhsa_user_sgpr_private_segment_size 0
		.amdhsa_wavefront_size32 1
		.amdhsa_uses_dynamic_stack 0
		.amdhsa_enable_private_segment 0
		.amdhsa_system_sgpr_workgroup_id_x 1
		.amdhsa_system_sgpr_workgroup_id_y 0
		.amdhsa_system_sgpr_workgroup_id_z 0
		.amdhsa_system_sgpr_workgroup_info 0
		.amdhsa_system_vgpr_workitem_id 0
		.amdhsa_next_free_vgpr 34
		.amdhsa_next_free_sgpr 20
		.amdhsa_reserve_vcc 1
		.amdhsa_float_round_mode_32 0
		.amdhsa_float_round_mode_16_64 0
		.amdhsa_float_denorm_mode_32 3
		.amdhsa_float_denorm_mode_16_64 3
		.amdhsa_dx10_clamp 1
		.amdhsa_ieee_mode 1
		.amdhsa_fp16_overflow 0
		.amdhsa_workgroup_processor_mode 1
		.amdhsa_memory_ordered 1
		.amdhsa_forward_progress 0
		.amdhsa_shared_vgpr_count 0
		.amdhsa_exception_fp_ieee_invalid_op 0
		.amdhsa_exception_fp_denorm_src 0
		.amdhsa_exception_fp_ieee_div_zero 0
		.amdhsa_exception_fp_ieee_overflow 0
		.amdhsa_exception_fp_ieee_underflow 0
		.amdhsa_exception_fp_ieee_inexact 0
		.amdhsa_exception_int_div_zero 0
	.end_amdhsa_kernel
	.section	.text._ZN2at6native12_GLOBAL__N_125multi_tensor_apply_kernelINS1_18TensorListMetadataILi2EEENS1_11CopyFunctorIN3c108BFloat16ElLi2ELi1ELi1EEEJNS0_4CopyIS7_lEEEEEvT_T0_DpT1_,"axG",@progbits,_ZN2at6native12_GLOBAL__N_125multi_tensor_apply_kernelINS1_18TensorListMetadataILi2EEENS1_11CopyFunctorIN3c108BFloat16ElLi2ELi1ELi1EEEJNS0_4CopyIS7_lEEEEEvT_T0_DpT1_,comdat
.Lfunc_end318:
	.size	_ZN2at6native12_GLOBAL__N_125multi_tensor_apply_kernelINS1_18TensorListMetadataILi2EEENS1_11CopyFunctorIN3c108BFloat16ElLi2ELi1ELi1EEEJNS0_4CopyIS7_lEEEEEvT_T0_DpT1_, .Lfunc_end318-_ZN2at6native12_GLOBAL__N_125multi_tensor_apply_kernelINS1_18TensorListMetadataILi2EEENS1_11CopyFunctorIN3c108BFloat16ElLi2ELi1ELi1EEEJNS0_4CopyIS7_lEEEEEvT_T0_DpT1_
                                        ; -- End function
	.section	.AMDGPU.csdata,"",@progbits
; Kernel info:
; codeLenInByte = 2164
; NumSgprs: 22
; NumVgprs: 34
; ScratchSize: 0
; MemoryBound: 0
; FloatMode: 240
; IeeeMode: 1
; LDSByteSize: 0 bytes/workgroup (compile time only)
; SGPRBlocks: 2
; VGPRBlocks: 4
; NumSGPRsForWavesPerEU: 22
; NumVGPRsForWavesPerEU: 34
; Occupancy: 16
; WaveLimiterHint : 0
; COMPUTE_PGM_RSRC2:SCRATCH_EN: 0
; COMPUTE_PGM_RSRC2:USER_SGPR: 15
; COMPUTE_PGM_RSRC2:TRAP_HANDLER: 0
; COMPUTE_PGM_RSRC2:TGID_X_EN: 1
; COMPUTE_PGM_RSRC2:TGID_Y_EN: 0
; COMPUTE_PGM_RSRC2:TGID_Z_EN: 0
; COMPUTE_PGM_RSRC2:TIDIG_COMP_CNT: 0
	.section	.text._ZN2at6native12_GLOBAL__N_125multi_tensor_apply_kernelINS1_18TensorListMetadataILi2EEENS1_11CopyFunctorIN3c108BFloat16EsLi2ELi1ELi1EEEJNS0_4CopyIS7_sEEEEEvT_T0_DpT1_,"axG",@progbits,_ZN2at6native12_GLOBAL__N_125multi_tensor_apply_kernelINS1_18TensorListMetadataILi2EEENS1_11CopyFunctorIN3c108BFloat16EsLi2ELi1ELi1EEEJNS0_4CopyIS7_sEEEEEvT_T0_DpT1_,comdat
	.globl	_ZN2at6native12_GLOBAL__N_125multi_tensor_apply_kernelINS1_18TensorListMetadataILi2EEENS1_11CopyFunctorIN3c108BFloat16EsLi2ELi1ELi1EEEJNS0_4CopyIS7_sEEEEEvT_T0_DpT1_ ; -- Begin function _ZN2at6native12_GLOBAL__N_125multi_tensor_apply_kernelINS1_18TensorListMetadataILi2EEENS1_11CopyFunctorIN3c108BFloat16EsLi2ELi1ELi1EEEJNS0_4CopyIS7_sEEEEEvT_T0_DpT1_
	.p2align	8
	.type	_ZN2at6native12_GLOBAL__N_125multi_tensor_apply_kernelINS1_18TensorListMetadataILi2EEENS1_11CopyFunctorIN3c108BFloat16EsLi2ELi1ELi1EEEJNS0_4CopyIS7_sEEEEEvT_T0_DpT1_,@function
_ZN2at6native12_GLOBAL__N_125multi_tensor_apply_kernelINS1_18TensorListMetadataILi2EEENS1_11CopyFunctorIN3c108BFloat16EsLi2ELi1ELi1EEEJNS0_4CopyIS7_sEEEEEvT_T0_DpT1_: ; @_ZN2at6native12_GLOBAL__N_125multi_tensor_apply_kernelINS1_18TensorListMetadataILi2EEENS1_11CopyFunctorIN3c108BFloat16EsLi2ELi1ELi1EEEJNS0_4CopyIS7_sEEEEEvT_T0_DpT1_
; %bb.0:
	v_mov_b32_e32 v1, s15
	s_add_u32 s2, s0, s15
	s_mul_hi_u32 s3, s15, 3
	s_mul_i32 s15, s15, 3
	s_addc_u32 s4, s1, 0
	global_load_u8 v1, v1, s[0:1] offset:1536
	s_add_u32 s2, s2, s15
	s_addc_u32 s3, s4, s3
	s_load_b32 s8, s[2:3], 0x740
	s_waitcnt lgkmcnt(0)
	s_ashr_i32 s9, s8, 31
	s_waitcnt vmcnt(0)
	v_readfirstlane_b32 s4, v1
	s_delay_alu instid0(VALU_DEP_1)
	s_lshl_b32 s2, s4, 3
	s_lshl_b64 s[4:5], s[8:9], 16
	s_clause 0x2
	s_load_b64 s[10:11], s[0:1], s2 offset:0x200
	s_load_b64 s[12:13], s[0:1], s2 offset:0x0
	;; [unrolled: 1-line block ×3, first 2 shown]
	s_lshl_b32 s6, s4, 1
	s_waitcnt lgkmcnt(0)
	s_add_i32 s7, s10, s6
	s_add_i32 s6, s12, s6
	s_and_b32 s7, s7, 7
	s_and_b32 s14, s2, 3
	s_and_b32 s6, s6, 7
	s_or_b32 s14, s14, s7
	s_mov_b32 s7, 0
	s_or_b32 s6, s14, s6
	s_sub_u32 s4, s2, s4
	s_subb_u32 s5, s3, s5
	s_cmp_eq_u64 s[6:7], 0
	s_mov_b32 s2, -1
	s_cbranch_scc0 .LBB319_5
; %bb.1:
	v_dual_mov_b32 v2, 0 :: v_dual_lshlrev_b32 v1, 2, v0
	s_mov_b32 s6, exec_lo
	s_delay_alu instid0(VALU_DEP_1)
	v_cmpx_gt_i64_e64 s[4:5], v[1:2]
	s_cbranch_execz .LBB319_4
; %bb.2:
	s_load_b32 s7, s[0:1], 0xc5c
	s_lshl_b64 s[2:3], s[8:9], 17
	s_mov_b32 s14, 0
	v_lshl_or_b32 v3, v0, 3, s2
	v_mov_b32_e32 v4, s3
	s_waitcnt lgkmcnt(0)
	s_and_b32 s15, s7, 0xffff
	s_delay_alu instid0(SALU_CYCLE_1)
	v_add_lshl_u32 v1, v0, s15, 2
	s_lshl_b32 s7, s15, 3
	s_lshl_b32 s15, s15, 2
.LBB319_3:                              ; =>This Inner Loop Header: Depth=1
	v_add_co_u32 v5, vcc_lo, s12, v3
	v_add_co_ci_u32_e32 v6, vcc_lo, s13, v4, vcc_lo
	v_add_co_u32 v7, vcc_lo, s10, v3
	v_add_co_ci_u32_e32 v8, vcc_lo, s11, v4, vcc_lo
	global_load_b64 v[5:6], v[5:6], off
	v_cmp_le_i64_e32 vcc_lo, s[4:5], v[1:2]
	v_cmp_lt_u64_e64 s2, 0xffff, v[1:2]
	v_add_co_u32 v3, s3, v3, s7
	s_delay_alu instid0(VALU_DEP_1) | instskip(SKIP_1) | instid1(VALU_DEP_4)
	v_add_co_ci_u32_e64 v4, s3, 0, v4, s3
	v_add_co_u32 v1, s3, v1, s15
	s_or_b32 s2, vcc_lo, s2
	v_add_co_ci_u32_e64 v2, s3, 0, v2, s3
	s_and_b32 s2, exec_lo, s2
	s_delay_alu instid0(SALU_CYCLE_1)
	s_or_b32 s14, s2, s14
	s_waitcnt vmcnt(0)
	v_bfe_i32 v9, v5, 0, 16
	v_bfe_i32 v10, v6, 0, 16
	v_ashrrev_i32_e32 v6, 16, v6
	v_ashrrev_i32_e32 v5, 16, v5
	s_delay_alu instid0(VALU_DEP_4) | instskip(NEXT) | instid1(VALU_DEP_4)
	v_cvt_f32_i32_e32 v9, v9
	v_cvt_f32_i32_e32 v10, v10
	s_delay_alu instid0(VALU_DEP_4) | instskip(NEXT) | instid1(VALU_DEP_4)
	v_cvt_f32_i32_e32 v6, v6
	v_cvt_f32_i32_e32 v5, v5
	s_delay_alu instid0(VALU_DEP_4) | instskip(NEXT) | instid1(VALU_DEP_4)
	v_bfe_u32 v11, v9, 16, 1
	v_bfe_u32 v12, v10, 16, 1
	s_delay_alu instid0(VALU_DEP_4) | instskip(NEXT) | instid1(VALU_DEP_4)
	v_bfe_u32 v13, v6, 16, 1
	v_bfe_u32 v14, v5, 16, 1
	s_delay_alu instid0(VALU_DEP_4) | instskip(NEXT) | instid1(VALU_DEP_4)
	v_add3_u32 v9, v9, v11, 0x7fff
	v_add3_u32 v10, v10, v12, 0x7fff
	s_delay_alu instid0(VALU_DEP_4) | instskip(NEXT) | instid1(VALU_DEP_4)
	v_add3_u32 v6, v6, v13, 0x7fff
	v_add3_u32 v5, v5, v14, 0x7fff
	s_delay_alu instid0(VALU_DEP_4) | instskip(NEXT) | instid1(VALU_DEP_4)
	v_lshrrev_b32_e32 v9, 16, v9
	v_lshrrev_b32_e32 v10, 16, v10
	s_delay_alu instid0(VALU_DEP_4) | instskip(NEXT) | instid1(VALU_DEP_3)
	v_and_b32_e32 v6, 0xffff0000, v6
	v_and_or_b32 v5, 0xffff0000, v5, v9
	s_delay_alu instid0(VALU_DEP_2)
	v_or_b32_e32 v6, v6, v10
	global_store_b64 v[7:8], v[5:6], off
	s_and_not1_b32 exec_lo, exec_lo, s14
	s_cbranch_execnz .LBB319_3
.LBB319_4:
	s_or_b32 exec_lo, exec_lo, s6
	s_mov_b32 s2, 0
.LBB319_5:
	s_delay_alu instid0(SALU_CYCLE_1)
	s_and_not1_b32 vcc_lo, exec_lo, s2
	s_cbranch_vccnz .LBB319_25
; %bb.6:
	v_cmp_lt_i64_e64 s2, s[4:5], 1
	s_delay_alu instid0(VALU_DEP_1)
	s_and_b32 vcc_lo, exec_lo, s2
	s_cbranch_vccnz .LBB319_25
; %bb.7:
	s_load_b32 s0, s[0:1], 0xc5c
	v_dual_mov_b32 v1, 0 :: v_dual_lshlrev_b32 v2, 1, v0
	v_cmp_gt_u64_e64 s2, 0x10000, s[4:5]
	s_mov_b32 s3, 0
	s_delay_alu instid0(VALU_DEP_2) | instskip(NEXT) | instid1(VALU_DEP_3)
	v_mov_b32_e32 v3, v1
	v_add_co_u32 v10, s1, s12, v2
	s_delay_alu instid0(VALU_DEP_1) | instskip(SKIP_1) | instid1(VALU_DEP_1)
	v_add_co_ci_u32_e64 v11, null, s13, 0, s1
	v_add_co_u32 v12, s1, s10, v2
	v_add_co_ci_u32_e64 v13, null, s11, 0, s1
	s_waitcnt lgkmcnt(0)
	s_and_b32 s1, s0, 0xffff
	s_and_b32 s0, s2, exec_lo
	v_mad_u64_u32 v[4:5], null, s1, 6, v[2:3]
	s_cselect_b32 s7, s5, 0
	s_cselect_b32 s6, s4, 0x10000
	s_lshl_b32 s2, s1, 2
	s_lshl_b32 s14, s1, 1
	v_add_co_u32 v2, s0, s2, v2
	s_delay_alu instid0(VALU_DEP_2) | instskip(NEXT) | instid1(VALU_DEP_3)
	v_add_co_u32 v14, vcc_lo, s12, v4
	v_add_co_ci_u32_e32 v15, vcc_lo, s13, v5, vcc_lo
	v_add_co_u32 v16, vcc_lo, s10, v4
	v_add_lshl_u32 v4, v0, s1, 1
	v_add_co_ci_u32_e64 v3, null, 0, 0, s0
	v_add_co_ci_u32_e32 v17, vcc_lo, s11, v5, vcc_lo
	v_add_co_u32 v18, vcc_lo, s12, v2
	s_delay_alu instid0(VALU_DEP_4) | instskip(NEXT) | instid1(VALU_DEP_4)
	v_add_co_u32 v22, s0, s12, v4
	v_add_co_ci_u32_e32 v19, vcc_lo, s13, v3, vcc_lo
	v_add_co_u32 v20, vcc_lo, s10, v2
	v_add_co_ci_u32_e64 v23, null, s13, 0, s0
	v_add_co_u32 v24, s0, s10, v4
	v_add_co_ci_u32_e32 v21, vcc_lo, s11, v3, vcc_lo
	v_add_co_ci_u32_e64 v25, null, s11, 0, s0
	s_mul_i32 s15, s1, 3
	s_lshl_b64 s[8:9], s[8:9], 17
	s_lshl_b32 s12, s1, 3
	s_mov_b64 s[10:11], s[2:3]
                                        ; implicit-def: $vgpr2_vgpr3
	s_branch .LBB319_9
.LBB319_8:                              ;   in Loop: Header=BB319_9 Depth=1
	s_or_b32 exec_lo, exec_lo, s0
	v_add_co_u32 v10, vcc_lo, v10, s12
	v_add_co_ci_u32_e32 v11, vcc_lo, 0, v11, vcc_lo
	v_add_co_u32 v12, vcc_lo, v12, s12
	v_add_co_ci_u32_e32 v13, vcc_lo, 0, v13, vcc_lo
	;; [unrolled: 2-line block ×7, first 2 shown]
	v_cmp_ge_i64_e64 s0, s[10:11], s[4:5]
	v_cmp_lt_u64_e64 s3, 0xffff, s[10:11]
	v_add_co_u32 v22, vcc_lo, v22, s12
	v_add_co_ci_u32_e32 v23, vcc_lo, 0, v23, vcc_lo
	v_add_co_u32 v24, vcc_lo, v24, s12
	v_add_co_ci_u32_e32 v25, vcc_lo, 0, v25, vcc_lo
	s_or_b32 s0, s0, s3
	s_add_u32 s10, s10, s2
	s_addc_u32 s11, s11, 0
	s_and_b32 vcc_lo, exec_lo, s0
	s_cbranch_vccnz .LBB319_25
.LBB319_9:                              ; =>This Inner Loop Header: Depth=1
	v_cmp_gt_i64_e32 vcc_lo, s[4:5], v[0:1]
	v_cmp_gt_u64_e64 s0, 0x10000, v[0:1]
	s_delay_alu instid0(VALU_DEP_1) | instskip(NEXT) | instid1(SALU_CYCLE_1)
	s_and_b32 s3, vcc_lo, s0
	s_and_saveexec_b32 s0, s3
	s_cbranch_execz .LBB319_11
; %bb.10:                               ;   in Loop: Header=BB319_9 Depth=1
	v_add_co_u32 v4, vcc_lo, v10, s8
	v_add_co_ci_u32_e32 v5, vcc_lo, s9, v11, vcc_lo
	global_load_d16_b16 v2, v[4:5], off
.LBB319_11:                             ;   in Loop: Header=BB319_9 Depth=1
	s_or_b32 exec_lo, exec_lo, s0
	v_add_co_u32 v4, vcc_lo, s1, v0
	v_add_co_ci_u32_e32 v5, vcc_lo, 0, v1, vcc_lo
	s_delay_alu instid0(VALU_DEP_1) | instskip(SKIP_1) | instid1(VALU_DEP_1)
	v_cmp_gt_i64_e32 vcc_lo, s[4:5], v[4:5]
	v_cmp_gt_u64_e64 s0, 0x10000, v[4:5]
	s_and_b32 s3, vcc_lo, s0
	s_delay_alu instid0(SALU_CYCLE_1)
	s_and_saveexec_b32 s0, s3
	s_cbranch_execz .LBB319_13
; %bb.12:                               ;   in Loop: Header=BB319_9 Depth=1
	v_add_co_u32 v6, vcc_lo, v22, s8
	v_add_co_ci_u32_e32 v7, vcc_lo, s9, v23, vcc_lo
	global_load_d16_hi_b16 v2, v[6:7], off
.LBB319_13:                             ;   in Loop: Header=BB319_9 Depth=1
	s_or_b32 exec_lo, exec_lo, s0
	v_add_co_u32 v6, vcc_lo, s14, v0
	v_add_co_ci_u32_e32 v7, vcc_lo, 0, v1, vcc_lo
	s_delay_alu instid0(VALU_DEP_1) | instskip(SKIP_1) | instid1(VALU_DEP_1)
	v_cmp_gt_i64_e32 vcc_lo, s[4:5], v[6:7]
	v_cmp_gt_u64_e64 s0, 0x10000, v[6:7]
	s_and_b32 s3, vcc_lo, s0
	s_delay_alu instid0(SALU_CYCLE_1)
	s_and_saveexec_b32 s0, s3
	s_cbranch_execz .LBB319_15
; %bb.14:                               ;   in Loop: Header=BB319_9 Depth=1
	v_add_co_u32 v8, vcc_lo, v18, s8
	v_add_co_ci_u32_e32 v9, vcc_lo, s9, v19, vcc_lo
	global_load_d16_b16 v3, v[8:9], off
.LBB319_15:                             ;   in Loop: Header=BB319_9 Depth=1
	s_or_b32 exec_lo, exec_lo, s0
	v_add_co_u32 v8, vcc_lo, s15, v0
	v_add_co_ci_u32_e32 v9, vcc_lo, 0, v1, vcc_lo
	s_delay_alu instid0(VALU_DEP_1) | instskip(SKIP_1) | instid1(VALU_DEP_1)
	v_cmp_gt_i64_e32 vcc_lo, s[4:5], v[8:9]
	v_cmp_gt_u64_e64 s0, 0x10000, v[8:9]
	s_and_b32 s3, vcc_lo, s0
	s_delay_alu instid0(SALU_CYCLE_1)
	s_and_saveexec_b32 s0, s3
	s_cbranch_execnz .LBB319_20
; %bb.16:                               ;   in Loop: Header=BB319_9 Depth=1
	s_or_b32 exec_lo, exec_lo, s0
	s_delay_alu instid0(SALU_CYCLE_1)
	s_mov_b32 s0, exec_lo
	v_cmpx_gt_u64_e64 s[6:7], v[0:1]
	s_cbranch_execnz .LBB319_21
.LBB319_17:                             ;   in Loop: Header=BB319_9 Depth=1
	s_or_b32 exec_lo, exec_lo, s0
	s_delay_alu instid0(SALU_CYCLE_1)
	s_mov_b32 s0, exec_lo
	v_cmpx_gt_u64_e64 s[6:7], v[4:5]
	s_cbranch_execnz .LBB319_22
.LBB319_18:                             ;   in Loop: Header=BB319_9 Depth=1
	s_or_b32 exec_lo, exec_lo, s0
	s_delay_alu instid0(SALU_CYCLE_1)
	s_mov_b32 s0, exec_lo
	v_cmpx_gt_u64_e64 s[6:7], v[6:7]
	s_cbranch_execnz .LBB319_23
.LBB319_19:                             ;   in Loop: Header=BB319_9 Depth=1
	s_or_b32 exec_lo, exec_lo, s0
	s_delay_alu instid0(SALU_CYCLE_1)
	s_mov_b32 s0, exec_lo
	v_cmpx_gt_u64_e64 s[6:7], v[8:9]
	s_cbranch_execz .LBB319_8
	s_branch .LBB319_24
.LBB319_20:                             ;   in Loop: Header=BB319_9 Depth=1
	v_add_co_u32 v26, vcc_lo, v14, s8
	v_add_co_ci_u32_e32 v27, vcc_lo, s9, v15, vcc_lo
	global_load_d16_hi_b16 v3, v[26:27], off
	s_or_b32 exec_lo, exec_lo, s0
	s_delay_alu instid0(SALU_CYCLE_1)
	s_mov_b32 s0, exec_lo
	v_cmpx_gt_u64_e64 s[6:7], v[0:1]
	s_cbranch_execz .LBB319_17
.LBB319_21:                             ;   in Loop: Header=BB319_9 Depth=1
	s_waitcnt vmcnt(0)
	v_bfe_i32 v26, v2, 0, 16
	s_delay_alu instid0(VALU_DEP_1) | instskip(NEXT) | instid1(VALU_DEP_1)
	v_cvt_f32_i32_e32 v26, v26
	v_bfe_u32 v27, v26, 16, 1
	s_delay_alu instid0(VALU_DEP_1) | instskip(SKIP_4) | instid1(SALU_CYCLE_1)
	v_add3_u32 v28, v26, v27, 0x7fff
	v_add_co_u32 v26, vcc_lo, v12, s8
	v_add_co_ci_u32_e32 v27, vcc_lo, s9, v13, vcc_lo
	global_store_d16_hi_b16 v[26:27], v28, off
	s_or_b32 exec_lo, exec_lo, s0
	s_mov_b32 s0, exec_lo
	v_cmpx_gt_u64_e64 s[6:7], v[4:5]
	s_cbranch_execz .LBB319_18
.LBB319_22:                             ;   in Loop: Header=BB319_9 Depth=1
	s_waitcnt vmcnt(0)
	v_ashrrev_i32_e32 v4, 16, v2
	s_delay_alu instid0(VALU_DEP_1) | instskip(NEXT) | instid1(VALU_DEP_1)
	v_cvt_f32_i32_e32 v4, v4
	v_bfe_u32 v5, v4, 16, 1
	s_delay_alu instid0(VALU_DEP_1) | instskip(SKIP_4) | instid1(SALU_CYCLE_1)
	v_add3_u32 v26, v4, v5, 0x7fff
	v_add_co_u32 v4, vcc_lo, v24, s8
	v_add_co_ci_u32_e32 v5, vcc_lo, s9, v25, vcc_lo
	global_store_d16_hi_b16 v[4:5], v26, off
	s_or_b32 exec_lo, exec_lo, s0
	s_mov_b32 s0, exec_lo
	v_cmpx_gt_u64_e64 s[6:7], v[6:7]
	s_cbranch_execz .LBB319_19
.LBB319_23:                             ;   in Loop: Header=BB319_9 Depth=1
	s_waitcnt vmcnt(0)
	v_bfe_i32 v4, v3, 0, 16
	s_delay_alu instid0(VALU_DEP_1) | instskip(NEXT) | instid1(VALU_DEP_1)
	v_cvt_f32_i32_e32 v4, v4
	v_bfe_u32 v5, v4, 16, 1
	s_delay_alu instid0(VALU_DEP_1) | instskip(SKIP_4) | instid1(SALU_CYCLE_1)
	v_add3_u32 v6, v4, v5, 0x7fff
	v_add_co_u32 v4, vcc_lo, v20, s8
	v_add_co_ci_u32_e32 v5, vcc_lo, s9, v21, vcc_lo
	global_store_d16_hi_b16 v[4:5], v6, off
	s_or_b32 exec_lo, exec_lo, s0
	s_mov_b32 s0, exec_lo
	v_cmpx_gt_u64_e64 s[6:7], v[8:9]
	s_cbranch_execz .LBB319_8
.LBB319_24:                             ;   in Loop: Header=BB319_9 Depth=1
	s_waitcnt vmcnt(0)
	v_ashrrev_i32_e32 v4, 16, v3
	s_delay_alu instid0(VALU_DEP_1) | instskip(NEXT) | instid1(VALU_DEP_1)
	v_cvt_f32_i32_e32 v4, v4
	v_bfe_u32 v5, v4, 16, 1
	s_delay_alu instid0(VALU_DEP_1)
	v_add3_u32 v6, v4, v5, 0x7fff
	v_add_co_u32 v4, vcc_lo, v16, s8
	v_add_co_ci_u32_e32 v5, vcc_lo, s9, v17, vcc_lo
	global_store_d16_hi_b16 v[4:5], v6, off
	s_branch .LBB319_8
.LBB319_25:
	s_nop 0
	s_sendmsg sendmsg(MSG_DEALLOC_VGPRS)
	s_endpgm
	.section	.rodata,"a",@progbits
	.p2align	6, 0x0
	.amdhsa_kernel _ZN2at6native12_GLOBAL__N_125multi_tensor_apply_kernelINS1_18TensorListMetadataILi2EEENS1_11CopyFunctorIN3c108BFloat16EsLi2ELi1ELi1EEEJNS0_4CopyIS7_sEEEEEvT_T0_DpT1_
		.amdhsa_group_segment_fixed_size 0
		.amdhsa_private_segment_fixed_size 0
		.amdhsa_kernarg_size 3408
		.amdhsa_user_sgpr_count 15
		.amdhsa_user_sgpr_dispatch_ptr 0
		.amdhsa_user_sgpr_queue_ptr 0
		.amdhsa_user_sgpr_kernarg_segment_ptr 1
		.amdhsa_user_sgpr_dispatch_id 0
		.amdhsa_user_sgpr_private_segment_size 0
		.amdhsa_wavefront_size32 1
		.amdhsa_uses_dynamic_stack 0
		.amdhsa_enable_private_segment 0
		.amdhsa_system_sgpr_workgroup_id_x 1
		.amdhsa_system_sgpr_workgroup_id_y 0
		.amdhsa_system_sgpr_workgroup_id_z 0
		.amdhsa_system_sgpr_workgroup_info 0
		.amdhsa_system_vgpr_workitem_id 0
		.amdhsa_next_free_vgpr 29
		.amdhsa_next_free_sgpr 16
		.amdhsa_reserve_vcc 1
		.amdhsa_float_round_mode_32 0
		.amdhsa_float_round_mode_16_64 0
		.amdhsa_float_denorm_mode_32 3
		.amdhsa_float_denorm_mode_16_64 3
		.amdhsa_dx10_clamp 1
		.amdhsa_ieee_mode 1
		.amdhsa_fp16_overflow 0
		.amdhsa_workgroup_processor_mode 1
		.amdhsa_memory_ordered 1
		.amdhsa_forward_progress 0
		.amdhsa_shared_vgpr_count 0
		.amdhsa_exception_fp_ieee_invalid_op 0
		.amdhsa_exception_fp_denorm_src 0
		.amdhsa_exception_fp_ieee_div_zero 0
		.amdhsa_exception_fp_ieee_overflow 0
		.amdhsa_exception_fp_ieee_underflow 0
		.amdhsa_exception_fp_ieee_inexact 0
		.amdhsa_exception_int_div_zero 0
	.end_amdhsa_kernel
	.section	.text._ZN2at6native12_GLOBAL__N_125multi_tensor_apply_kernelINS1_18TensorListMetadataILi2EEENS1_11CopyFunctorIN3c108BFloat16EsLi2ELi1ELi1EEEJNS0_4CopyIS7_sEEEEEvT_T0_DpT1_,"axG",@progbits,_ZN2at6native12_GLOBAL__N_125multi_tensor_apply_kernelINS1_18TensorListMetadataILi2EEENS1_11CopyFunctorIN3c108BFloat16EsLi2ELi1ELi1EEEJNS0_4CopyIS7_sEEEEEvT_T0_DpT1_,comdat
.Lfunc_end319:
	.size	_ZN2at6native12_GLOBAL__N_125multi_tensor_apply_kernelINS1_18TensorListMetadataILi2EEENS1_11CopyFunctorIN3c108BFloat16EsLi2ELi1ELi1EEEJNS0_4CopyIS7_sEEEEEvT_T0_DpT1_, .Lfunc_end319-_ZN2at6native12_GLOBAL__N_125multi_tensor_apply_kernelINS1_18TensorListMetadataILi2EEENS1_11CopyFunctorIN3c108BFloat16EsLi2ELi1ELi1EEEJNS0_4CopyIS7_sEEEEEvT_T0_DpT1_
                                        ; -- End function
	.section	.AMDGPU.csdata,"",@progbits
; Kernel info:
; codeLenInByte = 1716
; NumSgprs: 18
; NumVgprs: 29
; ScratchSize: 0
; MemoryBound: 0
; FloatMode: 240
; IeeeMode: 1
; LDSByteSize: 0 bytes/workgroup (compile time only)
; SGPRBlocks: 2
; VGPRBlocks: 3
; NumSGPRsForWavesPerEU: 18
; NumVGPRsForWavesPerEU: 29
; Occupancy: 16
; WaveLimiterHint : 0
; COMPUTE_PGM_RSRC2:SCRATCH_EN: 0
; COMPUTE_PGM_RSRC2:USER_SGPR: 15
; COMPUTE_PGM_RSRC2:TRAP_HANDLER: 0
; COMPUTE_PGM_RSRC2:TGID_X_EN: 1
; COMPUTE_PGM_RSRC2:TGID_Y_EN: 0
; COMPUTE_PGM_RSRC2:TGID_Z_EN: 0
; COMPUTE_PGM_RSRC2:TIDIG_COMP_CNT: 0
	.section	.text._ZN2at6native12_GLOBAL__N_125multi_tensor_apply_kernelINS1_18TensorListMetadataILi2EEENS1_11CopyFunctorIN3c108BFloat16EiLi2ELi1ELi1EEEJNS0_4CopyIS7_iEEEEEvT_T0_DpT1_,"axG",@progbits,_ZN2at6native12_GLOBAL__N_125multi_tensor_apply_kernelINS1_18TensorListMetadataILi2EEENS1_11CopyFunctorIN3c108BFloat16EiLi2ELi1ELi1EEEJNS0_4CopyIS7_iEEEEEvT_T0_DpT1_,comdat
	.globl	_ZN2at6native12_GLOBAL__N_125multi_tensor_apply_kernelINS1_18TensorListMetadataILi2EEENS1_11CopyFunctorIN3c108BFloat16EiLi2ELi1ELi1EEEJNS0_4CopyIS7_iEEEEEvT_T0_DpT1_ ; -- Begin function _ZN2at6native12_GLOBAL__N_125multi_tensor_apply_kernelINS1_18TensorListMetadataILi2EEENS1_11CopyFunctorIN3c108BFloat16EiLi2ELi1ELi1EEEJNS0_4CopyIS7_iEEEEEvT_T0_DpT1_
	.p2align	8
	.type	_ZN2at6native12_GLOBAL__N_125multi_tensor_apply_kernelINS1_18TensorListMetadataILi2EEENS1_11CopyFunctorIN3c108BFloat16EiLi2ELi1ELi1EEEJNS0_4CopyIS7_iEEEEEvT_T0_DpT1_,@function
_ZN2at6native12_GLOBAL__N_125multi_tensor_apply_kernelINS1_18TensorListMetadataILi2EEENS1_11CopyFunctorIN3c108BFloat16EiLi2ELi1ELi1EEEJNS0_4CopyIS7_iEEEEEvT_T0_DpT1_: ; @_ZN2at6native12_GLOBAL__N_125multi_tensor_apply_kernelINS1_18TensorListMetadataILi2EEENS1_11CopyFunctorIN3c108BFloat16EiLi2ELi1ELi1EEEJNS0_4CopyIS7_iEEEEEvT_T0_DpT1_
; %bb.0:
	v_mov_b32_e32 v1, s15
	s_add_u32 s2, s0, s15
	s_mul_hi_u32 s3, s15, 3
	s_mul_i32 s15, s15, 3
	s_addc_u32 s4, s1, 0
	global_load_u8 v1, v1, s[0:1] offset:1536
	s_add_u32 s2, s2, s15
	s_addc_u32 s3, s4, s3
	s_mov_b32 s15, 0
	s_load_b32 s8, s[2:3], 0x740
	s_waitcnt lgkmcnt(0)
	s_ashr_i32 s9, s8, 31
	s_delay_alu instid0(SALU_CYCLE_1) | instskip(SKIP_3) | instid1(VALU_DEP_1)
	s_lshl_b64 s[10:11], s[8:9], 18
	s_lshl_b64 s[16:17], s[8:9], 16
	s_waitcnt vmcnt(0)
	v_readfirstlane_b32 s5, v1
	s_lshl_b32 s4, s5, 3
	s_clause 0x2
	s_load_b64 s[2:3], s[0:1], s4 offset:0x0
	s_load_b64 s[6:7], s[0:1], s4 offset:0x200
	;; [unrolled: 1-line block ×3, first 2 shown]
	s_waitcnt lgkmcnt(0)
	s_add_u32 s12, s2, s10
	s_addc_u32 s13, s3, s11
	s_and_b32 s18, s6, 7
	s_and_b32 s19, s4, 3
	;; [unrolled: 1-line block ×3, first 2 shown]
	s_or_b32 s18, s19, s18
	s_mov_b32 s19, s15
	s_delay_alu instid0(SALU_CYCLE_1)
	s_or_b64 s[14:15], s[14:15], s[18:19]
	s_sub_u32 s4, s4, s16
	s_subb_u32 s5, s5, s17
	s_cmp_eq_u64 s[14:15], 0
	s_mov_b32 s14, -1
	s_cbranch_scc0 .LBB320_5
; %bb.1:
	v_dual_mov_b32 v2, 0 :: v_dual_lshlrev_b32 v1, 2, v0
	s_mov_b32 s14, exec_lo
	s_delay_alu instid0(VALU_DEP_1)
	v_cmpx_gt_i64_e64 s[4:5], v[1:2]
	s_cbranch_execz .LBB320_4
; %bb.2:
	s_load_b32 s15, s[0:1], 0xc5c
	v_lshlrev_b32_e32 v3, 4, v0
	v_lshlrev_b32_e32 v5, 3, v0
	s_waitcnt lgkmcnt(0)
	s_and_b32 s16, s15, 0xffff
	s_delay_alu instid0(SALU_CYCLE_1)
	s_lshl_b32 s15, s16, 2
	s_add_u32 s17, s2, s10
	s_addc_u32 s11, s3, s11
	v_add_co_u32 v3, s17, s17, v3
	s_lshl_b64 s[2:3], s[8:9], 17
	s_lshl_b32 s10, s16, 4
	v_add_co_ci_u32_e64 v4, null, s11, 0, s17
	s_add_u32 s2, s6, s2
	s_addc_u32 s3, s7, s3
	v_add_co_u32 v3, vcc_lo, v3, 8
	v_add_co_u32 v5, s2, s2, v5
	v_add_lshl_u32 v1, v0, s16, 2
	v_add_co_ci_u32_e32 v4, vcc_lo, 0, v4, vcc_lo
	v_add_co_ci_u32_e64 v6, null, s3, 0, s2
	s_mov_b32 s11, 0
	s_lshl_b32 s16, s16, 3
.LBB320_3:                              ; =>This Inner Loop Header: Depth=1
	global_load_b128 v[7:10], v[3:4], off offset:-8
	v_cmp_le_i64_e32 vcc_lo, s[4:5], v[1:2]
	v_cmp_lt_u64_e64 s2, 0xffff, v[1:2]
	v_add_co_u32 v1, s3, v1, s15
	s_delay_alu instid0(VALU_DEP_1) | instskip(SKIP_1) | instid1(VALU_DEP_4)
	v_add_co_ci_u32_e64 v2, s3, 0, v2, s3
	v_add_co_u32 v3, s3, v3, s10
	s_or_b32 s2, vcc_lo, s2
	v_add_co_ci_u32_e64 v4, s3, 0, v4, s3
	s_and_b32 s2, exec_lo, s2
	s_delay_alu instid0(SALU_CYCLE_1)
	s_or_b32 s11, s2, s11
	s_waitcnt vmcnt(0)
	v_cvt_f32_i32_e32 v9, v9
	v_cvt_f32_i32_e32 v10, v10
	;; [unrolled: 1-line block ×4, first 2 shown]
	s_delay_alu instid0(VALU_DEP_4) | instskip(NEXT) | instid1(VALU_DEP_4)
	v_bfe_u32 v11, v9, 16, 1
	v_bfe_u32 v12, v10, 16, 1
	s_delay_alu instid0(VALU_DEP_4) | instskip(NEXT) | instid1(VALU_DEP_4)
	v_bfe_u32 v13, v7, 16, 1
	v_bfe_u32 v14, v8, 16, 1
	s_delay_alu instid0(VALU_DEP_4) | instskip(NEXT) | instid1(VALU_DEP_4)
	v_add3_u32 v9, v9, v11, 0x7fff
	v_add3_u32 v10, v10, v12, 0x7fff
	s_delay_alu instid0(VALU_DEP_4) | instskip(NEXT) | instid1(VALU_DEP_4)
	v_add3_u32 v7, v7, v13, 0x7fff
	v_add3_u32 v11, v8, v14, 0x7fff
	s_delay_alu instid0(VALU_DEP_4) | instskip(NEXT) | instid1(VALU_DEP_4)
	v_lshrrev_b32_e32 v8, 16, v9
	v_and_b32_e32 v9, 0xffff0000, v10
	s_delay_alu instid0(VALU_DEP_4) | instskip(NEXT) | instid1(VALU_DEP_2)
	v_lshrrev_b32_e32 v7, 16, v7
	v_or_b32_e32 v8, v9, v8
	s_delay_alu instid0(VALU_DEP_2)
	v_and_or_b32 v7, 0xffff0000, v11, v7
	global_store_b64 v[5:6], v[7:8], off
	v_add_co_u32 v5, vcc_lo, v5, s16
	v_add_co_ci_u32_e32 v6, vcc_lo, 0, v6, vcc_lo
	s_and_not1_b32 exec_lo, exec_lo, s11
	s_cbranch_execnz .LBB320_3
.LBB320_4:
	s_or_b32 exec_lo, exec_lo, s14
	s_mov_b32 s14, 0
.LBB320_5:
	s_delay_alu instid0(SALU_CYCLE_1)
	s_and_not1_b32 vcc_lo, exec_lo, s14
	s_cbranch_vccnz .LBB320_25
; %bb.6:
	v_cmp_lt_i64_e64 s2, s[4:5], 1
	s_delay_alu instid0(VALU_DEP_1)
	s_and_b32 vcc_lo, exec_lo, s2
	s_cbranch_vccnz .LBB320_25
; %bb.7:
	s_load_b32 s0, s[0:1], 0xc5c
	v_cmp_gt_u64_e64 s1, 0x10000, s[4:5]
	v_dual_mov_b32 v2, 0 :: v_dual_lshlrev_b32 v5, 1, v0
	v_lshlrev_b32_e32 v1, 2, v0
                                        ; implicit-def: $vgpr25
                                        ; implicit-def: $vgpr26
                                        ; implicit-def: $vgpr27
                                        ; implicit-def: $vgpr28
	s_waitcnt lgkmcnt(0)
	s_and_b32 s0, s0, 0xffff
	s_delay_alu instid0(VALU_DEP_3)
	s_and_b32 s1, s1, exec_lo
	s_cselect_b32 s3, s5, 0
	s_cselect_b32 s2, s4, 0x10000
	s_lshl_b64 s[8:9], s[8:9], 17
	s_lshl_b32 s11, s0, 1
	s_lshl_b32 s1, s0, 2
	;; [unrolled: 1-line block ×3, first 2 shown]
	s_add_u32 s6, s6, s8
	s_addc_u32 s7, s7, s9
	v_add_co_u32 v5, s9, s6, v5
	s_delay_alu instid0(VALU_DEP_1) | instskip(SKIP_3) | instid1(VALU_DEP_2)
	v_add_co_ci_u32_e64 v6, null, s7, 0, s9
	v_add_co_u32 v18, s9, v0, s0
	s_mul_i32 s14, s0, 3
	v_mad_u64_u32 v[3:4], null, s0, 12, v[1:2]
	v_lshlrev_b32_e32 v7, 1, v18
	v_add_co_u32 v2, s8, s14, v0
	s_delay_alu instid0(VALU_DEP_1)
	v_add_co_ci_u32_e64 v17, null, 0, 0, s8
	s_lshl_b32 s8, s0, 3
	v_add_co_ci_u32_e64 v21, null, 0, 0, s9
	v_add_co_u32 v19, s14, s8, v1
	v_add_co_u32 v22, s9, s11, v0
	;; [unrolled: 1-line block ×3, first 2 shown]
	v_add_co_ci_u32_e64 v20, null, 0, 0, s14
	v_add_co_ci_u32_e64 v23, null, 0, 0, s9
	v_lshlrev_b32_e32 v24, 2, v18
	v_add_co_ci_u32_e64 v8, null, s7, 0, s6
	s_mul_i32 s9, s0, 6
	s_mov_b64 s[6:7], 0
	s_branch .LBB320_9
.LBB320_8:                              ;   in Loop: Header=BB320_9 Depth=1
	s_or_b32 exec_lo, exec_lo, s0
	s_add_u32 s6, s6, s1
	s_addc_u32 s7, s7, 0
	v_add_co_u32 v5, vcc_lo, v5, s8
	v_cmp_ge_i64_e64 s0, s[6:7], s[4:5]
	v_cmp_lt_u64_e64 s11, 0xffff, s[6:7]
	v_add_co_ci_u32_e32 v6, vcc_lo, 0, v6, vcc_lo
	v_add_co_u32 v7, vcc_lo, v7, s8
	v_add_co_ci_u32_e32 v8, vcc_lo, 0, v8, vcc_lo
	s_delay_alu instid0(VALU_DEP_4)
	s_or_b32 s0, s0, s11
	s_add_u32 s12, s12, s10
	s_addc_u32 s13, s13, 0
	s_and_b32 vcc_lo, exec_lo, s0
	s_cbranch_vccnz .LBB320_25
.LBB320_9:                              ; =>This Inner Loop Header: Depth=1
	v_add_co_u32 v9, s0, v0, s6
	s_delay_alu instid0(VALU_DEP_1) | instskip(NEXT) | instid1(VALU_DEP_1)
	v_add_co_ci_u32_e64 v10, null, 0, s7, s0
	v_cmp_gt_i64_e32 vcc_lo, s[4:5], v[9:10]
	v_cmp_gt_u64_e64 s0, 0x10000, v[9:10]
	s_delay_alu instid0(VALU_DEP_1) | instskip(NEXT) | instid1(SALU_CYCLE_1)
	s_and_b32 s11, vcc_lo, s0
	s_and_saveexec_b32 s0, s11
	s_cbranch_execz .LBB320_11
; %bb.10:                               ;   in Loop: Header=BB320_9 Depth=1
	v_add_co_u32 v11, s11, s12, v1
	s_delay_alu instid0(VALU_DEP_1)
	v_add_co_ci_u32_e64 v12, null, s13, 0, s11
	global_load_b32 v28, v[11:12], off
.LBB320_11:                             ;   in Loop: Header=BB320_9 Depth=1
	s_or_b32 exec_lo, exec_lo, s0
	v_add_co_u32 v11, vcc_lo, v18, s6
	v_add_co_ci_u32_e32 v12, vcc_lo, s7, v21, vcc_lo
	s_delay_alu instid0(VALU_DEP_1) | instskip(SKIP_1) | instid1(VALU_DEP_1)
	v_cmp_gt_i64_e32 vcc_lo, s[4:5], v[11:12]
	v_cmp_gt_u64_e64 s0, 0x10000, v[11:12]
	s_and_b32 s11, vcc_lo, s0
	s_delay_alu instid0(SALU_CYCLE_1)
	s_and_saveexec_b32 s0, s11
	s_cbranch_execz .LBB320_13
; %bb.12:                               ;   in Loop: Header=BB320_9 Depth=1
	v_add_co_u32 v13, s11, s12, v24
	s_delay_alu instid0(VALU_DEP_1)
	v_add_co_ci_u32_e64 v14, null, s13, 0, s11
	global_load_b32 v27, v[13:14], off
.LBB320_13:                             ;   in Loop: Header=BB320_9 Depth=1
	s_or_b32 exec_lo, exec_lo, s0
	v_add_co_u32 v13, vcc_lo, v22, s6
	v_add_co_ci_u32_e32 v14, vcc_lo, s7, v23, vcc_lo
	s_delay_alu instid0(VALU_DEP_1) | instskip(SKIP_1) | instid1(VALU_DEP_1)
	v_cmp_gt_i64_e32 vcc_lo, s[4:5], v[13:14]
	v_cmp_gt_u64_e64 s0, 0x10000, v[13:14]
	s_and_b32 s11, vcc_lo, s0
	s_delay_alu instid0(SALU_CYCLE_1)
	s_and_saveexec_b32 s0, s11
	s_cbranch_execz .LBB320_15
; %bb.14:                               ;   in Loop: Header=BB320_9 Depth=1
	v_add_co_u32 v15, vcc_lo, s12, v19
	v_add_co_ci_u32_e32 v16, vcc_lo, s13, v20, vcc_lo
	global_load_b32 v26, v[15:16], off
.LBB320_15:                             ;   in Loop: Header=BB320_9 Depth=1
	s_or_b32 exec_lo, exec_lo, s0
	v_add_co_u32 v15, vcc_lo, v2, s6
	v_add_co_ci_u32_e32 v16, vcc_lo, s7, v17, vcc_lo
	s_delay_alu instid0(VALU_DEP_1) | instskip(SKIP_1) | instid1(VALU_DEP_1)
	v_cmp_gt_i64_e32 vcc_lo, s[4:5], v[15:16]
	v_cmp_gt_u64_e64 s0, 0x10000, v[15:16]
	s_and_b32 s11, vcc_lo, s0
	s_delay_alu instid0(SALU_CYCLE_1)
	s_and_saveexec_b32 s0, s11
	s_cbranch_execnz .LBB320_20
; %bb.16:                               ;   in Loop: Header=BB320_9 Depth=1
	s_or_b32 exec_lo, exec_lo, s0
	s_delay_alu instid0(SALU_CYCLE_1)
	s_mov_b32 s0, exec_lo
	v_cmpx_gt_u64_e64 s[2:3], v[9:10]
	s_cbranch_execnz .LBB320_21
.LBB320_17:                             ;   in Loop: Header=BB320_9 Depth=1
	s_or_b32 exec_lo, exec_lo, s0
	s_delay_alu instid0(SALU_CYCLE_1)
	s_mov_b32 s0, exec_lo
	v_cmpx_gt_u64_e64 s[2:3], v[11:12]
	s_cbranch_execnz .LBB320_22
.LBB320_18:                             ;   in Loop: Header=BB320_9 Depth=1
	s_or_b32 exec_lo, exec_lo, s0
	s_delay_alu instid0(SALU_CYCLE_1)
	s_mov_b32 s0, exec_lo
	v_cmpx_gt_u64_e64 s[2:3], v[13:14]
	s_cbranch_execnz .LBB320_23
.LBB320_19:                             ;   in Loop: Header=BB320_9 Depth=1
	s_or_b32 exec_lo, exec_lo, s0
	s_delay_alu instid0(SALU_CYCLE_1)
	s_mov_b32 s0, exec_lo
	v_cmpx_gt_u64_e64 s[2:3], v[15:16]
	s_cbranch_execz .LBB320_8
	s_branch .LBB320_24
.LBB320_20:                             ;   in Loop: Header=BB320_9 Depth=1
	v_add_co_u32 v29, vcc_lo, s12, v3
	v_add_co_ci_u32_e32 v30, vcc_lo, s13, v4, vcc_lo
	global_load_b32 v25, v[29:30], off
	s_or_b32 exec_lo, exec_lo, s0
	s_delay_alu instid0(SALU_CYCLE_1)
	s_mov_b32 s0, exec_lo
	v_cmpx_gt_u64_e64 s[2:3], v[9:10]
	s_cbranch_execz .LBB320_17
.LBB320_21:                             ;   in Loop: Header=BB320_9 Depth=1
	s_waitcnt vmcnt(0)
	v_cvt_f32_i32_e32 v9, v28
	s_delay_alu instid0(VALU_DEP_1) | instskip(NEXT) | instid1(VALU_DEP_1)
	v_bfe_u32 v10, v9, 16, 1
	v_add3_u32 v9, v9, v10, 0x7fff
	global_store_d16_hi_b16 v[5:6], v9, off
	s_or_b32 exec_lo, exec_lo, s0
	s_delay_alu instid0(SALU_CYCLE_1)
	s_mov_b32 s0, exec_lo
	v_cmpx_gt_u64_e64 s[2:3], v[11:12]
	s_cbranch_execz .LBB320_18
.LBB320_22:                             ;   in Loop: Header=BB320_9 Depth=1
	s_waitcnt vmcnt(0)
	v_cvt_f32_i32_e32 v9, v27
	s_delay_alu instid0(VALU_DEP_1) | instskip(NEXT) | instid1(VALU_DEP_1)
	v_bfe_u32 v10, v9, 16, 1
	v_add3_u32 v9, v9, v10, 0x7fff
	global_store_d16_hi_b16 v[7:8], v9, off
	s_or_b32 exec_lo, exec_lo, s0
	s_delay_alu instid0(SALU_CYCLE_1)
	s_mov_b32 s0, exec_lo
	v_cmpx_gt_u64_e64 s[2:3], v[13:14]
	s_cbranch_execz .LBB320_19
.LBB320_23:                             ;   in Loop: Header=BB320_9 Depth=1
	s_waitcnt vmcnt(0)
	v_cvt_f32_i32_e32 v9, v26
	s_delay_alu instid0(VALU_DEP_1) | instskip(NEXT) | instid1(VALU_DEP_1)
	v_bfe_u32 v10, v9, 16, 1
	v_add3_u32 v11, v9, v10, 0x7fff
	v_add_co_u32 v9, vcc_lo, v5, s1
	v_add_co_ci_u32_e32 v10, vcc_lo, 0, v6, vcc_lo
	global_store_d16_hi_b16 v[9:10], v11, off
	s_or_b32 exec_lo, exec_lo, s0
	s_delay_alu instid0(SALU_CYCLE_1)
	s_mov_b32 s0, exec_lo
	v_cmpx_gt_u64_e64 s[2:3], v[15:16]
	s_cbranch_execz .LBB320_8
.LBB320_24:                             ;   in Loop: Header=BB320_9 Depth=1
	s_waitcnt vmcnt(0)
	v_cvt_f32_i32_e32 v9, v25
	s_delay_alu instid0(VALU_DEP_1) | instskip(NEXT) | instid1(VALU_DEP_1)
	v_bfe_u32 v10, v9, 16, 1
	v_add3_u32 v11, v9, v10, 0x7fff
	v_add_co_u32 v9, vcc_lo, v5, s9
	v_add_co_ci_u32_e32 v10, vcc_lo, 0, v6, vcc_lo
	global_store_d16_hi_b16 v[9:10], v11, off
	s_branch .LBB320_8
.LBB320_25:
	s_nop 0
	s_sendmsg sendmsg(MSG_DEALLOC_VGPRS)
	s_endpgm
	.section	.rodata,"a",@progbits
	.p2align	6, 0x0
	.amdhsa_kernel _ZN2at6native12_GLOBAL__N_125multi_tensor_apply_kernelINS1_18TensorListMetadataILi2EEENS1_11CopyFunctorIN3c108BFloat16EiLi2ELi1ELi1EEEJNS0_4CopyIS7_iEEEEEvT_T0_DpT1_
		.amdhsa_group_segment_fixed_size 0
		.amdhsa_private_segment_fixed_size 0
		.amdhsa_kernarg_size 3408
		.amdhsa_user_sgpr_count 15
		.amdhsa_user_sgpr_dispatch_ptr 0
		.amdhsa_user_sgpr_queue_ptr 0
		.amdhsa_user_sgpr_kernarg_segment_ptr 1
		.amdhsa_user_sgpr_dispatch_id 0
		.amdhsa_user_sgpr_private_segment_size 0
		.amdhsa_wavefront_size32 1
		.amdhsa_uses_dynamic_stack 0
		.amdhsa_enable_private_segment 0
		.amdhsa_system_sgpr_workgroup_id_x 1
		.amdhsa_system_sgpr_workgroup_id_y 0
		.amdhsa_system_sgpr_workgroup_id_z 0
		.amdhsa_system_sgpr_workgroup_info 0
		.amdhsa_system_vgpr_workitem_id 0
		.amdhsa_next_free_vgpr 31
		.amdhsa_next_free_sgpr 20
		.amdhsa_reserve_vcc 1
		.amdhsa_float_round_mode_32 0
		.amdhsa_float_round_mode_16_64 0
		.amdhsa_float_denorm_mode_32 3
		.amdhsa_float_denorm_mode_16_64 3
		.amdhsa_dx10_clamp 1
		.amdhsa_ieee_mode 1
		.amdhsa_fp16_overflow 0
		.amdhsa_workgroup_processor_mode 1
		.amdhsa_memory_ordered 1
		.amdhsa_forward_progress 0
		.amdhsa_shared_vgpr_count 0
		.amdhsa_exception_fp_ieee_invalid_op 0
		.amdhsa_exception_fp_denorm_src 0
		.amdhsa_exception_fp_ieee_div_zero 0
		.amdhsa_exception_fp_ieee_overflow 0
		.amdhsa_exception_fp_ieee_underflow 0
		.amdhsa_exception_fp_ieee_inexact 0
		.amdhsa_exception_int_div_zero 0
	.end_amdhsa_kernel
	.section	.text._ZN2at6native12_GLOBAL__N_125multi_tensor_apply_kernelINS1_18TensorListMetadataILi2EEENS1_11CopyFunctorIN3c108BFloat16EiLi2ELi1ELi1EEEJNS0_4CopyIS7_iEEEEEvT_T0_DpT1_,"axG",@progbits,_ZN2at6native12_GLOBAL__N_125multi_tensor_apply_kernelINS1_18TensorListMetadataILi2EEENS1_11CopyFunctorIN3c108BFloat16EiLi2ELi1ELi1EEEJNS0_4CopyIS7_iEEEEEvT_T0_DpT1_,comdat
.Lfunc_end320:
	.size	_ZN2at6native12_GLOBAL__N_125multi_tensor_apply_kernelINS1_18TensorListMetadataILi2EEENS1_11CopyFunctorIN3c108BFloat16EiLi2ELi1ELi1EEEJNS0_4CopyIS7_iEEEEEvT_T0_DpT1_, .Lfunc_end320-_ZN2at6native12_GLOBAL__N_125multi_tensor_apply_kernelINS1_18TensorListMetadataILi2EEENS1_11CopyFunctorIN3c108BFloat16EiLi2ELi1ELi1EEEJNS0_4CopyIS7_iEEEEEvT_T0_DpT1_
                                        ; -- End function
	.section	.AMDGPU.csdata,"",@progbits
; Kernel info:
; codeLenInByte = 1628
; NumSgprs: 22
; NumVgprs: 31
; ScratchSize: 0
; MemoryBound: 0
; FloatMode: 240
; IeeeMode: 1
; LDSByteSize: 0 bytes/workgroup (compile time only)
; SGPRBlocks: 2
; VGPRBlocks: 3
; NumSGPRsForWavesPerEU: 22
; NumVGPRsForWavesPerEU: 31
; Occupancy: 16
; WaveLimiterHint : 0
; COMPUTE_PGM_RSRC2:SCRATCH_EN: 0
; COMPUTE_PGM_RSRC2:USER_SGPR: 15
; COMPUTE_PGM_RSRC2:TRAP_HANDLER: 0
; COMPUTE_PGM_RSRC2:TGID_X_EN: 1
; COMPUTE_PGM_RSRC2:TGID_Y_EN: 0
; COMPUTE_PGM_RSRC2:TGID_Z_EN: 0
; COMPUTE_PGM_RSRC2:TIDIG_COMP_CNT: 0
	.section	.text._ZN2at6native12_GLOBAL__N_125multi_tensor_apply_kernelINS1_18TensorListMetadataILi2EEENS1_11CopyFunctorIN3c108BFloat16EdLi2ELi1ELi1EEEJNS0_4CopyIS7_dEEEEEvT_T0_DpT1_,"axG",@progbits,_ZN2at6native12_GLOBAL__N_125multi_tensor_apply_kernelINS1_18TensorListMetadataILi2EEENS1_11CopyFunctorIN3c108BFloat16EdLi2ELi1ELi1EEEJNS0_4CopyIS7_dEEEEEvT_T0_DpT1_,comdat
	.globl	_ZN2at6native12_GLOBAL__N_125multi_tensor_apply_kernelINS1_18TensorListMetadataILi2EEENS1_11CopyFunctorIN3c108BFloat16EdLi2ELi1ELi1EEEJNS0_4CopyIS7_dEEEEEvT_T0_DpT1_ ; -- Begin function _ZN2at6native12_GLOBAL__N_125multi_tensor_apply_kernelINS1_18TensorListMetadataILi2EEENS1_11CopyFunctorIN3c108BFloat16EdLi2ELi1ELi1EEEJNS0_4CopyIS7_dEEEEEvT_T0_DpT1_
	.p2align	8
	.type	_ZN2at6native12_GLOBAL__N_125multi_tensor_apply_kernelINS1_18TensorListMetadataILi2EEENS1_11CopyFunctorIN3c108BFloat16EdLi2ELi1ELi1EEEJNS0_4CopyIS7_dEEEEEvT_T0_DpT1_,@function
_ZN2at6native12_GLOBAL__N_125multi_tensor_apply_kernelINS1_18TensorListMetadataILi2EEENS1_11CopyFunctorIN3c108BFloat16EdLi2ELi1ELi1EEEJNS0_4CopyIS7_dEEEEEvT_T0_DpT1_: ; @_ZN2at6native12_GLOBAL__N_125multi_tensor_apply_kernelINS1_18TensorListMetadataILi2EEENS1_11CopyFunctorIN3c108BFloat16EdLi2ELi1ELi1EEEJNS0_4CopyIS7_dEEEEEvT_T0_DpT1_
; %bb.0:
	v_mov_b32_e32 v1, s15
	s_add_u32 s2, s0, s15
	s_mul_hi_u32 s3, s15, 3
	s_mul_i32 s15, s15, 3
	s_addc_u32 s4, s1, 0
	global_load_u8 v1, v1, s[0:1] offset:1536
	s_add_u32 s2, s2, s15
	s_addc_u32 s3, s4, s3
	s_mov_b32 s15, 0
	s_load_b32 s10, s[2:3], 0x740
	s_waitcnt lgkmcnt(0)
	s_ashr_i32 s11, s10, 31
	s_delay_alu instid0(SALU_CYCLE_1) | instskip(SKIP_2) | instid1(VALU_DEP_1)
	s_lshl_b64 s[16:17], s[10:11], 16
	s_waitcnt vmcnt(0)
	v_readfirstlane_b32 s5, v1
	s_lshl_b32 s4, s5, 3
	s_clause 0x2
	s_load_b64 s[2:3], s[0:1], s4 offset:0x0
	s_load_b64 s[8:9], s[0:1], s4 offset:0x200
	;; [unrolled: 1-line block ×3, first 2 shown]
	s_lshl_b64 s[4:5], s[10:11], 19
	s_waitcnt lgkmcnt(0)
	s_add_u32 s12, s2, s4
	s_addc_u32 s13, s3, s5
	s_and_b32 s18, s8, 7
	s_and_b32 s19, s6, 3
	;; [unrolled: 1-line block ×3, first 2 shown]
	s_or_b32 s18, s19, s18
	s_mov_b32 s19, s15
	s_delay_alu instid0(SALU_CYCLE_1)
	s_or_b64 s[14:15], s[14:15], s[18:19]
	s_sub_u32 s6, s6, s16
	s_subb_u32 s7, s7, s17
	s_cmp_eq_u64 s[14:15], 0
	s_mov_b32 s14, -1
	s_cbranch_scc0 .LBB321_5
; %bb.1:
	v_dual_mov_b32 v2, 0 :: v_dual_lshlrev_b32 v1, 2, v0
	s_mov_b32 s14, exec_lo
	s_delay_alu instid0(VALU_DEP_1)
	v_cmpx_gt_i64_e64 s[6:7], v[1:2]
	s_cbranch_execz .LBB321_4
; %bb.2:
	s_load_b32 s15, s[0:1], 0xc5c
	v_lshlrev_b32_e32 v3, 5, v0
	v_lshlrev_b32_e32 v5, 3, v0
	s_waitcnt lgkmcnt(0)
	s_and_b32 s17, s15, 0xffff
	s_delay_alu instid0(SALU_CYCLE_1)
	s_lshl_b32 s15, s17, 2
	s_add_u32 s4, s2, s4
	s_addc_u32 s16, s3, s5
	v_add_co_u32 v3, s4, s4, v3
	s_lshl_b64 s[2:3], s[10:11], 17
	s_lshl_b32 s5, s17, 5
	v_add_co_ci_u32_e64 v4, null, s16, 0, s4
	s_add_u32 s2, s8, s2
	s_addc_u32 s3, s9, s3
	v_add_co_u32 v3, vcc_lo, v3, 16
	v_add_co_u32 v5, s2, s2, v5
	v_add_lshl_u32 v1, v0, s17, 2
	v_add_co_ci_u32_e32 v4, vcc_lo, 0, v4, vcc_lo
	v_add_co_ci_u32_e64 v6, null, s3, 0, s2
	s_mov_b32 s16, 0
	s_lshl_b32 s17, s17, 3
.LBB321_3:                              ; =>This Inner Loop Header: Depth=1
	s_clause 0x1
	global_load_b128 v[7:10], v[3:4], off offset:-16
	global_load_b128 v[11:14], v[3:4], off
	v_cmp_le_i64_e32 vcc_lo, s[6:7], v[1:2]
	v_cmp_lt_u64_e64 s2, 0xffff, v[1:2]
	v_add_co_u32 v1, s3, v1, s15
	s_delay_alu instid0(VALU_DEP_1) | instskip(SKIP_1) | instid1(VALU_DEP_1)
	v_add_co_ci_u32_e64 v2, s3, 0, v2, s3
	v_add_co_u32 v3, s3, v3, s5
	v_add_co_ci_u32_e64 v4, s3, 0, v4, s3
	s_or_b32 s2, vcc_lo, s2
	s_delay_alu instid0(SALU_CYCLE_1) | instskip(NEXT) | instid1(SALU_CYCLE_1)
	s_and_b32 s18, exec_lo, s2
	s_or_b32 s16, s18, s16
	s_waitcnt vmcnt(1)
	v_cvt_f32_f64_e32 v7, v[7:8]
	v_cvt_f32_f64_e32 v8, v[9:10]
	s_waitcnt vmcnt(0)
	v_cvt_f32_f64_e32 v9, v[11:12]
	v_cvt_f32_f64_e32 v10, v[13:14]
	s_delay_alu instid0(VALU_DEP_4) | instskip(NEXT) | instid1(VALU_DEP_4)
	v_bfe_u32 v11, v7, 16, 1
	v_bfe_u32 v12, v8, 16, 1
	s_delay_alu instid0(VALU_DEP_4) | instskip(NEXT) | instid1(VALU_DEP_4)
	v_bfe_u32 v13, v9, 16, 1
	v_bfe_u32 v14, v10, 16, 1
	v_cmp_o_f32_e64 s3, v7, v7
	v_add3_u32 v11, v7, v11, 0x7fff
	v_add3_u32 v12, v8, v12, 0x7fff
	;; [unrolled: 1-line block ×4, first 2 shown]
	v_cmp_o_f32_e64 s4, v8, v8
	v_lshrrev_b32_e32 v11, 16, v11
	v_and_b32_e32 v12, 0xffff0000, v12
	v_lshrrev_b32_e32 v13, 16, v13
	v_and_b32_e32 v14, 0xffff0000, v14
	v_cmp_o_f32_e32 vcc_lo, v10, v10
	v_cmp_o_f32_e64 s2, v9, v9
	v_cndmask_b32_e64 v7, 0x7fc00000, v12, s4
	v_cndmask_b32_e64 v8, 0x7fc0, v11, s3
	v_cndmask_b32_e32 v9, 0x7fc00000, v14, vcc_lo
	s_delay_alu instid0(VALU_DEP_4) | instskip(NEXT) | instid1(VALU_DEP_3)
	v_cndmask_b32_e64 v10, 0x7fc0, v13, s2
	v_or_b32_e32 v7, v7, v8
	s_delay_alu instid0(VALU_DEP_2) | instskip(NEXT) | instid1(VALU_DEP_2)
	v_or3_b32 v8, 0, v10, v9
	v_or3_b32 v7, v7, 0, 0
	global_store_b64 v[5:6], v[7:8], off
	v_add_co_u32 v5, vcc_lo, v5, s17
	v_add_co_ci_u32_e32 v6, vcc_lo, 0, v6, vcc_lo
	s_and_not1_b32 exec_lo, exec_lo, s16
	s_cbranch_execnz .LBB321_3
.LBB321_4:
	s_or_b32 exec_lo, exec_lo, s14
	s_mov_b32 s14, 0
.LBB321_5:
	s_delay_alu instid0(SALU_CYCLE_1)
	s_and_not1_b32 vcc_lo, exec_lo, s14
	s_cbranch_vccnz .LBB321_25
; %bb.6:
	v_cmp_lt_i64_e64 s2, s[6:7], 1
	s_delay_alu instid0(VALU_DEP_1)
	s_and_b32 vcc_lo, exec_lo, s2
	s_cbranch_vccnz .LBB321_25
; %bb.7:
	s_load_b32 s0, s[0:1], 0xc5c
	v_cmp_gt_u64_e64 s1, 0x10000, s[6:7]
	v_dual_mov_b32 v2, 0 :: v_dual_lshlrev_b32 v5, 1, v0
	v_lshlrev_b32_e32 v1, 3, v0
                                        ; implicit-def: $vgpr9_vgpr10
                                        ; implicit-def: $vgpr11_vgpr12
                                        ; implicit-def: $vgpr13_vgpr14
                                        ; implicit-def: $vgpr15_vgpr16
	s_waitcnt lgkmcnt(0)
	s_and_b32 s0, s0, 0xffff
	s_delay_alu instid0(VALU_DEP_3)
	s_and_b32 s1, s1, exec_lo
	s_cselect_b32 s3, s7, 0
	s_cselect_b32 s2, s6, 0x10000
	s_lshl_b64 s[4:5], s[10:11], 17
	s_lshl_b32 s15, s0, 1
	s_lshl_b32 s1, s0, 2
	;; [unrolled: 1-line block ×3, first 2 shown]
	s_add_u32 s4, s8, s4
	s_addc_u32 s5, s9, s5
	v_add_co_u32 v5, s9, s4, v5
	s_delay_alu instid0(VALU_DEP_1) | instskip(SKIP_4) | instid1(VALU_DEP_3)
	v_add_co_ci_u32_e64 v6, null, s5, 0, s9
	v_add_co_u32 v26, s9, v0, s0
	s_mul_i32 s16, s0, 3
	v_mad_u64_u32 v[3:4], null, s0, 24, v[1:2]
	v_add_co_u32 v2, s8, s16, v0
	v_lshlrev_b32_e32 v7, 1, v26
	v_add_co_ci_u32_e64 v25, null, 0, 0, s8
	s_lshl_b32 s8, s0, 4
	v_add_co_ci_u32_e64 v29, null, 0, 0, s9
	v_add_co_u32 v27, s8, s8, v1
	s_delay_alu instid0(VALU_DEP_1)
	v_add_co_ci_u32_e64 v28, null, 0, 0, s8
	v_add_co_u32 v30, s8, s15, v0
	v_add_co_u32 v7, s4, s4, v7
	v_add_co_ci_u32_e64 v31, null, 0, 0, s8
	v_lshlrev_b32_e32 v32, 3, v26
	v_add_co_ci_u32_e64 v8, null, s5, 0, s4
	s_lshl_b32 s8, s0, 3
	s_mul_i32 s9, s0, 6
	s_mov_b64 s[4:5], 0
	s_branch .LBB321_9
.LBB321_8:                              ;   in Loop: Header=BB321_9 Depth=1
	s_or_b32 exec_lo, exec_lo, s0
	s_add_u32 s4, s4, s1
	s_addc_u32 s5, s5, 0
	v_add_co_u32 v5, vcc_lo, v5, s8
	v_cmp_ge_i64_e64 s0, s[4:5], s[6:7]
	v_cmp_lt_u64_e64 s10, 0xffff, s[4:5]
	v_add_co_ci_u32_e32 v6, vcc_lo, 0, v6, vcc_lo
	v_add_co_u32 v7, vcc_lo, v7, s8
	v_add_co_ci_u32_e32 v8, vcc_lo, 0, v8, vcc_lo
	s_delay_alu instid0(VALU_DEP_4)
	s_or_b32 s0, s0, s10
	s_add_u32 s12, s12, s14
	s_addc_u32 s13, s13, 0
	s_and_b32 vcc_lo, exec_lo, s0
	s_cbranch_vccnz .LBB321_25
.LBB321_9:                              ; =>This Inner Loop Header: Depth=1
	v_add_co_u32 v17, s0, v0, s4
	s_delay_alu instid0(VALU_DEP_1) | instskip(NEXT) | instid1(VALU_DEP_1)
	v_add_co_ci_u32_e64 v18, null, 0, s5, s0
	v_cmp_gt_i64_e32 vcc_lo, s[6:7], v[17:18]
	v_cmp_gt_u64_e64 s0, 0x10000, v[17:18]
	s_delay_alu instid0(VALU_DEP_1) | instskip(NEXT) | instid1(SALU_CYCLE_1)
	s_and_b32 s10, vcc_lo, s0
	s_and_saveexec_b32 s0, s10
	s_cbranch_execz .LBB321_11
; %bb.10:                               ;   in Loop: Header=BB321_9 Depth=1
	s_waitcnt vmcnt(0)
	v_add_co_u32 v15, s10, s12, v1
	s_delay_alu instid0(VALU_DEP_1)
	v_add_co_ci_u32_e64 v16, null, s13, 0, s10
	global_load_b64 v[15:16], v[15:16], off
.LBB321_11:                             ;   in Loop: Header=BB321_9 Depth=1
	s_or_b32 exec_lo, exec_lo, s0
	v_add_co_u32 v19, vcc_lo, v26, s4
	v_add_co_ci_u32_e32 v20, vcc_lo, s5, v29, vcc_lo
	s_delay_alu instid0(VALU_DEP_1) | instskip(SKIP_1) | instid1(VALU_DEP_1)
	v_cmp_gt_i64_e32 vcc_lo, s[6:7], v[19:20]
	v_cmp_gt_u64_e64 s0, 0x10000, v[19:20]
	s_and_b32 s10, vcc_lo, s0
	s_delay_alu instid0(SALU_CYCLE_1)
	s_and_saveexec_b32 s0, s10
	s_cbranch_execz .LBB321_13
; %bb.12:                               ;   in Loop: Header=BB321_9 Depth=1
	s_waitcnt vmcnt(0)
	v_add_co_u32 v13, s10, s12, v32
	s_delay_alu instid0(VALU_DEP_1)
	v_add_co_ci_u32_e64 v14, null, s13, 0, s10
	global_load_b64 v[13:14], v[13:14], off
.LBB321_13:                             ;   in Loop: Header=BB321_9 Depth=1
	s_or_b32 exec_lo, exec_lo, s0
	v_add_co_u32 v21, vcc_lo, v30, s4
	v_add_co_ci_u32_e32 v22, vcc_lo, s5, v31, vcc_lo
	s_delay_alu instid0(VALU_DEP_1) | instskip(SKIP_1) | instid1(VALU_DEP_1)
	v_cmp_gt_i64_e32 vcc_lo, s[6:7], v[21:22]
	v_cmp_gt_u64_e64 s0, 0x10000, v[21:22]
	s_and_b32 s10, vcc_lo, s0
	s_delay_alu instid0(SALU_CYCLE_1)
	s_and_saveexec_b32 s0, s10
	s_cbranch_execz .LBB321_15
; %bb.14:                               ;   in Loop: Header=BB321_9 Depth=1
	s_waitcnt vmcnt(0)
	v_add_co_u32 v11, vcc_lo, s12, v27
	v_add_co_ci_u32_e32 v12, vcc_lo, s13, v28, vcc_lo
	global_load_b64 v[11:12], v[11:12], off
.LBB321_15:                             ;   in Loop: Header=BB321_9 Depth=1
	s_or_b32 exec_lo, exec_lo, s0
	v_add_co_u32 v23, vcc_lo, v2, s4
	v_add_co_ci_u32_e32 v24, vcc_lo, s5, v25, vcc_lo
	s_delay_alu instid0(VALU_DEP_1) | instskip(SKIP_1) | instid1(VALU_DEP_1)
	v_cmp_gt_i64_e32 vcc_lo, s[6:7], v[23:24]
	v_cmp_gt_u64_e64 s0, 0x10000, v[23:24]
	s_and_b32 s10, vcc_lo, s0
	s_delay_alu instid0(SALU_CYCLE_1)
	s_and_saveexec_b32 s0, s10
	s_cbranch_execnz .LBB321_20
; %bb.16:                               ;   in Loop: Header=BB321_9 Depth=1
	s_or_b32 exec_lo, exec_lo, s0
	s_delay_alu instid0(SALU_CYCLE_1)
	s_mov_b32 s0, exec_lo
	v_cmpx_gt_u64_e64 s[2:3], v[17:18]
	s_cbranch_execnz .LBB321_21
.LBB321_17:                             ;   in Loop: Header=BB321_9 Depth=1
	s_or_b32 exec_lo, exec_lo, s0
	s_delay_alu instid0(SALU_CYCLE_1)
	s_mov_b32 s0, exec_lo
	v_cmpx_gt_u64_e64 s[2:3], v[19:20]
	s_cbranch_execnz .LBB321_22
.LBB321_18:                             ;   in Loop: Header=BB321_9 Depth=1
	s_or_b32 exec_lo, exec_lo, s0
	s_delay_alu instid0(SALU_CYCLE_1)
	s_mov_b32 s0, exec_lo
	v_cmpx_gt_u64_e64 s[2:3], v[21:22]
	s_cbranch_execnz .LBB321_23
.LBB321_19:                             ;   in Loop: Header=BB321_9 Depth=1
	s_or_b32 exec_lo, exec_lo, s0
	s_delay_alu instid0(SALU_CYCLE_1)
	s_mov_b32 s0, exec_lo
	v_cmpx_gt_u64_e64 s[2:3], v[23:24]
	s_cbranch_execz .LBB321_8
	s_branch .LBB321_24
.LBB321_20:                             ;   in Loop: Header=BB321_9 Depth=1
	s_waitcnt vmcnt(0)
	v_add_co_u32 v9, vcc_lo, s12, v3
	v_add_co_ci_u32_e32 v10, vcc_lo, s13, v4, vcc_lo
	global_load_b64 v[9:10], v[9:10], off
	s_or_b32 exec_lo, exec_lo, s0
	s_delay_alu instid0(SALU_CYCLE_1)
	s_mov_b32 s0, exec_lo
	v_cmpx_gt_u64_e64 s[2:3], v[17:18]
	s_cbranch_execz .LBB321_17
.LBB321_21:                             ;   in Loop: Header=BB321_9 Depth=1
	s_waitcnt vmcnt(0)
	v_cvt_f32_f64_e32 v17, v[15:16]
	s_delay_alu instid0(VALU_DEP_1) | instskip(SKIP_1) | instid1(VALU_DEP_2)
	v_bfe_u32 v18, v17, 16, 1
	v_cmp_o_f32_e32 vcc_lo, v17, v17
	v_add3_u32 v18, v17, v18, 0x7fff
	s_delay_alu instid0(VALU_DEP_1) | instskip(NEXT) | instid1(VALU_DEP_1)
	v_lshrrev_b32_e32 v18, 16, v18
	v_cndmask_b32_e32 v17, 0x7fc0, v18, vcc_lo
	global_store_b16 v[5:6], v17, off
	s_or_b32 exec_lo, exec_lo, s0
	s_delay_alu instid0(SALU_CYCLE_1)
	s_mov_b32 s0, exec_lo
	v_cmpx_gt_u64_e64 s[2:3], v[19:20]
	s_cbranch_execz .LBB321_18
.LBB321_22:                             ;   in Loop: Header=BB321_9 Depth=1
	s_waitcnt vmcnt(0)
	v_cvt_f32_f64_e32 v17, v[13:14]
	s_delay_alu instid0(VALU_DEP_1) | instskip(SKIP_1) | instid1(VALU_DEP_2)
	v_bfe_u32 v18, v17, 16, 1
	v_cmp_o_f32_e32 vcc_lo, v17, v17
	v_add3_u32 v18, v17, v18, 0x7fff
	s_delay_alu instid0(VALU_DEP_1) | instskip(NEXT) | instid1(VALU_DEP_1)
	v_lshrrev_b32_e32 v18, 16, v18
	v_cndmask_b32_e32 v17, 0x7fc0, v18, vcc_lo
	global_store_b16 v[7:8], v17, off
	s_or_b32 exec_lo, exec_lo, s0
	s_delay_alu instid0(SALU_CYCLE_1)
	s_mov_b32 s0, exec_lo
	v_cmpx_gt_u64_e64 s[2:3], v[21:22]
	s_cbranch_execz .LBB321_19
.LBB321_23:                             ;   in Loop: Header=BB321_9 Depth=1
	s_waitcnt vmcnt(0)
	v_cvt_f32_f64_e32 v17, v[11:12]
	s_delay_alu instid0(VALU_DEP_1) | instskip(SKIP_1) | instid1(VALU_DEP_2)
	v_bfe_u32 v18, v17, 16, 1
	v_cmp_o_f32_e32 vcc_lo, v17, v17
	v_add3_u32 v18, v17, v18, 0x7fff
	s_delay_alu instid0(VALU_DEP_1) | instskip(NEXT) | instid1(VALU_DEP_1)
	v_lshrrev_b32_e32 v18, 16, v18
	v_cndmask_b32_e32 v19, 0x7fc0, v18, vcc_lo
	v_add_co_u32 v17, vcc_lo, v5, s1
	v_add_co_ci_u32_e32 v18, vcc_lo, 0, v6, vcc_lo
	global_store_b16 v[17:18], v19, off
	s_or_b32 exec_lo, exec_lo, s0
	s_delay_alu instid0(SALU_CYCLE_1)
	s_mov_b32 s0, exec_lo
	v_cmpx_gt_u64_e64 s[2:3], v[23:24]
	s_cbranch_execz .LBB321_8
.LBB321_24:                             ;   in Loop: Header=BB321_9 Depth=1
	s_waitcnt vmcnt(0)
	v_cvt_f32_f64_e32 v17, v[9:10]
	s_delay_alu instid0(VALU_DEP_1) | instskip(SKIP_1) | instid1(VALU_DEP_2)
	v_bfe_u32 v18, v17, 16, 1
	v_cmp_o_f32_e32 vcc_lo, v17, v17
	v_add3_u32 v18, v17, v18, 0x7fff
	s_delay_alu instid0(VALU_DEP_1) | instskip(NEXT) | instid1(VALU_DEP_1)
	v_lshrrev_b32_e32 v18, 16, v18
	v_cndmask_b32_e32 v19, 0x7fc0, v18, vcc_lo
	v_add_co_u32 v17, vcc_lo, v5, s9
	v_add_co_ci_u32_e32 v18, vcc_lo, 0, v6, vcc_lo
	global_store_b16 v[17:18], v19, off
	s_branch .LBB321_8
.LBB321_25:
	s_nop 0
	s_sendmsg sendmsg(MSG_DEALLOC_VGPRS)
	s_endpgm
	.section	.rodata,"a",@progbits
	.p2align	6, 0x0
	.amdhsa_kernel _ZN2at6native12_GLOBAL__N_125multi_tensor_apply_kernelINS1_18TensorListMetadataILi2EEENS1_11CopyFunctorIN3c108BFloat16EdLi2ELi1ELi1EEEJNS0_4CopyIS7_dEEEEEvT_T0_DpT1_
		.amdhsa_group_segment_fixed_size 0
		.amdhsa_private_segment_fixed_size 0
		.amdhsa_kernarg_size 3408
		.amdhsa_user_sgpr_count 15
		.amdhsa_user_sgpr_dispatch_ptr 0
		.amdhsa_user_sgpr_queue_ptr 0
		.amdhsa_user_sgpr_kernarg_segment_ptr 1
		.amdhsa_user_sgpr_dispatch_id 0
		.amdhsa_user_sgpr_private_segment_size 0
		.amdhsa_wavefront_size32 1
		.amdhsa_uses_dynamic_stack 0
		.amdhsa_enable_private_segment 0
		.amdhsa_system_sgpr_workgroup_id_x 1
		.amdhsa_system_sgpr_workgroup_id_y 0
		.amdhsa_system_sgpr_workgroup_id_z 0
		.amdhsa_system_sgpr_workgroup_info 0
		.amdhsa_system_vgpr_workitem_id 0
		.amdhsa_next_free_vgpr 33
		.amdhsa_next_free_sgpr 20
		.amdhsa_reserve_vcc 1
		.amdhsa_float_round_mode_32 0
		.amdhsa_float_round_mode_16_64 0
		.amdhsa_float_denorm_mode_32 3
		.amdhsa_float_denorm_mode_16_64 3
		.amdhsa_dx10_clamp 1
		.amdhsa_ieee_mode 1
		.amdhsa_fp16_overflow 0
		.amdhsa_workgroup_processor_mode 1
		.amdhsa_memory_ordered 1
		.amdhsa_forward_progress 0
		.amdhsa_shared_vgpr_count 0
		.amdhsa_exception_fp_ieee_invalid_op 0
		.amdhsa_exception_fp_denorm_src 0
		.amdhsa_exception_fp_ieee_div_zero 0
		.amdhsa_exception_fp_ieee_overflow 0
		.amdhsa_exception_fp_ieee_underflow 0
		.amdhsa_exception_fp_ieee_inexact 0
		.amdhsa_exception_int_div_zero 0
	.end_amdhsa_kernel
	.section	.text._ZN2at6native12_GLOBAL__N_125multi_tensor_apply_kernelINS1_18TensorListMetadataILi2EEENS1_11CopyFunctorIN3c108BFloat16EdLi2ELi1ELi1EEEJNS0_4CopyIS7_dEEEEEvT_T0_DpT1_,"axG",@progbits,_ZN2at6native12_GLOBAL__N_125multi_tensor_apply_kernelINS1_18TensorListMetadataILi2EEENS1_11CopyFunctorIN3c108BFloat16EdLi2ELi1ELi1EEEJNS0_4CopyIS7_dEEEEEvT_T0_DpT1_,comdat
.Lfunc_end321:
	.size	_ZN2at6native12_GLOBAL__N_125multi_tensor_apply_kernelINS1_18TensorListMetadataILi2EEENS1_11CopyFunctorIN3c108BFloat16EdLi2ELi1ELi1EEEJNS0_4CopyIS7_dEEEEEvT_T0_DpT1_, .Lfunc_end321-_ZN2at6native12_GLOBAL__N_125multi_tensor_apply_kernelINS1_18TensorListMetadataILi2EEENS1_11CopyFunctorIN3c108BFloat16EdLi2ELi1ELi1EEEJNS0_4CopyIS7_dEEEEEvT_T0_DpT1_
                                        ; -- End function
	.section	.AMDGPU.csdata,"",@progbits
; Kernel info:
; codeLenInByte = 1816
; NumSgprs: 22
; NumVgprs: 33
; ScratchSize: 0
; MemoryBound: 0
; FloatMode: 240
; IeeeMode: 1
; LDSByteSize: 0 bytes/workgroup (compile time only)
; SGPRBlocks: 2
; VGPRBlocks: 4
; NumSGPRsForWavesPerEU: 22
; NumVGPRsForWavesPerEU: 33
; Occupancy: 16
; WaveLimiterHint : 0
; COMPUTE_PGM_RSRC2:SCRATCH_EN: 0
; COMPUTE_PGM_RSRC2:USER_SGPR: 15
; COMPUTE_PGM_RSRC2:TRAP_HANDLER: 0
; COMPUTE_PGM_RSRC2:TGID_X_EN: 1
; COMPUTE_PGM_RSRC2:TGID_Y_EN: 0
; COMPUTE_PGM_RSRC2:TGID_Z_EN: 0
; COMPUTE_PGM_RSRC2:TIDIG_COMP_CNT: 0
	.section	.text._ZN2at6native12_GLOBAL__N_125multi_tensor_apply_kernelINS1_18TensorListMetadataILi2EEENS1_11CopyFunctorIN3c108BFloat16EfLi2ELi1ELi1EEEJNS0_4CopyIS7_fEEEEEvT_T0_DpT1_,"axG",@progbits,_ZN2at6native12_GLOBAL__N_125multi_tensor_apply_kernelINS1_18TensorListMetadataILi2EEENS1_11CopyFunctorIN3c108BFloat16EfLi2ELi1ELi1EEEJNS0_4CopyIS7_fEEEEEvT_T0_DpT1_,comdat
	.globl	_ZN2at6native12_GLOBAL__N_125multi_tensor_apply_kernelINS1_18TensorListMetadataILi2EEENS1_11CopyFunctorIN3c108BFloat16EfLi2ELi1ELi1EEEJNS0_4CopyIS7_fEEEEEvT_T0_DpT1_ ; -- Begin function _ZN2at6native12_GLOBAL__N_125multi_tensor_apply_kernelINS1_18TensorListMetadataILi2EEENS1_11CopyFunctorIN3c108BFloat16EfLi2ELi1ELi1EEEJNS0_4CopyIS7_fEEEEEvT_T0_DpT1_
	.p2align	8
	.type	_ZN2at6native12_GLOBAL__N_125multi_tensor_apply_kernelINS1_18TensorListMetadataILi2EEENS1_11CopyFunctorIN3c108BFloat16EfLi2ELi1ELi1EEEJNS0_4CopyIS7_fEEEEEvT_T0_DpT1_,@function
_ZN2at6native12_GLOBAL__N_125multi_tensor_apply_kernelINS1_18TensorListMetadataILi2EEENS1_11CopyFunctorIN3c108BFloat16EfLi2ELi1ELi1EEEJNS0_4CopyIS7_fEEEEEvT_T0_DpT1_: ; @_ZN2at6native12_GLOBAL__N_125multi_tensor_apply_kernelINS1_18TensorListMetadataILi2EEENS1_11CopyFunctorIN3c108BFloat16EfLi2ELi1ELi1EEEJNS0_4CopyIS7_fEEEEEvT_T0_DpT1_
; %bb.0:
	v_mov_b32_e32 v1, s15
	s_add_u32 s2, s0, s15
	s_mul_hi_u32 s3, s15, 3
	s_mul_i32 s15, s15, 3
	s_addc_u32 s4, s1, 0
	global_load_u8 v1, v1, s[0:1] offset:1536
	s_add_u32 s2, s2, s15
	s_addc_u32 s3, s4, s3
	s_mov_b32 s15, 0
	s_load_b32 s10, s[2:3], 0x740
	s_waitcnt lgkmcnt(0)
	s_ashr_i32 s11, s10, 31
	s_delay_alu instid0(SALU_CYCLE_1) | instskip(SKIP_2) | instid1(VALU_DEP_1)
	s_lshl_b64 s[16:17], s[10:11], 16
	s_waitcnt vmcnt(0)
	v_readfirstlane_b32 s5, v1
	s_lshl_b32 s4, s5, 3
	s_clause 0x2
	s_load_b64 s[2:3], s[0:1], s4 offset:0x0
	s_load_b64 s[8:9], s[0:1], s4 offset:0x200
	;; [unrolled: 1-line block ×3, first 2 shown]
	s_lshl_b64 s[4:5], s[10:11], 18
	s_waitcnt lgkmcnt(0)
	s_add_u32 s12, s2, s4
	s_addc_u32 s13, s3, s5
	s_and_b32 s18, s8, 7
	s_and_b32 s19, s6, 3
	;; [unrolled: 1-line block ×3, first 2 shown]
	s_or_b32 s18, s19, s18
	s_mov_b32 s19, s15
	s_delay_alu instid0(SALU_CYCLE_1)
	s_or_b64 s[14:15], s[14:15], s[18:19]
	s_sub_u32 s6, s6, s16
	s_subb_u32 s7, s7, s17
	s_cmp_eq_u64 s[14:15], 0
	s_mov_b32 s14, -1
	s_cbranch_scc0 .LBB322_5
; %bb.1:
	v_dual_mov_b32 v2, 0 :: v_dual_lshlrev_b32 v1, 2, v0
	s_mov_b32 s14, exec_lo
	s_delay_alu instid0(VALU_DEP_1)
	v_cmpx_gt_i64_e64 s[6:7], v[1:2]
	s_cbranch_execz .LBB322_4
; %bb.2:
	s_load_b32 s15, s[0:1], 0xc5c
	v_lshlrev_b32_e32 v3, 4, v0
	v_lshlrev_b32_e32 v5, 3, v0
	s_waitcnt lgkmcnt(0)
	s_and_b32 s17, s15, 0xffff
	s_delay_alu instid0(SALU_CYCLE_1)
	s_lshl_b32 s15, s17, 2
	s_add_u32 s4, s2, s4
	s_addc_u32 s16, s3, s5
	v_add_co_u32 v3, s4, s4, v3
	s_lshl_b64 s[2:3], s[10:11], 17
	s_lshl_b32 s5, s17, 4
	v_add_co_ci_u32_e64 v4, null, s16, 0, s4
	s_add_u32 s2, s8, s2
	s_addc_u32 s3, s9, s3
	v_add_co_u32 v3, vcc_lo, v3, 8
	v_add_co_u32 v5, s2, s2, v5
	v_add_lshl_u32 v1, v0, s17, 2
	v_add_co_ci_u32_e32 v4, vcc_lo, 0, v4, vcc_lo
	v_add_co_ci_u32_e64 v6, null, s3, 0, s2
	s_mov_b32 s16, 0
	s_lshl_b32 s17, s17, 3
.LBB322_3:                              ; =>This Inner Loop Header: Depth=1
	global_load_b128 v[7:10], v[3:4], off offset:-8
	v_cmp_le_i64_e32 vcc_lo, s[6:7], v[1:2]
	v_cmp_lt_u64_e64 s2, 0xffff, v[1:2]
	v_add_co_u32 v1, s3, v1, s15
	s_delay_alu instid0(VALU_DEP_1) | instskip(SKIP_1) | instid1(VALU_DEP_1)
	v_add_co_ci_u32_e64 v2, s3, 0, v2, s3
	v_add_co_u32 v3, s3, v3, s5
	v_add_co_ci_u32_e64 v4, s3, 0, v4, s3
	s_or_b32 s2, vcc_lo, s2
	s_delay_alu instid0(SALU_CYCLE_1) | instskip(NEXT) | instid1(SALU_CYCLE_1)
	s_and_b32 s18, exec_lo, s2
	s_or_b32 s16, s18, s16
	s_waitcnt vmcnt(0)
	v_bfe_u32 v11, v7, 16, 1
	v_bfe_u32 v12, v8, 16, 1
	;; [unrolled: 1-line block ×4, first 2 shown]
	v_cmp_o_f32_e64 s3, v7, v7
	v_add3_u32 v11, v7, v11, 0x7fff
	v_add3_u32 v12, v8, v12, 0x7fff
	;; [unrolled: 1-line block ×4, first 2 shown]
	v_cmp_o_f32_e64 s4, v8, v8
	v_lshrrev_b32_e32 v11, 16, v11
	v_and_b32_e32 v12, 0xffff0000, v12
	v_lshrrev_b32_e32 v13, 16, v13
	v_and_b32_e32 v14, 0xffff0000, v14
	v_cmp_o_f32_e32 vcc_lo, v10, v10
	v_cmp_o_f32_e64 s2, v9, v9
	v_cndmask_b32_e64 v7, 0x7fc00000, v12, s4
	v_cndmask_b32_e64 v8, 0x7fc0, v11, s3
	v_cndmask_b32_e32 v9, 0x7fc00000, v14, vcc_lo
	s_delay_alu instid0(VALU_DEP_4) | instskip(NEXT) | instid1(VALU_DEP_3)
	v_cndmask_b32_e64 v10, 0x7fc0, v13, s2
	v_or_b32_e32 v7, v7, v8
	s_delay_alu instid0(VALU_DEP_2) | instskip(NEXT) | instid1(VALU_DEP_2)
	v_or3_b32 v8, 0, v10, v9
	v_or3_b32 v7, v7, 0, 0
	global_store_b64 v[5:6], v[7:8], off
	v_add_co_u32 v5, vcc_lo, v5, s17
	v_add_co_ci_u32_e32 v6, vcc_lo, 0, v6, vcc_lo
	s_and_not1_b32 exec_lo, exec_lo, s16
	s_cbranch_execnz .LBB322_3
.LBB322_4:
	s_or_b32 exec_lo, exec_lo, s14
	s_mov_b32 s14, 0
.LBB322_5:
	s_delay_alu instid0(SALU_CYCLE_1)
	s_and_not1_b32 vcc_lo, exec_lo, s14
	s_cbranch_vccnz .LBB322_25
; %bb.6:
	v_cmp_lt_i64_e64 s2, s[6:7], 1
	s_delay_alu instid0(VALU_DEP_1)
	s_and_b32 vcc_lo, exec_lo, s2
	s_cbranch_vccnz .LBB322_25
; %bb.7:
	s_load_b32 s0, s[0:1], 0xc5c
	v_cmp_gt_u64_e64 s1, 0x10000, s[6:7]
	v_dual_mov_b32 v2, 0 :: v_dual_lshlrev_b32 v5, 1, v0
	v_lshlrev_b32_e32 v1, 2, v0
                                        ; implicit-def: $vgpr25
                                        ; implicit-def: $vgpr26
                                        ; implicit-def: $vgpr27
                                        ; implicit-def: $vgpr28
	s_waitcnt lgkmcnt(0)
	s_and_b32 s0, s0, 0xffff
	s_delay_alu instid0(VALU_DEP_3)
	s_and_b32 s1, s1, exec_lo
	s_cselect_b32 s3, s7, 0
	s_cselect_b32 s2, s6, 0x10000
	s_lshl_b64 s[4:5], s[10:11], 17
	s_lshl_b32 s15, s0, 1
	s_lshl_b32 s1, s0, 2
	;; [unrolled: 1-line block ×3, first 2 shown]
	s_add_u32 s4, s8, s4
	s_addc_u32 s5, s9, s5
	v_add_co_u32 v5, s9, s4, v5
	s_delay_alu instid0(VALU_DEP_1) | instskip(SKIP_3) | instid1(VALU_DEP_2)
	v_add_co_ci_u32_e64 v6, null, s5, 0, s9
	v_add_co_u32 v18, s9, v0, s0
	s_mul_i32 s16, s0, 3
	v_mad_u64_u32 v[3:4], null, s0, 12, v[1:2]
	v_lshlrev_b32_e32 v7, 1, v18
	v_add_co_u32 v2, s8, s16, v0
	s_delay_alu instid0(VALU_DEP_1)
	v_add_co_ci_u32_e64 v17, null, 0, 0, s8
	s_lshl_b32 s8, s0, 3
	v_add_co_ci_u32_e64 v21, null, 0, 0, s9
	v_add_co_u32 v19, s10, s8, v1
	v_add_co_u32 v22, s9, s15, v0
	;; [unrolled: 1-line block ×3, first 2 shown]
	v_add_co_ci_u32_e64 v20, null, 0, 0, s10
	v_add_co_ci_u32_e64 v23, null, 0, 0, s9
	v_lshlrev_b32_e32 v24, 2, v18
	v_add_co_ci_u32_e64 v8, null, s5, 0, s4
	s_mul_i32 s9, s0, 6
	s_mov_b64 s[4:5], 0
	s_branch .LBB322_9
.LBB322_8:                              ;   in Loop: Header=BB322_9 Depth=1
	s_or_b32 exec_lo, exec_lo, s0
	s_add_u32 s4, s4, s1
	s_addc_u32 s5, s5, 0
	v_add_co_u32 v5, vcc_lo, v5, s8
	v_cmp_ge_i64_e64 s0, s[4:5], s[6:7]
	v_cmp_lt_u64_e64 s10, 0xffff, s[4:5]
	v_add_co_ci_u32_e32 v6, vcc_lo, 0, v6, vcc_lo
	v_add_co_u32 v7, vcc_lo, v7, s8
	v_add_co_ci_u32_e32 v8, vcc_lo, 0, v8, vcc_lo
	s_delay_alu instid0(VALU_DEP_4)
	s_or_b32 s0, s0, s10
	s_add_u32 s12, s12, s14
	s_addc_u32 s13, s13, 0
	s_and_b32 vcc_lo, exec_lo, s0
	s_cbranch_vccnz .LBB322_25
.LBB322_9:                              ; =>This Inner Loop Header: Depth=1
	v_add_co_u32 v9, s0, v0, s4
	s_delay_alu instid0(VALU_DEP_1) | instskip(NEXT) | instid1(VALU_DEP_1)
	v_add_co_ci_u32_e64 v10, null, 0, s5, s0
	v_cmp_gt_i64_e32 vcc_lo, s[6:7], v[9:10]
	v_cmp_gt_u64_e64 s0, 0x10000, v[9:10]
	s_delay_alu instid0(VALU_DEP_1) | instskip(NEXT) | instid1(SALU_CYCLE_1)
	s_and_b32 s10, vcc_lo, s0
	s_and_saveexec_b32 s0, s10
	s_cbranch_execz .LBB322_11
; %bb.10:                               ;   in Loop: Header=BB322_9 Depth=1
	v_add_co_u32 v11, s10, s12, v1
	s_delay_alu instid0(VALU_DEP_1)
	v_add_co_ci_u32_e64 v12, null, s13, 0, s10
	global_load_b32 v28, v[11:12], off
.LBB322_11:                             ;   in Loop: Header=BB322_9 Depth=1
	s_or_b32 exec_lo, exec_lo, s0
	v_add_co_u32 v11, vcc_lo, v18, s4
	v_add_co_ci_u32_e32 v12, vcc_lo, s5, v21, vcc_lo
	s_delay_alu instid0(VALU_DEP_1) | instskip(SKIP_1) | instid1(VALU_DEP_1)
	v_cmp_gt_i64_e32 vcc_lo, s[6:7], v[11:12]
	v_cmp_gt_u64_e64 s0, 0x10000, v[11:12]
	s_and_b32 s10, vcc_lo, s0
	s_delay_alu instid0(SALU_CYCLE_1)
	s_and_saveexec_b32 s0, s10
	s_cbranch_execz .LBB322_13
; %bb.12:                               ;   in Loop: Header=BB322_9 Depth=1
	v_add_co_u32 v13, s10, s12, v24
	s_delay_alu instid0(VALU_DEP_1)
	v_add_co_ci_u32_e64 v14, null, s13, 0, s10
	global_load_b32 v27, v[13:14], off
.LBB322_13:                             ;   in Loop: Header=BB322_9 Depth=1
	s_or_b32 exec_lo, exec_lo, s0
	v_add_co_u32 v13, vcc_lo, v22, s4
	v_add_co_ci_u32_e32 v14, vcc_lo, s5, v23, vcc_lo
	s_delay_alu instid0(VALU_DEP_1) | instskip(SKIP_1) | instid1(VALU_DEP_1)
	v_cmp_gt_i64_e32 vcc_lo, s[6:7], v[13:14]
	v_cmp_gt_u64_e64 s0, 0x10000, v[13:14]
	s_and_b32 s10, vcc_lo, s0
	s_delay_alu instid0(SALU_CYCLE_1)
	s_and_saveexec_b32 s0, s10
	s_cbranch_execz .LBB322_15
; %bb.14:                               ;   in Loop: Header=BB322_9 Depth=1
	v_add_co_u32 v15, vcc_lo, s12, v19
	v_add_co_ci_u32_e32 v16, vcc_lo, s13, v20, vcc_lo
	global_load_b32 v26, v[15:16], off
.LBB322_15:                             ;   in Loop: Header=BB322_9 Depth=1
	s_or_b32 exec_lo, exec_lo, s0
	v_add_co_u32 v15, vcc_lo, v2, s4
	v_add_co_ci_u32_e32 v16, vcc_lo, s5, v17, vcc_lo
	s_delay_alu instid0(VALU_DEP_1) | instskip(SKIP_1) | instid1(VALU_DEP_1)
	v_cmp_gt_i64_e32 vcc_lo, s[6:7], v[15:16]
	v_cmp_gt_u64_e64 s0, 0x10000, v[15:16]
	s_and_b32 s10, vcc_lo, s0
	s_delay_alu instid0(SALU_CYCLE_1)
	s_and_saveexec_b32 s0, s10
	s_cbranch_execnz .LBB322_20
; %bb.16:                               ;   in Loop: Header=BB322_9 Depth=1
	s_or_b32 exec_lo, exec_lo, s0
	s_delay_alu instid0(SALU_CYCLE_1)
	s_mov_b32 s0, exec_lo
	v_cmpx_gt_u64_e64 s[2:3], v[9:10]
	s_cbranch_execnz .LBB322_21
.LBB322_17:                             ;   in Loop: Header=BB322_9 Depth=1
	s_or_b32 exec_lo, exec_lo, s0
	s_delay_alu instid0(SALU_CYCLE_1)
	s_mov_b32 s0, exec_lo
	v_cmpx_gt_u64_e64 s[2:3], v[11:12]
	s_cbranch_execnz .LBB322_22
.LBB322_18:                             ;   in Loop: Header=BB322_9 Depth=1
	s_or_b32 exec_lo, exec_lo, s0
	s_delay_alu instid0(SALU_CYCLE_1)
	s_mov_b32 s0, exec_lo
	v_cmpx_gt_u64_e64 s[2:3], v[13:14]
	s_cbranch_execnz .LBB322_23
.LBB322_19:                             ;   in Loop: Header=BB322_9 Depth=1
	s_or_b32 exec_lo, exec_lo, s0
	s_delay_alu instid0(SALU_CYCLE_1)
	s_mov_b32 s0, exec_lo
	v_cmpx_gt_u64_e64 s[2:3], v[15:16]
	s_cbranch_execz .LBB322_8
	s_branch .LBB322_24
.LBB322_20:                             ;   in Loop: Header=BB322_9 Depth=1
	v_add_co_u32 v29, vcc_lo, s12, v3
	v_add_co_ci_u32_e32 v30, vcc_lo, s13, v4, vcc_lo
	global_load_b32 v25, v[29:30], off
	s_or_b32 exec_lo, exec_lo, s0
	s_delay_alu instid0(SALU_CYCLE_1)
	s_mov_b32 s0, exec_lo
	v_cmpx_gt_u64_e64 s[2:3], v[9:10]
	s_cbranch_execz .LBB322_17
.LBB322_21:                             ;   in Loop: Header=BB322_9 Depth=1
	s_waitcnt vmcnt(0)
	v_bfe_u32 v9, v28, 16, 1
	v_cmp_o_f32_e32 vcc_lo, v28, v28
	s_delay_alu instid0(VALU_DEP_2) | instskip(NEXT) | instid1(VALU_DEP_1)
	v_add3_u32 v9, v28, v9, 0x7fff
	v_lshrrev_b32_e32 v9, 16, v9
	s_delay_alu instid0(VALU_DEP_1) | instskip(SKIP_2) | instid1(SALU_CYCLE_1)
	v_cndmask_b32_e32 v9, 0x7fc0, v9, vcc_lo
	global_store_b16 v[5:6], v9, off
	s_or_b32 exec_lo, exec_lo, s0
	s_mov_b32 s0, exec_lo
	v_cmpx_gt_u64_e64 s[2:3], v[11:12]
	s_cbranch_execz .LBB322_18
.LBB322_22:                             ;   in Loop: Header=BB322_9 Depth=1
	s_waitcnt vmcnt(0)
	v_bfe_u32 v9, v27, 16, 1
	v_cmp_o_f32_e32 vcc_lo, v27, v27
	s_delay_alu instid0(VALU_DEP_2) | instskip(NEXT) | instid1(VALU_DEP_1)
	v_add3_u32 v9, v27, v9, 0x7fff
	v_lshrrev_b32_e32 v9, 16, v9
	s_delay_alu instid0(VALU_DEP_1) | instskip(SKIP_2) | instid1(SALU_CYCLE_1)
	v_cndmask_b32_e32 v9, 0x7fc0, v9, vcc_lo
	global_store_b16 v[7:8], v9, off
	s_or_b32 exec_lo, exec_lo, s0
	s_mov_b32 s0, exec_lo
	v_cmpx_gt_u64_e64 s[2:3], v[13:14]
	s_cbranch_execz .LBB322_19
.LBB322_23:                             ;   in Loop: Header=BB322_9 Depth=1
	s_waitcnt vmcnt(0)
	v_bfe_u32 v9, v26, 16, 1
	v_cmp_o_f32_e32 vcc_lo, v26, v26
	s_delay_alu instid0(VALU_DEP_2) | instskip(NEXT) | instid1(VALU_DEP_1)
	v_add3_u32 v9, v26, v9, 0x7fff
	v_lshrrev_b32_e32 v9, 16, v9
	s_delay_alu instid0(VALU_DEP_1) | instskip(SKIP_4) | instid1(SALU_CYCLE_1)
	v_cndmask_b32_e32 v11, 0x7fc0, v9, vcc_lo
	v_add_co_u32 v9, vcc_lo, v5, s1
	v_add_co_ci_u32_e32 v10, vcc_lo, 0, v6, vcc_lo
	global_store_b16 v[9:10], v11, off
	s_or_b32 exec_lo, exec_lo, s0
	s_mov_b32 s0, exec_lo
	v_cmpx_gt_u64_e64 s[2:3], v[15:16]
	s_cbranch_execz .LBB322_8
.LBB322_24:                             ;   in Loop: Header=BB322_9 Depth=1
	s_waitcnt vmcnt(0)
	v_bfe_u32 v9, v25, 16, 1
	v_cmp_o_f32_e32 vcc_lo, v25, v25
	s_delay_alu instid0(VALU_DEP_2) | instskip(NEXT) | instid1(VALU_DEP_1)
	v_add3_u32 v9, v25, v9, 0x7fff
	v_lshrrev_b32_e32 v9, 16, v9
	s_delay_alu instid0(VALU_DEP_1)
	v_cndmask_b32_e32 v11, 0x7fc0, v9, vcc_lo
	v_add_co_u32 v9, vcc_lo, v5, s9
	v_add_co_ci_u32_e32 v10, vcc_lo, 0, v6, vcc_lo
	global_store_b16 v[9:10], v11, off
	s_branch .LBB322_8
.LBB322_25:
	s_nop 0
	s_sendmsg sendmsg(MSG_DEALLOC_VGPRS)
	s_endpgm
	.section	.rodata,"a",@progbits
	.p2align	6, 0x0
	.amdhsa_kernel _ZN2at6native12_GLOBAL__N_125multi_tensor_apply_kernelINS1_18TensorListMetadataILi2EEENS1_11CopyFunctorIN3c108BFloat16EfLi2ELi1ELi1EEEJNS0_4CopyIS7_fEEEEEvT_T0_DpT1_
		.amdhsa_group_segment_fixed_size 0
		.amdhsa_private_segment_fixed_size 0
		.amdhsa_kernarg_size 3408
		.amdhsa_user_sgpr_count 15
		.amdhsa_user_sgpr_dispatch_ptr 0
		.amdhsa_user_sgpr_queue_ptr 0
		.amdhsa_user_sgpr_kernarg_segment_ptr 1
		.amdhsa_user_sgpr_dispatch_id 0
		.amdhsa_user_sgpr_private_segment_size 0
		.amdhsa_wavefront_size32 1
		.amdhsa_uses_dynamic_stack 0
		.amdhsa_enable_private_segment 0
		.amdhsa_system_sgpr_workgroup_id_x 1
		.amdhsa_system_sgpr_workgroup_id_y 0
		.amdhsa_system_sgpr_workgroup_id_z 0
		.amdhsa_system_sgpr_workgroup_info 0
		.amdhsa_system_vgpr_workitem_id 0
		.amdhsa_next_free_vgpr 31
		.amdhsa_next_free_sgpr 20
		.amdhsa_reserve_vcc 1
		.amdhsa_float_round_mode_32 0
		.amdhsa_float_round_mode_16_64 0
		.amdhsa_float_denorm_mode_32 3
		.amdhsa_float_denorm_mode_16_64 3
		.amdhsa_dx10_clamp 1
		.amdhsa_ieee_mode 1
		.amdhsa_fp16_overflow 0
		.amdhsa_workgroup_processor_mode 1
		.amdhsa_memory_ordered 1
		.amdhsa_forward_progress 0
		.amdhsa_shared_vgpr_count 0
		.amdhsa_exception_fp_ieee_invalid_op 0
		.amdhsa_exception_fp_denorm_src 0
		.amdhsa_exception_fp_ieee_div_zero 0
		.amdhsa_exception_fp_ieee_overflow 0
		.amdhsa_exception_fp_ieee_underflow 0
		.amdhsa_exception_fp_ieee_inexact 0
		.amdhsa_exception_int_div_zero 0
	.end_amdhsa_kernel
	.section	.text._ZN2at6native12_GLOBAL__N_125multi_tensor_apply_kernelINS1_18TensorListMetadataILi2EEENS1_11CopyFunctorIN3c108BFloat16EfLi2ELi1ELi1EEEJNS0_4CopyIS7_fEEEEEvT_T0_DpT1_,"axG",@progbits,_ZN2at6native12_GLOBAL__N_125multi_tensor_apply_kernelINS1_18TensorListMetadataILi2EEENS1_11CopyFunctorIN3c108BFloat16EfLi2ELi1ELi1EEEJNS0_4CopyIS7_fEEEEEvT_T0_DpT1_,comdat
.Lfunc_end322:
	.size	_ZN2at6native12_GLOBAL__N_125multi_tensor_apply_kernelINS1_18TensorListMetadataILi2EEENS1_11CopyFunctorIN3c108BFloat16EfLi2ELi1ELi1EEEJNS0_4CopyIS7_fEEEEEvT_T0_DpT1_, .Lfunc_end322-_ZN2at6native12_GLOBAL__N_125multi_tensor_apply_kernelINS1_18TensorListMetadataILi2EEENS1_11CopyFunctorIN3c108BFloat16EfLi2ELi1ELi1EEEJNS0_4CopyIS7_fEEEEEvT_T0_DpT1_
                                        ; -- End function
	.section	.AMDGPU.csdata,"",@progbits
; Kernel info:
; codeLenInByte = 1728
; NumSgprs: 22
; NumVgprs: 31
; ScratchSize: 0
; MemoryBound: 0
; FloatMode: 240
; IeeeMode: 1
; LDSByteSize: 0 bytes/workgroup (compile time only)
; SGPRBlocks: 2
; VGPRBlocks: 3
; NumSGPRsForWavesPerEU: 22
; NumVGPRsForWavesPerEU: 31
; Occupancy: 16
; WaveLimiterHint : 0
; COMPUTE_PGM_RSRC2:SCRATCH_EN: 0
; COMPUTE_PGM_RSRC2:USER_SGPR: 15
; COMPUTE_PGM_RSRC2:TRAP_HANDLER: 0
; COMPUTE_PGM_RSRC2:TGID_X_EN: 1
; COMPUTE_PGM_RSRC2:TGID_Y_EN: 0
; COMPUTE_PGM_RSRC2:TGID_Z_EN: 0
; COMPUTE_PGM_RSRC2:TIDIG_COMP_CNT: 0
	.section	.text._ZN2at6native12_GLOBAL__N_125multi_tensor_apply_kernelINS1_18TensorListMetadataILi2EEENS1_11CopyFunctorIN3c108BFloat16ENS6_7complexIdEELi2ELi1ELi1EEEJNS0_4CopyIS7_S9_EEEEEvT_T0_DpT1_,"axG",@progbits,_ZN2at6native12_GLOBAL__N_125multi_tensor_apply_kernelINS1_18TensorListMetadataILi2EEENS1_11CopyFunctorIN3c108BFloat16ENS6_7complexIdEELi2ELi1ELi1EEEJNS0_4CopyIS7_S9_EEEEEvT_T0_DpT1_,comdat
	.globl	_ZN2at6native12_GLOBAL__N_125multi_tensor_apply_kernelINS1_18TensorListMetadataILi2EEENS1_11CopyFunctorIN3c108BFloat16ENS6_7complexIdEELi2ELi1ELi1EEEJNS0_4CopyIS7_S9_EEEEEvT_T0_DpT1_ ; -- Begin function _ZN2at6native12_GLOBAL__N_125multi_tensor_apply_kernelINS1_18TensorListMetadataILi2EEENS1_11CopyFunctorIN3c108BFloat16ENS6_7complexIdEELi2ELi1ELi1EEEJNS0_4CopyIS7_S9_EEEEEvT_T0_DpT1_
	.p2align	8
	.type	_ZN2at6native12_GLOBAL__N_125multi_tensor_apply_kernelINS1_18TensorListMetadataILi2EEENS1_11CopyFunctorIN3c108BFloat16ENS6_7complexIdEELi2ELi1ELi1EEEJNS0_4CopyIS7_S9_EEEEEvT_T0_DpT1_,@function
_ZN2at6native12_GLOBAL__N_125multi_tensor_apply_kernelINS1_18TensorListMetadataILi2EEENS1_11CopyFunctorIN3c108BFloat16ENS6_7complexIdEELi2ELi1ELi1EEEJNS0_4CopyIS7_S9_EEEEEvT_T0_DpT1_: ; @_ZN2at6native12_GLOBAL__N_125multi_tensor_apply_kernelINS1_18TensorListMetadataILi2EEENS1_11CopyFunctorIN3c108BFloat16ENS6_7complexIdEELi2ELi1ELi1EEEJNS0_4CopyIS7_S9_EEEEEvT_T0_DpT1_
; %bb.0:
	v_mov_b32_e32 v1, s15
	s_add_u32 s2, s0, s15
	s_mul_hi_u32 s3, s15, 3
	s_mul_i32 s15, s15, 3
	s_addc_u32 s4, s1, 0
	global_load_u8 v1, v1, s[0:1] offset:1536
	s_add_u32 s2, s2, s15
	s_addc_u32 s3, s4, s3
	s_mov_b32 s15, 0
	s_load_b32 s10, s[2:3], 0x740
	s_waitcnt lgkmcnt(0)
	s_ashr_i32 s11, s10, 31
	s_delay_alu instid0(SALU_CYCLE_1) | instskip(SKIP_2) | instid1(VALU_DEP_1)
	s_lshl_b64 s[16:17], s[10:11], 16
	s_waitcnt vmcnt(0)
	v_readfirstlane_b32 s5, v1
	s_lshl_b32 s4, s5, 3
	s_clause 0x2
	s_load_b64 s[2:3], s[0:1], s4 offset:0x0
	s_load_b64 s[8:9], s[0:1], s4 offset:0x200
	;; [unrolled: 1-line block ×3, first 2 shown]
	s_lshl_b64 s[4:5], s[10:11], 20
	s_waitcnt lgkmcnt(0)
	s_add_u32 s12, s2, s4
	s_addc_u32 s13, s3, s5
	s_and_b32 s18, s8, 7
	s_and_b32 s19, s6, 3
	s_and_b32 s14, s12, 63
	s_or_b32 s18, s19, s18
	s_mov_b32 s19, s15
	s_delay_alu instid0(SALU_CYCLE_1)
	s_or_b64 s[14:15], s[14:15], s[18:19]
	s_sub_u32 s6, s6, s16
	s_subb_u32 s7, s7, s17
	s_cmp_eq_u64 s[14:15], 0
	s_mov_b32 s14, -1
	s_cbranch_scc0 .LBB323_5
; %bb.1:
	v_dual_mov_b32 v2, 0 :: v_dual_lshlrev_b32 v1, 2, v0
	s_mov_b32 s14, exec_lo
	s_delay_alu instid0(VALU_DEP_1)
	v_cmpx_gt_i64_e64 s[6:7], v[1:2]
	s_cbranch_execz .LBB323_4
; %bb.2:
	s_load_b32 s15, s[0:1], 0xc5c
	v_lshlrev_b32_e32 v3, 6, v0
	v_lshlrev_b32_e32 v5, 3, v0
	s_waitcnt lgkmcnt(0)
	s_and_b32 s17, s15, 0xffff
	s_delay_alu instid0(SALU_CYCLE_1)
	s_lshl_b32 s15, s17, 2
	s_add_u32 s4, s2, s4
	s_addc_u32 s16, s3, s5
	v_add_co_u32 v3, s4, s4, v3
	s_lshl_b64 s[2:3], s[10:11], 17
	s_lshl_b32 s5, s17, 6
	v_add_co_ci_u32_e64 v4, null, s16, 0, s4
	s_add_u32 s2, s8, s2
	s_addc_u32 s3, s9, s3
	v_add_co_u32 v3, vcc_lo, v3, 32
	v_add_co_u32 v5, s2, s2, v5
	v_add_lshl_u32 v1, v0, s17, 2
	v_add_co_ci_u32_e32 v4, vcc_lo, 0, v4, vcc_lo
	v_add_co_ci_u32_e64 v6, null, s3, 0, s2
	s_mov_b32 s16, 0
	s_lshl_b32 s17, s17, 3
.LBB323_3:                              ; =>This Inner Loop Header: Depth=1
	s_clause 0x3
	global_load_b64 v[7:8], v[3:4], off offset:-32
	global_load_b64 v[9:10], v[3:4], off offset:-16
	global_load_b64 v[11:12], v[3:4], off
	global_load_b64 v[13:14], v[3:4], off offset:16
	v_cmp_le_i64_e32 vcc_lo, s[6:7], v[1:2]
	v_cmp_lt_u64_e64 s2, 0xffff, v[1:2]
	v_add_co_u32 v1, s3, v1, s15
	s_delay_alu instid0(VALU_DEP_1) | instskip(SKIP_1) | instid1(VALU_DEP_1)
	v_add_co_ci_u32_e64 v2, s3, 0, v2, s3
	v_add_co_u32 v3, s3, v3, s5
	v_add_co_ci_u32_e64 v4, s3, 0, v4, s3
	s_or_b32 s2, vcc_lo, s2
	s_delay_alu instid0(SALU_CYCLE_1) | instskip(NEXT) | instid1(SALU_CYCLE_1)
	s_and_b32 s18, exec_lo, s2
	s_or_b32 s16, s18, s16
	s_waitcnt vmcnt(3)
	v_cvt_f32_f64_e32 v7, v[7:8]
	s_waitcnt vmcnt(2)
	v_cvt_f32_f64_e32 v8, v[9:10]
	s_waitcnt vmcnt(1)
	v_cvt_f32_f64_e32 v9, v[11:12]
	s_waitcnt vmcnt(0)
	v_cvt_f32_f64_e32 v10, v[13:14]
	s_delay_alu instid0(VALU_DEP_4) | instskip(NEXT) | instid1(VALU_DEP_4)
	v_bfe_u32 v11, v7, 16, 1
	v_bfe_u32 v12, v8, 16, 1
	s_delay_alu instid0(VALU_DEP_4) | instskip(NEXT) | instid1(VALU_DEP_4)
	v_bfe_u32 v13, v9, 16, 1
	v_bfe_u32 v14, v10, 16, 1
	v_cmp_o_f32_e64 s3, v7, v7
	v_add3_u32 v11, v7, v11, 0x7fff
	v_add3_u32 v12, v8, v12, 0x7fff
	;; [unrolled: 1-line block ×4, first 2 shown]
	v_cmp_o_f32_e64 s4, v8, v8
	v_lshrrev_b32_e32 v11, 16, v11
	v_and_b32_e32 v12, 0xffff0000, v12
	v_lshrrev_b32_e32 v13, 16, v13
	v_and_b32_e32 v14, 0xffff0000, v14
	v_cmp_o_f32_e32 vcc_lo, v10, v10
	v_cmp_o_f32_e64 s2, v9, v9
	v_cndmask_b32_e64 v7, 0x7fc00000, v12, s4
	v_cndmask_b32_e64 v8, 0x7fc0, v11, s3
	v_cndmask_b32_e32 v9, 0x7fc00000, v14, vcc_lo
	s_delay_alu instid0(VALU_DEP_4) | instskip(NEXT) | instid1(VALU_DEP_3)
	v_cndmask_b32_e64 v10, 0x7fc0, v13, s2
	v_or_b32_e32 v7, v7, v8
	s_delay_alu instid0(VALU_DEP_2) | instskip(NEXT) | instid1(VALU_DEP_2)
	v_or3_b32 v8, 0, v10, v9
	v_or3_b32 v7, v7, 0, 0
	global_store_b64 v[5:6], v[7:8], off
	v_add_co_u32 v5, vcc_lo, v5, s17
	v_add_co_ci_u32_e32 v6, vcc_lo, 0, v6, vcc_lo
	s_and_not1_b32 exec_lo, exec_lo, s16
	s_cbranch_execnz .LBB323_3
.LBB323_4:
	s_or_b32 exec_lo, exec_lo, s14
	s_mov_b32 s14, 0
.LBB323_5:
	s_delay_alu instid0(SALU_CYCLE_1)
	s_and_not1_b32 vcc_lo, exec_lo, s14
	s_cbranch_vccnz .LBB323_25
; %bb.6:
	v_cmp_lt_i64_e64 s2, s[6:7], 1
	s_delay_alu instid0(VALU_DEP_1)
	s_and_b32 vcc_lo, exec_lo, s2
	s_cbranch_vccnz .LBB323_25
; %bb.7:
	s_load_b32 s0, s[0:1], 0xc5c
	v_cmp_gt_u64_e64 s1, 0x10000, s[6:7]
	v_lshlrev_b32_e32 v5, 1, v0
	v_mov_b32_e32 v9, 0
	v_mov_b32_e32 v10, 0
	v_dual_mov_b32 v2, 0 :: v_dual_lshlrev_b32 v1, 4, v0
	s_delay_alu instid0(VALU_DEP_2)
	v_dual_mov_b32 v12, v10 :: v_dual_mov_b32 v11, v9
	v_dual_mov_b32 v14, v10 :: v_dual_mov_b32 v13, v9
	;; [unrolled: 1-line block ×3, first 2 shown]
	s_waitcnt lgkmcnt(0)
	s_and_b32 s0, s0, 0xffff
	s_and_b32 s1, s1, exec_lo
	s_cselect_b32 s3, s7, 0
	s_cselect_b32 s2, s6, 0x10000
	s_lshl_b64 s[4:5], s[10:11], 17
	s_lshl_b32 s15, s0, 1
	s_lshl_b32 s1, s0, 2
	;; [unrolled: 1-line block ×3, first 2 shown]
	s_add_u32 s4, s8, s4
	s_addc_u32 s5, s9, s5
	v_add_co_u32 v5, s9, s4, v5
	s_delay_alu instid0(VALU_DEP_1) | instskip(SKIP_4) | instid1(VALU_DEP_3)
	v_add_co_ci_u32_e64 v6, null, s5, 0, s9
	v_add_co_u32 v26, s9, v0, s0
	s_mul_i32 s16, s0, 3
	v_mad_u64_u32 v[3:4], null, s0, 48, v[1:2]
	v_add_co_u32 v2, s8, s16, v0
	v_lshlrev_b32_e32 v7, 1, v26
	v_add_co_ci_u32_e64 v25, null, 0, 0, s8
	s_lshl_b32 s8, s0, 5
	v_add_co_ci_u32_e64 v29, null, 0, 0, s9
	v_add_co_u32 v27, s8, s8, v1
	s_delay_alu instid0(VALU_DEP_1)
	v_add_co_ci_u32_e64 v28, null, 0, 0, s8
	v_add_co_u32 v30, s8, s15, v0
	v_add_co_u32 v7, s4, s4, v7
	v_add_co_ci_u32_e64 v31, null, 0, 0, s8
	v_lshlrev_b32_e32 v32, 4, v26
	v_add_co_ci_u32_e64 v8, null, s5, 0, s4
	s_lshl_b32 s8, s0, 3
	s_mul_i32 s9, s0, 6
	s_mov_b64 s[4:5], 0
	s_branch .LBB323_9
.LBB323_8:                              ;   in Loop: Header=BB323_9 Depth=1
	s_or_b32 exec_lo, exec_lo, s0
	s_add_u32 s4, s4, s1
	s_addc_u32 s5, s5, 0
	v_add_co_u32 v5, vcc_lo, v5, s8
	v_cmp_ge_i64_e64 s0, s[4:5], s[6:7]
	v_cmp_lt_u64_e64 s10, 0xffff, s[4:5]
	v_add_co_ci_u32_e32 v6, vcc_lo, 0, v6, vcc_lo
	v_add_co_u32 v7, vcc_lo, v7, s8
	v_add_co_ci_u32_e32 v8, vcc_lo, 0, v8, vcc_lo
	s_delay_alu instid0(VALU_DEP_4)
	s_or_b32 s0, s0, s10
	s_add_u32 s12, s12, s14
	s_addc_u32 s13, s13, 0
	s_and_b32 vcc_lo, exec_lo, s0
	s_cbranch_vccnz .LBB323_25
.LBB323_9:                              ; =>This Inner Loop Header: Depth=1
	v_add_co_u32 v17, s0, v0, s4
	s_delay_alu instid0(VALU_DEP_1) | instskip(NEXT) | instid1(VALU_DEP_1)
	v_add_co_ci_u32_e64 v18, null, 0, s5, s0
	v_cmp_gt_i64_e32 vcc_lo, s[6:7], v[17:18]
	v_cmp_gt_u64_e64 s0, 0x10000, v[17:18]
	s_delay_alu instid0(VALU_DEP_1) | instskip(NEXT) | instid1(SALU_CYCLE_1)
	s_and_b32 s10, vcc_lo, s0
	s_and_saveexec_b32 s0, s10
	s_cbranch_execz .LBB323_11
; %bb.10:                               ;   in Loop: Header=BB323_9 Depth=1
	s_waitcnt vmcnt(0)
	v_add_co_u32 v15, s10, s12, v1
	s_delay_alu instid0(VALU_DEP_1)
	v_add_co_ci_u32_e64 v16, null, s13, 0, s10
	global_load_b64 v[15:16], v[15:16], off
.LBB323_11:                             ;   in Loop: Header=BB323_9 Depth=1
	s_or_b32 exec_lo, exec_lo, s0
	v_add_co_u32 v19, vcc_lo, v26, s4
	v_add_co_ci_u32_e32 v20, vcc_lo, s5, v29, vcc_lo
	s_delay_alu instid0(VALU_DEP_1) | instskip(SKIP_1) | instid1(VALU_DEP_1)
	v_cmp_gt_i64_e32 vcc_lo, s[6:7], v[19:20]
	v_cmp_gt_u64_e64 s0, 0x10000, v[19:20]
	s_and_b32 s10, vcc_lo, s0
	s_delay_alu instid0(SALU_CYCLE_1)
	s_and_saveexec_b32 s0, s10
	s_cbranch_execz .LBB323_13
; %bb.12:                               ;   in Loop: Header=BB323_9 Depth=1
	s_waitcnt vmcnt(0)
	v_add_co_u32 v13, s10, s12, v32
	s_delay_alu instid0(VALU_DEP_1)
	v_add_co_ci_u32_e64 v14, null, s13, 0, s10
	global_load_b64 v[13:14], v[13:14], off
.LBB323_13:                             ;   in Loop: Header=BB323_9 Depth=1
	s_or_b32 exec_lo, exec_lo, s0
	v_add_co_u32 v21, vcc_lo, v30, s4
	v_add_co_ci_u32_e32 v22, vcc_lo, s5, v31, vcc_lo
	s_delay_alu instid0(VALU_DEP_1) | instskip(SKIP_1) | instid1(VALU_DEP_1)
	v_cmp_gt_i64_e32 vcc_lo, s[6:7], v[21:22]
	v_cmp_gt_u64_e64 s0, 0x10000, v[21:22]
	s_and_b32 s10, vcc_lo, s0
	s_delay_alu instid0(SALU_CYCLE_1)
	s_and_saveexec_b32 s0, s10
	s_cbranch_execz .LBB323_15
; %bb.14:                               ;   in Loop: Header=BB323_9 Depth=1
	s_waitcnt vmcnt(0)
	v_add_co_u32 v11, vcc_lo, s12, v27
	v_add_co_ci_u32_e32 v12, vcc_lo, s13, v28, vcc_lo
	global_load_b64 v[11:12], v[11:12], off
.LBB323_15:                             ;   in Loop: Header=BB323_9 Depth=1
	s_or_b32 exec_lo, exec_lo, s0
	v_add_co_u32 v23, vcc_lo, v2, s4
	v_add_co_ci_u32_e32 v24, vcc_lo, s5, v25, vcc_lo
	s_delay_alu instid0(VALU_DEP_1) | instskip(SKIP_1) | instid1(VALU_DEP_1)
	v_cmp_gt_i64_e32 vcc_lo, s[6:7], v[23:24]
	v_cmp_gt_u64_e64 s0, 0x10000, v[23:24]
	s_and_b32 s10, vcc_lo, s0
	s_delay_alu instid0(SALU_CYCLE_1)
	s_and_saveexec_b32 s0, s10
	s_cbranch_execnz .LBB323_20
; %bb.16:                               ;   in Loop: Header=BB323_9 Depth=1
	s_or_b32 exec_lo, exec_lo, s0
	s_delay_alu instid0(SALU_CYCLE_1)
	s_mov_b32 s0, exec_lo
	v_cmpx_gt_u64_e64 s[2:3], v[17:18]
	s_cbranch_execnz .LBB323_21
.LBB323_17:                             ;   in Loop: Header=BB323_9 Depth=1
	s_or_b32 exec_lo, exec_lo, s0
	s_delay_alu instid0(SALU_CYCLE_1)
	s_mov_b32 s0, exec_lo
	v_cmpx_gt_u64_e64 s[2:3], v[19:20]
	s_cbranch_execnz .LBB323_22
.LBB323_18:                             ;   in Loop: Header=BB323_9 Depth=1
	s_or_b32 exec_lo, exec_lo, s0
	s_delay_alu instid0(SALU_CYCLE_1)
	s_mov_b32 s0, exec_lo
	v_cmpx_gt_u64_e64 s[2:3], v[21:22]
	s_cbranch_execnz .LBB323_23
.LBB323_19:                             ;   in Loop: Header=BB323_9 Depth=1
	s_or_b32 exec_lo, exec_lo, s0
	s_delay_alu instid0(SALU_CYCLE_1)
	s_mov_b32 s0, exec_lo
	v_cmpx_gt_u64_e64 s[2:3], v[23:24]
	s_cbranch_execz .LBB323_8
	s_branch .LBB323_24
.LBB323_20:                             ;   in Loop: Header=BB323_9 Depth=1
	s_waitcnt vmcnt(0)
	v_add_co_u32 v9, vcc_lo, s12, v3
	v_add_co_ci_u32_e32 v10, vcc_lo, s13, v4, vcc_lo
	global_load_b64 v[9:10], v[9:10], off
	s_or_b32 exec_lo, exec_lo, s0
	s_delay_alu instid0(SALU_CYCLE_1)
	s_mov_b32 s0, exec_lo
	v_cmpx_gt_u64_e64 s[2:3], v[17:18]
	s_cbranch_execz .LBB323_17
.LBB323_21:                             ;   in Loop: Header=BB323_9 Depth=1
	s_waitcnt vmcnt(0)
	v_cvt_f32_f64_e32 v17, v[15:16]
	s_delay_alu instid0(VALU_DEP_1) | instskip(SKIP_1) | instid1(VALU_DEP_2)
	v_bfe_u32 v18, v17, 16, 1
	v_cmp_o_f32_e32 vcc_lo, v17, v17
	v_add3_u32 v18, v17, v18, 0x7fff
	s_delay_alu instid0(VALU_DEP_1) | instskip(NEXT) | instid1(VALU_DEP_1)
	v_lshrrev_b32_e32 v18, 16, v18
	v_cndmask_b32_e32 v17, 0x7fc0, v18, vcc_lo
	global_store_b16 v[5:6], v17, off
	s_or_b32 exec_lo, exec_lo, s0
	s_delay_alu instid0(SALU_CYCLE_1)
	s_mov_b32 s0, exec_lo
	v_cmpx_gt_u64_e64 s[2:3], v[19:20]
	s_cbranch_execz .LBB323_18
.LBB323_22:                             ;   in Loop: Header=BB323_9 Depth=1
	s_waitcnt vmcnt(0)
	v_cvt_f32_f64_e32 v17, v[13:14]
	s_delay_alu instid0(VALU_DEP_1) | instskip(SKIP_1) | instid1(VALU_DEP_2)
	v_bfe_u32 v18, v17, 16, 1
	v_cmp_o_f32_e32 vcc_lo, v17, v17
	v_add3_u32 v18, v17, v18, 0x7fff
	s_delay_alu instid0(VALU_DEP_1) | instskip(NEXT) | instid1(VALU_DEP_1)
	v_lshrrev_b32_e32 v18, 16, v18
	v_cndmask_b32_e32 v17, 0x7fc0, v18, vcc_lo
	global_store_b16 v[7:8], v17, off
	s_or_b32 exec_lo, exec_lo, s0
	s_delay_alu instid0(SALU_CYCLE_1)
	s_mov_b32 s0, exec_lo
	v_cmpx_gt_u64_e64 s[2:3], v[21:22]
	s_cbranch_execz .LBB323_19
.LBB323_23:                             ;   in Loop: Header=BB323_9 Depth=1
	s_waitcnt vmcnt(0)
	v_cvt_f32_f64_e32 v17, v[11:12]
	s_delay_alu instid0(VALU_DEP_1) | instskip(SKIP_1) | instid1(VALU_DEP_2)
	v_bfe_u32 v18, v17, 16, 1
	v_cmp_o_f32_e32 vcc_lo, v17, v17
	v_add3_u32 v18, v17, v18, 0x7fff
	s_delay_alu instid0(VALU_DEP_1) | instskip(NEXT) | instid1(VALU_DEP_1)
	v_lshrrev_b32_e32 v18, 16, v18
	v_cndmask_b32_e32 v19, 0x7fc0, v18, vcc_lo
	v_add_co_u32 v17, vcc_lo, v5, s1
	v_add_co_ci_u32_e32 v18, vcc_lo, 0, v6, vcc_lo
	global_store_b16 v[17:18], v19, off
	s_or_b32 exec_lo, exec_lo, s0
	s_delay_alu instid0(SALU_CYCLE_1)
	s_mov_b32 s0, exec_lo
	v_cmpx_gt_u64_e64 s[2:3], v[23:24]
	s_cbranch_execz .LBB323_8
.LBB323_24:                             ;   in Loop: Header=BB323_9 Depth=1
	s_waitcnt vmcnt(0)
	v_cvt_f32_f64_e32 v17, v[9:10]
	s_delay_alu instid0(VALU_DEP_1) | instskip(SKIP_1) | instid1(VALU_DEP_2)
	v_bfe_u32 v18, v17, 16, 1
	v_cmp_o_f32_e32 vcc_lo, v17, v17
	v_add3_u32 v18, v17, v18, 0x7fff
	s_delay_alu instid0(VALU_DEP_1) | instskip(NEXT) | instid1(VALU_DEP_1)
	v_lshrrev_b32_e32 v18, 16, v18
	v_cndmask_b32_e32 v19, 0x7fc0, v18, vcc_lo
	v_add_co_u32 v17, vcc_lo, v5, s9
	v_add_co_ci_u32_e32 v18, vcc_lo, 0, v6, vcc_lo
	global_store_b16 v[17:18], v19, off
	s_branch .LBB323_8
.LBB323_25:
	s_nop 0
	s_sendmsg sendmsg(MSG_DEALLOC_VGPRS)
	s_endpgm
	.section	.rodata,"a",@progbits
	.p2align	6, 0x0
	.amdhsa_kernel _ZN2at6native12_GLOBAL__N_125multi_tensor_apply_kernelINS1_18TensorListMetadataILi2EEENS1_11CopyFunctorIN3c108BFloat16ENS6_7complexIdEELi2ELi1ELi1EEEJNS0_4CopyIS7_S9_EEEEEvT_T0_DpT1_
		.amdhsa_group_segment_fixed_size 0
		.amdhsa_private_segment_fixed_size 0
		.amdhsa_kernarg_size 3408
		.amdhsa_user_sgpr_count 15
		.amdhsa_user_sgpr_dispatch_ptr 0
		.amdhsa_user_sgpr_queue_ptr 0
		.amdhsa_user_sgpr_kernarg_segment_ptr 1
		.amdhsa_user_sgpr_dispatch_id 0
		.amdhsa_user_sgpr_private_segment_size 0
		.amdhsa_wavefront_size32 1
		.amdhsa_uses_dynamic_stack 0
		.amdhsa_enable_private_segment 0
		.amdhsa_system_sgpr_workgroup_id_x 1
		.amdhsa_system_sgpr_workgroup_id_y 0
		.amdhsa_system_sgpr_workgroup_id_z 0
		.amdhsa_system_sgpr_workgroup_info 0
		.amdhsa_system_vgpr_workitem_id 0
		.amdhsa_next_free_vgpr 33
		.amdhsa_next_free_sgpr 20
		.amdhsa_reserve_vcc 1
		.amdhsa_float_round_mode_32 0
		.amdhsa_float_round_mode_16_64 0
		.amdhsa_float_denorm_mode_32 3
		.amdhsa_float_denorm_mode_16_64 3
		.amdhsa_dx10_clamp 1
		.amdhsa_ieee_mode 1
		.amdhsa_fp16_overflow 0
		.amdhsa_workgroup_processor_mode 1
		.amdhsa_memory_ordered 1
		.amdhsa_forward_progress 0
		.amdhsa_shared_vgpr_count 0
		.amdhsa_exception_fp_ieee_invalid_op 0
		.amdhsa_exception_fp_denorm_src 0
		.amdhsa_exception_fp_ieee_div_zero 0
		.amdhsa_exception_fp_ieee_overflow 0
		.amdhsa_exception_fp_ieee_underflow 0
		.amdhsa_exception_fp_ieee_inexact 0
		.amdhsa_exception_int_div_zero 0
	.end_amdhsa_kernel
	.section	.text._ZN2at6native12_GLOBAL__N_125multi_tensor_apply_kernelINS1_18TensorListMetadataILi2EEENS1_11CopyFunctorIN3c108BFloat16ENS6_7complexIdEELi2ELi1ELi1EEEJNS0_4CopyIS7_S9_EEEEEvT_T0_DpT1_,"axG",@progbits,_ZN2at6native12_GLOBAL__N_125multi_tensor_apply_kernelINS1_18TensorListMetadataILi2EEENS1_11CopyFunctorIN3c108BFloat16ENS6_7complexIdEELi2ELi1ELi1EEEJNS0_4CopyIS7_S9_EEEEEvT_T0_DpT1_,comdat
.Lfunc_end323:
	.size	_ZN2at6native12_GLOBAL__N_125multi_tensor_apply_kernelINS1_18TensorListMetadataILi2EEENS1_11CopyFunctorIN3c108BFloat16ENS6_7complexIdEELi2ELi1ELi1EEEJNS0_4CopyIS7_S9_EEEEEvT_T0_DpT1_, .Lfunc_end323-_ZN2at6native12_GLOBAL__N_125multi_tensor_apply_kernelINS1_18TensorListMetadataILi2EEENS1_11CopyFunctorIN3c108BFloat16ENS6_7complexIdEELi2ELi1ELi1EEEJNS0_4CopyIS7_S9_EEEEEvT_T0_DpT1_
                                        ; -- End function
	.section	.AMDGPU.csdata,"",@progbits
; Kernel info:
; codeLenInByte = 1872
; NumSgprs: 22
; NumVgprs: 33
; ScratchSize: 0
; MemoryBound: 0
; FloatMode: 240
; IeeeMode: 1
; LDSByteSize: 0 bytes/workgroup (compile time only)
; SGPRBlocks: 2
; VGPRBlocks: 4
; NumSGPRsForWavesPerEU: 22
; NumVGPRsForWavesPerEU: 33
; Occupancy: 16
; WaveLimiterHint : 0
; COMPUTE_PGM_RSRC2:SCRATCH_EN: 0
; COMPUTE_PGM_RSRC2:USER_SGPR: 15
; COMPUTE_PGM_RSRC2:TRAP_HANDLER: 0
; COMPUTE_PGM_RSRC2:TGID_X_EN: 1
; COMPUTE_PGM_RSRC2:TGID_Y_EN: 0
; COMPUTE_PGM_RSRC2:TGID_Z_EN: 0
; COMPUTE_PGM_RSRC2:TIDIG_COMP_CNT: 0
	.section	.text._ZN2at6native12_GLOBAL__N_125multi_tensor_apply_kernelINS1_18TensorListMetadataILi2EEENS1_11CopyFunctorIN3c108BFloat16ENS6_7complexIfEELi2ELi1ELi1EEEJNS0_4CopyIS7_S9_EEEEEvT_T0_DpT1_,"axG",@progbits,_ZN2at6native12_GLOBAL__N_125multi_tensor_apply_kernelINS1_18TensorListMetadataILi2EEENS1_11CopyFunctorIN3c108BFloat16ENS6_7complexIfEELi2ELi1ELi1EEEJNS0_4CopyIS7_S9_EEEEEvT_T0_DpT1_,comdat
	.globl	_ZN2at6native12_GLOBAL__N_125multi_tensor_apply_kernelINS1_18TensorListMetadataILi2EEENS1_11CopyFunctorIN3c108BFloat16ENS6_7complexIfEELi2ELi1ELi1EEEJNS0_4CopyIS7_S9_EEEEEvT_T0_DpT1_ ; -- Begin function _ZN2at6native12_GLOBAL__N_125multi_tensor_apply_kernelINS1_18TensorListMetadataILi2EEENS1_11CopyFunctorIN3c108BFloat16ENS6_7complexIfEELi2ELi1ELi1EEEJNS0_4CopyIS7_S9_EEEEEvT_T0_DpT1_
	.p2align	8
	.type	_ZN2at6native12_GLOBAL__N_125multi_tensor_apply_kernelINS1_18TensorListMetadataILi2EEENS1_11CopyFunctorIN3c108BFloat16ENS6_7complexIfEELi2ELi1ELi1EEEJNS0_4CopyIS7_S9_EEEEEvT_T0_DpT1_,@function
_ZN2at6native12_GLOBAL__N_125multi_tensor_apply_kernelINS1_18TensorListMetadataILi2EEENS1_11CopyFunctorIN3c108BFloat16ENS6_7complexIfEELi2ELi1ELi1EEEJNS0_4CopyIS7_S9_EEEEEvT_T0_DpT1_: ; @_ZN2at6native12_GLOBAL__N_125multi_tensor_apply_kernelINS1_18TensorListMetadataILi2EEENS1_11CopyFunctorIN3c108BFloat16ENS6_7complexIfEELi2ELi1ELi1EEEJNS0_4CopyIS7_S9_EEEEEvT_T0_DpT1_
; %bb.0:
	v_mov_b32_e32 v1, s15
	s_add_u32 s2, s0, s15
	s_mul_hi_u32 s3, s15, 3
	s_mul_i32 s15, s15, 3
	s_addc_u32 s4, s1, 0
	global_load_u8 v1, v1, s[0:1] offset:1536
	s_add_u32 s2, s2, s15
	s_addc_u32 s3, s4, s3
	s_mov_b32 s15, 0
	s_load_b32 s10, s[2:3], 0x740
	s_waitcnt lgkmcnt(0)
	s_ashr_i32 s11, s10, 31
	s_delay_alu instid0(SALU_CYCLE_1) | instskip(SKIP_2) | instid1(VALU_DEP_1)
	s_lshl_b64 s[16:17], s[10:11], 16
	s_waitcnt vmcnt(0)
	v_readfirstlane_b32 s5, v1
	s_lshl_b32 s4, s5, 3
	s_clause 0x2
	s_load_b64 s[2:3], s[0:1], s4 offset:0x0
	s_load_b64 s[8:9], s[0:1], s4 offset:0x200
	;; [unrolled: 1-line block ×3, first 2 shown]
	s_lshl_b64 s[4:5], s[10:11], 19
	s_waitcnt lgkmcnt(0)
	s_add_u32 s12, s2, s4
	s_addc_u32 s13, s3, s5
	s_and_b32 s18, s8, 7
	s_and_b32 s19, s6, 3
	;; [unrolled: 1-line block ×3, first 2 shown]
	s_or_b32 s18, s19, s18
	s_mov_b32 s19, s15
	s_delay_alu instid0(SALU_CYCLE_1)
	s_or_b64 s[14:15], s[14:15], s[18:19]
	s_sub_u32 s6, s6, s16
	s_subb_u32 s7, s7, s17
	s_cmp_eq_u64 s[14:15], 0
	s_mov_b32 s14, -1
	s_cbranch_scc0 .LBB324_5
; %bb.1:
	v_dual_mov_b32 v2, 0 :: v_dual_lshlrev_b32 v1, 2, v0
	s_mov_b32 s14, exec_lo
	s_delay_alu instid0(VALU_DEP_1)
	v_cmpx_gt_i64_e64 s[6:7], v[1:2]
	s_cbranch_execz .LBB324_4
; %bb.2:
	s_load_b32 s15, s[0:1], 0xc5c
	v_lshlrev_b32_e32 v3, 5, v0
	v_lshlrev_b32_e32 v5, 3, v0
	s_waitcnt lgkmcnt(0)
	s_and_b32 s17, s15, 0xffff
	s_delay_alu instid0(SALU_CYCLE_1)
	s_lshl_b32 s15, s17, 2
	s_add_u32 s4, s2, s4
	s_addc_u32 s16, s3, s5
	v_add_co_u32 v3, s4, s4, v3
	s_lshl_b64 s[2:3], s[10:11], 17
	s_lshl_b32 s5, s17, 5
	v_add_co_ci_u32_e64 v4, null, s16, 0, s4
	s_add_u32 s2, s8, s2
	s_addc_u32 s3, s9, s3
	v_add_co_u32 v3, vcc_lo, v3, 16
	v_add_co_u32 v5, s2, s2, v5
	v_add_lshl_u32 v1, v0, s17, 2
	v_add_co_ci_u32_e32 v4, vcc_lo, 0, v4, vcc_lo
	v_add_co_ci_u32_e64 v6, null, s3, 0, s2
	s_mov_b32 s16, 0
	s_lshl_b32 s17, s17, 3
.LBB324_3:                              ; =>This Inner Loop Header: Depth=1
	s_clause 0x3
	global_load_b32 v7, v[3:4], off offset:-16
	global_load_b32 v8, v[3:4], off offset:-8
	global_load_b32 v9, v[3:4], off
	global_load_b32 v10, v[3:4], off offset:8
	v_cmp_le_i64_e32 vcc_lo, s[6:7], v[1:2]
	v_cmp_lt_u64_e64 s2, 0xffff, v[1:2]
	v_add_co_u32 v1, s3, v1, s15
	s_delay_alu instid0(VALU_DEP_1) | instskip(SKIP_1) | instid1(VALU_DEP_1)
	v_add_co_ci_u32_e64 v2, s3, 0, v2, s3
	v_add_co_u32 v3, s3, v3, s5
	v_add_co_ci_u32_e64 v4, s3, 0, v4, s3
	s_or_b32 s2, vcc_lo, s2
	s_delay_alu instid0(SALU_CYCLE_1) | instskip(NEXT) | instid1(SALU_CYCLE_1)
	s_and_b32 s18, exec_lo, s2
	s_or_b32 s16, s18, s16
	s_waitcnt vmcnt(3)
	v_bfe_u32 v11, v7, 16, 1
	s_waitcnt vmcnt(2)
	v_bfe_u32 v12, v8, 16, 1
	;; [unrolled: 2-line block ×4, first 2 shown]
	v_cmp_o_f32_e64 s3, v7, v7
	v_add3_u32 v11, v7, v11, 0x7fff
	v_add3_u32 v12, v8, v12, 0x7fff
	;; [unrolled: 1-line block ×4, first 2 shown]
	v_cmp_o_f32_e64 s4, v8, v8
	v_lshrrev_b32_e32 v11, 16, v11
	v_and_b32_e32 v12, 0xffff0000, v12
	v_lshrrev_b32_e32 v13, 16, v13
	v_and_b32_e32 v14, 0xffff0000, v14
	v_cmp_o_f32_e32 vcc_lo, v10, v10
	v_cmp_o_f32_e64 s2, v9, v9
	v_cndmask_b32_e64 v7, 0x7fc00000, v12, s4
	v_cndmask_b32_e64 v8, 0x7fc0, v11, s3
	v_cndmask_b32_e32 v9, 0x7fc00000, v14, vcc_lo
	s_delay_alu instid0(VALU_DEP_4) | instskip(NEXT) | instid1(VALU_DEP_3)
	v_cndmask_b32_e64 v10, 0x7fc0, v13, s2
	v_or_b32_e32 v7, v7, v8
	s_delay_alu instid0(VALU_DEP_2) | instskip(NEXT) | instid1(VALU_DEP_2)
	v_or3_b32 v8, 0, v10, v9
	v_or3_b32 v7, v7, 0, 0
	global_store_b64 v[5:6], v[7:8], off
	v_add_co_u32 v5, vcc_lo, v5, s17
	v_add_co_ci_u32_e32 v6, vcc_lo, 0, v6, vcc_lo
	s_and_not1_b32 exec_lo, exec_lo, s16
	s_cbranch_execnz .LBB324_3
.LBB324_4:
	s_or_b32 exec_lo, exec_lo, s14
	s_mov_b32 s14, 0
.LBB324_5:
	s_delay_alu instid0(SALU_CYCLE_1)
	s_and_not1_b32 vcc_lo, exec_lo, s14
	s_cbranch_vccnz .LBB324_25
; %bb.6:
	v_cmp_lt_i64_e64 s2, s[6:7], 1
	s_delay_alu instid0(VALU_DEP_1)
	s_and_b32 vcc_lo, exec_lo, s2
	s_cbranch_vccnz .LBB324_25
; %bb.7:
	s_load_b32 s0, s[0:1], 0xc5c
	v_cmp_gt_u64_e64 s1, 0x10000, s[6:7]
	v_dual_mov_b32 v2, 0 :: v_dual_lshlrev_b32 v1, 3, v0
	s_delay_alu instid0(VALU_DEP_1)
	v_dual_mov_b32 v26, v2 :: v_dual_lshlrev_b32 v5, 1, v0
	v_mov_b32_e32 v27, v2
	v_mov_b32_e32 v28, v2
	s_waitcnt lgkmcnt(0)
	s_and_b32 s0, s0, 0xffff
	s_and_b32 s1, s1, exec_lo
	s_cselect_b32 s3, s7, 0
	s_cselect_b32 s2, s6, 0x10000
	s_lshl_b64 s[4:5], s[10:11], 17
	s_lshl_b32 s15, s0, 1
	s_lshl_b32 s1, s0, 2
	;; [unrolled: 1-line block ×3, first 2 shown]
	s_add_u32 s4, s8, s4
	s_addc_u32 s5, s9, s5
	v_add_co_u32 v5, s9, s4, v5
	s_delay_alu instid0(VALU_DEP_1) | instskip(SKIP_4) | instid1(VALU_DEP_3)
	v_add_co_ci_u32_e64 v6, null, s5, 0, s9
	v_add_co_u32 v19, s9, v0, s0
	s_mul_i32 s16, s0, 3
	v_mad_u64_u32 v[3:4], null, s0, 24, v[1:2]
	v_add_co_u32 v17, s8, s16, v0
	v_lshlrev_b32_e32 v7, 1, v19
	v_add_co_ci_u32_e64 v18, null, 0, 0, s8
	s_lshl_b32 s8, s0, 4
	v_add_co_ci_u32_e64 v22, null, 0, 0, s9
	v_add_co_u32 v20, s8, s8, v1
	s_delay_alu instid0(VALU_DEP_1)
	v_add_co_ci_u32_e64 v21, null, 0, 0, s8
	v_add_co_u32 v23, s8, s15, v0
	v_add_co_u32 v7, s4, s4, v7
	v_add_co_ci_u32_e64 v24, null, 0, 0, s8
	v_lshlrev_b32_e32 v25, 3, v19
	v_add_co_ci_u32_e64 v8, null, s5, 0, s4
	s_lshl_b32 s8, s0, 3
	s_mul_i32 s9, s0, 6
	s_mov_b64 s[4:5], 0
	s_branch .LBB324_9
.LBB324_8:                              ;   in Loop: Header=BB324_9 Depth=1
	s_or_b32 exec_lo, exec_lo, s0
	s_add_u32 s4, s4, s1
	s_addc_u32 s5, s5, 0
	v_add_co_u32 v5, vcc_lo, v5, s8
	v_cmp_ge_i64_e64 s0, s[4:5], s[6:7]
	v_cmp_lt_u64_e64 s10, 0xffff, s[4:5]
	v_add_co_ci_u32_e32 v6, vcc_lo, 0, v6, vcc_lo
	v_add_co_u32 v7, vcc_lo, v7, s8
	v_add_co_ci_u32_e32 v8, vcc_lo, 0, v8, vcc_lo
	s_delay_alu instid0(VALU_DEP_4)
	s_or_b32 s0, s0, s10
	s_add_u32 s12, s12, s14
	s_addc_u32 s13, s13, 0
	s_and_b32 vcc_lo, exec_lo, s0
	s_cbranch_vccnz .LBB324_25
.LBB324_9:                              ; =>This Inner Loop Header: Depth=1
	v_add_co_u32 v9, s0, v0, s4
	s_delay_alu instid0(VALU_DEP_1) | instskip(NEXT) | instid1(VALU_DEP_1)
	v_add_co_ci_u32_e64 v10, null, 0, s5, s0
	v_cmp_gt_i64_e32 vcc_lo, s[6:7], v[9:10]
	v_cmp_gt_u64_e64 s0, 0x10000, v[9:10]
	s_delay_alu instid0(VALU_DEP_1) | instskip(NEXT) | instid1(SALU_CYCLE_1)
	s_and_b32 s10, vcc_lo, s0
	s_and_saveexec_b32 s0, s10
	s_cbranch_execz .LBB324_11
; %bb.10:                               ;   in Loop: Header=BB324_9 Depth=1
	v_add_co_u32 v11, s10, s12, v1
	s_delay_alu instid0(VALU_DEP_1)
	v_add_co_ci_u32_e64 v12, null, s13, 0, s10
	global_load_b32 v28, v[11:12], off
.LBB324_11:                             ;   in Loop: Header=BB324_9 Depth=1
	s_or_b32 exec_lo, exec_lo, s0
	v_add_co_u32 v11, vcc_lo, v19, s4
	v_add_co_ci_u32_e32 v12, vcc_lo, s5, v22, vcc_lo
	s_delay_alu instid0(VALU_DEP_1) | instskip(SKIP_1) | instid1(VALU_DEP_1)
	v_cmp_gt_i64_e32 vcc_lo, s[6:7], v[11:12]
	v_cmp_gt_u64_e64 s0, 0x10000, v[11:12]
	s_and_b32 s10, vcc_lo, s0
	s_delay_alu instid0(SALU_CYCLE_1)
	s_and_saveexec_b32 s0, s10
	s_cbranch_execz .LBB324_13
; %bb.12:                               ;   in Loop: Header=BB324_9 Depth=1
	v_add_co_u32 v13, s10, s12, v25
	s_delay_alu instid0(VALU_DEP_1)
	v_add_co_ci_u32_e64 v14, null, s13, 0, s10
	global_load_b32 v27, v[13:14], off
.LBB324_13:                             ;   in Loop: Header=BB324_9 Depth=1
	s_or_b32 exec_lo, exec_lo, s0
	v_add_co_u32 v13, vcc_lo, v23, s4
	v_add_co_ci_u32_e32 v14, vcc_lo, s5, v24, vcc_lo
	s_delay_alu instid0(VALU_DEP_1) | instskip(SKIP_1) | instid1(VALU_DEP_1)
	v_cmp_gt_i64_e32 vcc_lo, s[6:7], v[13:14]
	v_cmp_gt_u64_e64 s0, 0x10000, v[13:14]
	s_and_b32 s10, vcc_lo, s0
	s_delay_alu instid0(SALU_CYCLE_1)
	s_and_saveexec_b32 s0, s10
	s_cbranch_execz .LBB324_15
; %bb.14:                               ;   in Loop: Header=BB324_9 Depth=1
	v_add_co_u32 v15, vcc_lo, s12, v20
	v_add_co_ci_u32_e32 v16, vcc_lo, s13, v21, vcc_lo
	global_load_b32 v26, v[15:16], off
.LBB324_15:                             ;   in Loop: Header=BB324_9 Depth=1
	s_or_b32 exec_lo, exec_lo, s0
	v_add_co_u32 v15, vcc_lo, v17, s4
	v_add_co_ci_u32_e32 v16, vcc_lo, s5, v18, vcc_lo
	s_delay_alu instid0(VALU_DEP_1) | instskip(SKIP_1) | instid1(VALU_DEP_1)
	v_cmp_gt_i64_e32 vcc_lo, s[6:7], v[15:16]
	v_cmp_gt_u64_e64 s0, 0x10000, v[15:16]
	s_and_b32 s10, vcc_lo, s0
	s_delay_alu instid0(SALU_CYCLE_1)
	s_and_saveexec_b32 s0, s10
	s_cbranch_execnz .LBB324_20
; %bb.16:                               ;   in Loop: Header=BB324_9 Depth=1
	s_or_b32 exec_lo, exec_lo, s0
	s_delay_alu instid0(SALU_CYCLE_1)
	s_mov_b32 s0, exec_lo
	v_cmpx_gt_u64_e64 s[2:3], v[9:10]
	s_cbranch_execnz .LBB324_21
.LBB324_17:                             ;   in Loop: Header=BB324_9 Depth=1
	s_or_b32 exec_lo, exec_lo, s0
	s_delay_alu instid0(SALU_CYCLE_1)
	s_mov_b32 s0, exec_lo
	v_cmpx_gt_u64_e64 s[2:3], v[11:12]
	s_cbranch_execnz .LBB324_22
.LBB324_18:                             ;   in Loop: Header=BB324_9 Depth=1
	s_or_b32 exec_lo, exec_lo, s0
	s_delay_alu instid0(SALU_CYCLE_1)
	s_mov_b32 s0, exec_lo
	v_cmpx_gt_u64_e64 s[2:3], v[13:14]
	s_cbranch_execnz .LBB324_23
.LBB324_19:                             ;   in Loop: Header=BB324_9 Depth=1
	s_or_b32 exec_lo, exec_lo, s0
	s_delay_alu instid0(SALU_CYCLE_1)
	s_mov_b32 s0, exec_lo
	v_cmpx_gt_u64_e64 s[2:3], v[15:16]
	s_cbranch_execz .LBB324_8
	s_branch .LBB324_24
.LBB324_20:                             ;   in Loop: Header=BB324_9 Depth=1
	v_add_co_u32 v29, vcc_lo, s12, v3
	v_add_co_ci_u32_e32 v30, vcc_lo, s13, v4, vcc_lo
	global_load_b32 v2, v[29:30], off
	s_or_b32 exec_lo, exec_lo, s0
	s_delay_alu instid0(SALU_CYCLE_1)
	s_mov_b32 s0, exec_lo
	v_cmpx_gt_u64_e64 s[2:3], v[9:10]
	s_cbranch_execz .LBB324_17
.LBB324_21:                             ;   in Loop: Header=BB324_9 Depth=1
	s_waitcnt vmcnt(0)
	v_bfe_u32 v9, v28, 16, 1
	v_cmp_o_f32_e32 vcc_lo, v28, v28
	s_delay_alu instid0(VALU_DEP_2) | instskip(NEXT) | instid1(VALU_DEP_1)
	v_add3_u32 v9, v28, v9, 0x7fff
	v_lshrrev_b32_e32 v9, 16, v9
	s_delay_alu instid0(VALU_DEP_1) | instskip(SKIP_2) | instid1(SALU_CYCLE_1)
	v_cndmask_b32_e32 v9, 0x7fc0, v9, vcc_lo
	global_store_b16 v[5:6], v9, off
	s_or_b32 exec_lo, exec_lo, s0
	s_mov_b32 s0, exec_lo
	v_cmpx_gt_u64_e64 s[2:3], v[11:12]
	s_cbranch_execz .LBB324_18
.LBB324_22:                             ;   in Loop: Header=BB324_9 Depth=1
	s_waitcnt vmcnt(0)
	v_bfe_u32 v9, v27, 16, 1
	v_cmp_o_f32_e32 vcc_lo, v27, v27
	s_delay_alu instid0(VALU_DEP_2) | instskip(NEXT) | instid1(VALU_DEP_1)
	v_add3_u32 v9, v27, v9, 0x7fff
	v_lshrrev_b32_e32 v9, 16, v9
	s_delay_alu instid0(VALU_DEP_1) | instskip(SKIP_2) | instid1(SALU_CYCLE_1)
	v_cndmask_b32_e32 v9, 0x7fc0, v9, vcc_lo
	global_store_b16 v[7:8], v9, off
	s_or_b32 exec_lo, exec_lo, s0
	s_mov_b32 s0, exec_lo
	v_cmpx_gt_u64_e64 s[2:3], v[13:14]
	s_cbranch_execz .LBB324_19
.LBB324_23:                             ;   in Loop: Header=BB324_9 Depth=1
	s_waitcnt vmcnt(0)
	v_bfe_u32 v9, v26, 16, 1
	v_cmp_o_f32_e32 vcc_lo, v26, v26
	s_delay_alu instid0(VALU_DEP_2) | instskip(NEXT) | instid1(VALU_DEP_1)
	v_add3_u32 v9, v26, v9, 0x7fff
	v_lshrrev_b32_e32 v9, 16, v9
	s_delay_alu instid0(VALU_DEP_1) | instskip(SKIP_4) | instid1(SALU_CYCLE_1)
	v_cndmask_b32_e32 v11, 0x7fc0, v9, vcc_lo
	v_add_co_u32 v9, vcc_lo, v5, s1
	v_add_co_ci_u32_e32 v10, vcc_lo, 0, v6, vcc_lo
	global_store_b16 v[9:10], v11, off
	s_or_b32 exec_lo, exec_lo, s0
	s_mov_b32 s0, exec_lo
	v_cmpx_gt_u64_e64 s[2:3], v[15:16]
	s_cbranch_execz .LBB324_8
.LBB324_24:                             ;   in Loop: Header=BB324_9 Depth=1
	s_waitcnt vmcnt(0)
	v_bfe_u32 v9, v2, 16, 1
	v_cmp_o_f32_e32 vcc_lo, v2, v2
	s_delay_alu instid0(VALU_DEP_2) | instskip(NEXT) | instid1(VALU_DEP_1)
	v_add3_u32 v9, v2, v9, 0x7fff
	v_lshrrev_b32_e32 v9, 16, v9
	s_delay_alu instid0(VALU_DEP_1)
	v_cndmask_b32_e32 v11, 0x7fc0, v9, vcc_lo
	v_add_co_u32 v9, vcc_lo, v5, s9
	v_add_co_ci_u32_e32 v10, vcc_lo, 0, v6, vcc_lo
	global_store_b16 v[9:10], v11, off
	s_branch .LBB324_8
.LBB324_25:
	s_nop 0
	s_sendmsg sendmsg(MSG_DEALLOC_VGPRS)
	s_endpgm
	.section	.rodata,"a",@progbits
	.p2align	6, 0x0
	.amdhsa_kernel _ZN2at6native12_GLOBAL__N_125multi_tensor_apply_kernelINS1_18TensorListMetadataILi2EEENS1_11CopyFunctorIN3c108BFloat16ENS6_7complexIfEELi2ELi1ELi1EEEJNS0_4CopyIS7_S9_EEEEEvT_T0_DpT1_
		.amdhsa_group_segment_fixed_size 0
		.amdhsa_private_segment_fixed_size 0
		.amdhsa_kernarg_size 3408
		.amdhsa_user_sgpr_count 15
		.amdhsa_user_sgpr_dispatch_ptr 0
		.amdhsa_user_sgpr_queue_ptr 0
		.amdhsa_user_sgpr_kernarg_segment_ptr 1
		.amdhsa_user_sgpr_dispatch_id 0
		.amdhsa_user_sgpr_private_segment_size 0
		.amdhsa_wavefront_size32 1
		.amdhsa_uses_dynamic_stack 0
		.amdhsa_enable_private_segment 0
		.amdhsa_system_sgpr_workgroup_id_x 1
		.amdhsa_system_sgpr_workgroup_id_y 0
		.amdhsa_system_sgpr_workgroup_id_z 0
		.amdhsa_system_sgpr_workgroup_info 0
		.amdhsa_system_vgpr_workitem_id 0
		.amdhsa_next_free_vgpr 31
		.amdhsa_next_free_sgpr 20
		.amdhsa_reserve_vcc 1
		.amdhsa_float_round_mode_32 0
		.amdhsa_float_round_mode_16_64 0
		.amdhsa_float_denorm_mode_32 3
		.amdhsa_float_denorm_mode_16_64 3
		.amdhsa_dx10_clamp 1
		.amdhsa_ieee_mode 1
		.amdhsa_fp16_overflow 0
		.amdhsa_workgroup_processor_mode 1
		.amdhsa_memory_ordered 1
		.amdhsa_forward_progress 0
		.amdhsa_shared_vgpr_count 0
		.amdhsa_exception_fp_ieee_invalid_op 0
		.amdhsa_exception_fp_denorm_src 0
		.amdhsa_exception_fp_ieee_div_zero 0
		.amdhsa_exception_fp_ieee_overflow 0
		.amdhsa_exception_fp_ieee_underflow 0
		.amdhsa_exception_fp_ieee_inexact 0
		.amdhsa_exception_int_div_zero 0
	.end_amdhsa_kernel
	.section	.text._ZN2at6native12_GLOBAL__N_125multi_tensor_apply_kernelINS1_18TensorListMetadataILi2EEENS1_11CopyFunctorIN3c108BFloat16ENS6_7complexIfEELi2ELi1ELi1EEEJNS0_4CopyIS7_S9_EEEEEvT_T0_DpT1_,"axG",@progbits,_ZN2at6native12_GLOBAL__N_125multi_tensor_apply_kernelINS1_18TensorListMetadataILi2EEENS1_11CopyFunctorIN3c108BFloat16ENS6_7complexIfEELi2ELi1ELi1EEEJNS0_4CopyIS7_S9_EEEEEvT_T0_DpT1_,comdat
.Lfunc_end324:
	.size	_ZN2at6native12_GLOBAL__N_125multi_tensor_apply_kernelINS1_18TensorListMetadataILi2EEENS1_11CopyFunctorIN3c108BFloat16ENS6_7complexIfEELi2ELi1ELi1EEEJNS0_4CopyIS7_S9_EEEEEvT_T0_DpT1_, .Lfunc_end324-_ZN2at6native12_GLOBAL__N_125multi_tensor_apply_kernelINS1_18TensorListMetadataILi2EEENS1_11CopyFunctorIN3c108BFloat16ENS6_7complexIfEELi2ELi1ELi1EEEJNS0_4CopyIS7_S9_EEEEEvT_T0_DpT1_
                                        ; -- End function
	.section	.AMDGPU.csdata,"",@progbits
; Kernel info:
; codeLenInByte = 1784
; NumSgprs: 22
; NumVgprs: 31
; ScratchSize: 0
; MemoryBound: 0
; FloatMode: 240
; IeeeMode: 1
; LDSByteSize: 0 bytes/workgroup (compile time only)
; SGPRBlocks: 2
; VGPRBlocks: 3
; NumSGPRsForWavesPerEU: 22
; NumVGPRsForWavesPerEU: 31
; Occupancy: 16
; WaveLimiterHint : 0
; COMPUTE_PGM_RSRC2:SCRATCH_EN: 0
; COMPUTE_PGM_RSRC2:USER_SGPR: 15
; COMPUTE_PGM_RSRC2:TRAP_HANDLER: 0
; COMPUTE_PGM_RSRC2:TGID_X_EN: 1
; COMPUTE_PGM_RSRC2:TGID_Y_EN: 0
; COMPUTE_PGM_RSRC2:TGID_Z_EN: 0
; COMPUTE_PGM_RSRC2:TIDIG_COMP_CNT: 0
	.section	.text._ZN2at6native12_GLOBAL__N_125multi_tensor_apply_kernelINS1_18TensorListMetadataILi2EEENS1_11CopyFunctorIN3c108BFloat16ENS6_4HalfELi2ELi1ELi1EEEJNS0_4CopyIS7_S8_EEEEEvT_T0_DpT1_,"axG",@progbits,_ZN2at6native12_GLOBAL__N_125multi_tensor_apply_kernelINS1_18TensorListMetadataILi2EEENS1_11CopyFunctorIN3c108BFloat16ENS6_4HalfELi2ELi1ELi1EEEJNS0_4CopyIS7_S8_EEEEEvT_T0_DpT1_,comdat
	.globl	_ZN2at6native12_GLOBAL__N_125multi_tensor_apply_kernelINS1_18TensorListMetadataILi2EEENS1_11CopyFunctorIN3c108BFloat16ENS6_4HalfELi2ELi1ELi1EEEJNS0_4CopyIS7_S8_EEEEEvT_T0_DpT1_ ; -- Begin function _ZN2at6native12_GLOBAL__N_125multi_tensor_apply_kernelINS1_18TensorListMetadataILi2EEENS1_11CopyFunctorIN3c108BFloat16ENS6_4HalfELi2ELi1ELi1EEEJNS0_4CopyIS7_S8_EEEEEvT_T0_DpT1_
	.p2align	8
	.type	_ZN2at6native12_GLOBAL__N_125multi_tensor_apply_kernelINS1_18TensorListMetadataILi2EEENS1_11CopyFunctorIN3c108BFloat16ENS6_4HalfELi2ELi1ELi1EEEJNS0_4CopyIS7_S8_EEEEEvT_T0_DpT1_,@function
_ZN2at6native12_GLOBAL__N_125multi_tensor_apply_kernelINS1_18TensorListMetadataILi2EEENS1_11CopyFunctorIN3c108BFloat16ENS6_4HalfELi2ELi1ELi1EEEJNS0_4CopyIS7_S8_EEEEEvT_T0_DpT1_: ; @_ZN2at6native12_GLOBAL__N_125multi_tensor_apply_kernelINS1_18TensorListMetadataILi2EEENS1_11CopyFunctorIN3c108BFloat16ENS6_4HalfELi2ELi1ELi1EEEJNS0_4CopyIS7_S8_EEEEEvT_T0_DpT1_
; %bb.0:
	v_mov_b32_e32 v1, s15
	s_add_u32 s2, s0, s15
	s_mul_hi_u32 s3, s15, 3
	s_mul_i32 s15, s15, 3
	s_addc_u32 s4, s1, 0
	global_load_u8 v1, v1, s[0:1] offset:1536
	s_add_u32 s2, s2, s15
	s_addc_u32 s3, s4, s3
	s_mov_b32 s15, 0
	s_load_b32 s8, s[2:3], 0x740
	s_waitcnt lgkmcnt(0)
	s_ashr_i32 s9, s8, 31
	s_waitcnt vmcnt(0)
	v_readfirstlane_b32 s4, v1
	s_delay_alu instid0(VALU_DEP_1)
	s_lshl_b32 s2, s4, 3
	s_lshl_b64 s[4:5], s[8:9], 16
	s_clause 0x2
	s_load_b64 s[10:11], s[0:1], s2 offset:0x200
	s_load_b64 s[12:13], s[0:1], s2 offset:0x0
	;; [unrolled: 1-line block ×3, first 2 shown]
	s_lshl_b32 s6, s4, 1
	s_waitcnt lgkmcnt(0)
	s_add_i32 s7, s10, s6
	s_add_i32 s6, s12, s6
	s_and_b32 s7, s7, 7
	s_and_b32 s14, s2, 3
	;; [unrolled: 1-line block ×3, first 2 shown]
	s_or_b32 s7, s14, s7
	s_delay_alu instid0(SALU_CYCLE_1)
	s_or_b32 s14, s7, s6
	s_sub_u32 s6, s2, s4
	s_subb_u32 s7, s3, s5
	s_cmp_eq_u64 s[14:15], 0
	s_mov_b32 s2, -1
	s_cbranch_scc0 .LBB325_5
; %bb.1:
	v_dual_mov_b32 v2, 0 :: v_dual_lshlrev_b32 v1, 2, v0
	s_mov_b32 s5, exec_lo
	s_delay_alu instid0(VALU_DEP_1)
	v_cmpx_gt_i64_e64 s[6:7], v[1:2]
	s_cbranch_execz .LBB325_4
; %bb.2:
	s_load_b32 s4, s[0:1], 0xc5c
	s_lshl_b64 s[2:3], s[8:9], 17
	s_mov_b32 s14, 0
	v_lshl_or_b32 v3, v0, 3, s2
	v_mov_b32_e32 v4, s3
	s_waitcnt lgkmcnt(0)
	s_and_b32 s4, s4, 0xffff
	s_delay_alu instid0(SALU_CYCLE_1)
	v_add_lshl_u32 v1, v0, s4, 2
	s_lshl_b32 s15, s4, 2
	s_lshl_b32 s16, s4, 3
.LBB325_3:                              ; =>This Inner Loop Header: Depth=1
	v_add_co_u32 v5, vcc_lo, s12, v3
	v_add_co_ci_u32_e32 v6, vcc_lo, s13, v4, vcc_lo
	v_add_co_u32 v7, vcc_lo, s10, v3
	v_add_co_ci_u32_e32 v8, vcc_lo, s11, v4, vcc_lo
	global_load_b64 v[5:6], v[5:6], off
	v_cmp_le_i64_e32 vcc_lo, s[6:7], v[1:2]
	v_cmp_lt_u64_e64 s2, 0xffff, v[1:2]
	v_add_co_u32 v1, s3, v1, s15
	s_delay_alu instid0(VALU_DEP_1) | instskip(SKIP_1) | instid1(VALU_DEP_4)
	v_add_co_ci_u32_e64 v2, s3, 0, v2, s3
	v_add_co_u32 v3, s3, v3, s16
	s_or_b32 s2, vcc_lo, s2
	v_add_co_ci_u32_e64 v4, s3, 0, v4, s3
	s_and_b32 s2, exec_lo, s2
	s_delay_alu instid0(SALU_CYCLE_1)
	s_or_b32 s14, s2, s14
	s_waitcnt vmcnt(0)
	v_lshrrev_b32_e32 v9, 16, v5
	v_cvt_f32_f16_e32 v10, v5
	v_cvt_f32_f16_e32 v11, v6
	v_lshrrev_b32_e32 v12, 16, v6
	v_cmp_o_f16_e64 s4, v5, v5
	v_cvt_f32_f16_e32 v13, v9
	v_bfe_u32 v14, v10, 16, 1
	v_bfe_u32 v15, v11, 16, 1
	v_cvt_f32_f16_e32 v16, v12
	s_delay_alu instid0(VALU_DEP_4) | instskip(NEXT) | instid1(VALU_DEP_4)
	v_bfe_u32 v17, v13, 16, 1
	v_add3_u32 v10, v10, v14, 0x7fff
	s_delay_alu instid0(VALU_DEP_4) | instskip(NEXT) | instid1(VALU_DEP_4)
	v_add3_u32 v11, v11, v15, 0x7fff
	v_bfe_u32 v14, v16, 16, 1
	s_delay_alu instid0(VALU_DEP_4) | instskip(NEXT) | instid1(VALU_DEP_4)
	v_add3_u32 v13, v13, v17, 0x7fff
	v_lshrrev_b32_e32 v10, 16, v10
	s_delay_alu instid0(VALU_DEP_4) | instskip(NEXT) | instid1(VALU_DEP_4)
	v_lshrrev_b32_e32 v11, 16, v11
	v_add3_u32 v14, v16, v14, 0x7fff
	s_delay_alu instid0(VALU_DEP_4) | instskip(NEXT) | instid1(VALU_DEP_4)
	v_and_b32_e32 v13, 0xffff0000, v13
	v_cndmask_b32_e64 v10, 0x7fc0, v10, s4
	v_cmp_o_f16_e64 s4, v9, v9
	s_delay_alu instid0(VALU_DEP_4) | instskip(NEXT) | instid1(VALU_DEP_2)
	v_and_b32_e32 v5, 0xffff0000, v14
	v_cndmask_b32_e64 v9, 0x7fc00000, v13, s4
	v_cmp_o_f16_e64 s4, v6, v6
	s_delay_alu instid0(VALU_DEP_2) | instskip(NEXT) | instid1(VALU_DEP_2)
	v_or_b32_e32 v9, v9, v10
	v_cndmask_b32_e64 v6, 0x7fc0, v11, s4
	v_cmp_o_f16_e64 s4, v12, v12
	s_delay_alu instid0(VALU_DEP_1) | instskip(NEXT) | instid1(VALU_DEP_1)
	v_cndmask_b32_e64 v5, 0x7fc00000, v5, s4
	v_or3_b32 v6, 0, v6, v5
	v_or3_b32 v5, v9, 0, 0
	global_store_b64 v[7:8], v[5:6], off
	s_and_not1_b32 exec_lo, exec_lo, s14
	s_cbranch_execnz .LBB325_3
.LBB325_4:
	s_or_b32 exec_lo, exec_lo, s5
	s_mov_b32 s2, 0
.LBB325_5:
	s_delay_alu instid0(SALU_CYCLE_1)
	s_and_not1_b32 vcc_lo, exec_lo, s2
	s_cbranch_vccnz .LBB325_25
; %bb.6:
	v_cmp_lt_i64_e64 s2, s[6:7], 1
	s_delay_alu instid0(VALU_DEP_1)
	s_and_b32 vcc_lo, exec_lo, s2
	s_cbranch_vccnz .LBB325_25
; %bb.7:
	s_load_b32 s0, s[0:1], 0xc5c
	v_dual_mov_b32 v1, 0 :: v_dual_lshlrev_b32 v2, 1, v0
	v_cmp_gt_u64_e64 s2, 0x10000, s[6:7]
	s_mov_b32 s3, 0
                                        ; implicit-def: $vgpr24
                                        ; implicit-def: $vgpr25
                                        ; implicit-def: $vgpr26
                                        ; implicit-def: $vgpr27
	s_delay_alu instid0(VALU_DEP_2) | instskip(NEXT) | instid1(VALU_DEP_3)
	v_mov_b32_e32 v3, v1
	v_add_co_u32 v8, s1, s12, v2
	s_delay_alu instid0(VALU_DEP_1) | instskip(SKIP_1) | instid1(VALU_DEP_1)
	v_add_co_ci_u32_e64 v9, null, s13, 0, s1
	v_add_co_u32 v10, s1, s10, v2
	v_add_co_ci_u32_e64 v11, null, s11, 0, s1
	s_waitcnt lgkmcnt(0)
	s_and_b32 s1, s0, 0xffff
	s_and_b32 s0, s2, exec_lo
	v_mad_u64_u32 v[4:5], null, s1, 6, v[2:3]
	s_cselect_b32 s5, s7, 0
	s_cselect_b32 s4, s6, 0x10000
	s_lshl_b32 s2, s1, 2
	s_lshl_b32 s14, s1, 1
	v_add_co_u32 v2, s0, s2, v2
	s_delay_alu instid0(VALU_DEP_2) | instskip(NEXT) | instid1(VALU_DEP_3)
	v_add_co_u32 v12, vcc_lo, s12, v4
	v_add_co_ci_u32_e32 v13, vcc_lo, s13, v5, vcc_lo
	v_add_co_u32 v14, vcc_lo, s10, v4
	v_add_lshl_u32 v4, v0, s1, 1
	v_add_co_ci_u32_e64 v3, null, 0, 0, s0
	v_add_co_ci_u32_e32 v15, vcc_lo, s11, v5, vcc_lo
	v_add_co_u32 v16, vcc_lo, s12, v2
	s_delay_alu instid0(VALU_DEP_4) | instskip(NEXT) | instid1(VALU_DEP_4)
	v_add_co_u32 v20, s0, s12, v4
	v_add_co_ci_u32_e32 v17, vcc_lo, s13, v3, vcc_lo
	v_add_co_u32 v18, vcc_lo, s10, v2
	v_add_co_ci_u32_e64 v21, null, s13, 0, s0
	v_add_co_u32 v22, s0, s10, v4
	v_add_co_ci_u32_e32 v19, vcc_lo, s11, v3, vcc_lo
	v_add_co_ci_u32_e64 v23, null, s11, 0, s0
	s_mul_i32 s15, s1, 3
	s_lshl_b64 s[8:9], s[8:9], 17
	s_lshl_b32 s12, s1, 3
	s_mov_b64 s[10:11], s[2:3]
	s_branch .LBB325_9
.LBB325_8:                              ;   in Loop: Header=BB325_9 Depth=1
	s_or_b32 exec_lo, exec_lo, s0
	v_add_co_u32 v8, vcc_lo, v8, s12
	v_add_co_ci_u32_e32 v9, vcc_lo, 0, v9, vcc_lo
	v_add_co_u32 v10, vcc_lo, v10, s12
	v_add_co_ci_u32_e32 v11, vcc_lo, 0, v11, vcc_lo
	;; [unrolled: 2-line block ×7, first 2 shown]
	v_cmp_ge_i64_e64 s0, s[10:11], s[6:7]
	v_cmp_lt_u64_e64 s3, 0xffff, s[10:11]
	v_add_co_u32 v20, vcc_lo, v20, s12
	v_add_co_ci_u32_e32 v21, vcc_lo, 0, v21, vcc_lo
	v_add_co_u32 v22, vcc_lo, v22, s12
	v_add_co_ci_u32_e32 v23, vcc_lo, 0, v23, vcc_lo
	s_or_b32 s0, s0, s3
	s_add_u32 s10, s10, s2
	s_addc_u32 s11, s11, 0
	s_and_b32 vcc_lo, exec_lo, s0
	s_cbranch_vccnz .LBB325_25
.LBB325_9:                              ; =>This Inner Loop Header: Depth=1
	v_cmp_gt_i64_e32 vcc_lo, s[6:7], v[0:1]
	v_cmp_gt_u64_e64 s0, 0x10000, v[0:1]
	s_delay_alu instid0(VALU_DEP_1) | instskip(NEXT) | instid1(SALU_CYCLE_1)
	s_and_b32 s3, vcc_lo, s0
	s_and_saveexec_b32 s0, s3
	s_cbranch_execz .LBB325_11
; %bb.10:                               ;   in Loop: Header=BB325_9 Depth=1
	v_add_co_u32 v2, vcc_lo, v8, s8
	v_add_co_ci_u32_e32 v3, vcc_lo, s9, v9, vcc_lo
	global_load_u16 v27, v[2:3], off
.LBB325_11:                             ;   in Loop: Header=BB325_9 Depth=1
	s_or_b32 exec_lo, exec_lo, s0
	v_add_co_u32 v2, vcc_lo, s1, v0
	v_add_co_ci_u32_e32 v3, vcc_lo, 0, v1, vcc_lo
	s_delay_alu instid0(VALU_DEP_1) | instskip(SKIP_1) | instid1(VALU_DEP_1)
	v_cmp_gt_i64_e32 vcc_lo, s[6:7], v[2:3]
	v_cmp_gt_u64_e64 s0, 0x10000, v[2:3]
	s_and_b32 s3, vcc_lo, s0
	s_delay_alu instid0(SALU_CYCLE_1)
	s_and_saveexec_b32 s0, s3
	s_cbranch_execz .LBB325_13
; %bb.12:                               ;   in Loop: Header=BB325_9 Depth=1
	v_add_co_u32 v4, vcc_lo, v20, s8
	v_add_co_ci_u32_e32 v5, vcc_lo, s9, v21, vcc_lo
	global_load_u16 v26, v[4:5], off
.LBB325_13:                             ;   in Loop: Header=BB325_9 Depth=1
	s_or_b32 exec_lo, exec_lo, s0
	v_add_co_u32 v4, vcc_lo, s14, v0
	v_add_co_ci_u32_e32 v5, vcc_lo, 0, v1, vcc_lo
	s_delay_alu instid0(VALU_DEP_1) | instskip(SKIP_1) | instid1(VALU_DEP_1)
	v_cmp_gt_i64_e32 vcc_lo, s[6:7], v[4:5]
	v_cmp_gt_u64_e64 s0, 0x10000, v[4:5]
	s_and_b32 s3, vcc_lo, s0
	s_delay_alu instid0(SALU_CYCLE_1)
	;; [unrolled: 15-line block ×3, first 2 shown]
	s_and_saveexec_b32 s0, s3
	s_cbranch_execnz .LBB325_20
; %bb.16:                               ;   in Loop: Header=BB325_9 Depth=1
	s_or_b32 exec_lo, exec_lo, s0
	s_delay_alu instid0(SALU_CYCLE_1)
	s_mov_b32 s0, exec_lo
	v_cmpx_gt_u64_e64 s[4:5], v[0:1]
	s_cbranch_execnz .LBB325_21
.LBB325_17:                             ;   in Loop: Header=BB325_9 Depth=1
	s_or_b32 exec_lo, exec_lo, s0
	s_delay_alu instid0(SALU_CYCLE_1)
	s_mov_b32 s0, exec_lo
	v_cmpx_gt_u64_e64 s[4:5], v[2:3]
	s_cbranch_execnz .LBB325_22
.LBB325_18:                             ;   in Loop: Header=BB325_9 Depth=1
	s_or_b32 exec_lo, exec_lo, s0
	s_delay_alu instid0(SALU_CYCLE_1)
	s_mov_b32 s0, exec_lo
	v_cmpx_gt_u64_e64 s[4:5], v[4:5]
	s_cbranch_execnz .LBB325_23
.LBB325_19:                             ;   in Loop: Header=BB325_9 Depth=1
	s_or_b32 exec_lo, exec_lo, s0
	s_delay_alu instid0(SALU_CYCLE_1)
	s_mov_b32 s0, exec_lo
	v_cmpx_gt_u64_e64 s[4:5], v[6:7]
	s_cbranch_execz .LBB325_8
	s_branch .LBB325_24
.LBB325_20:                             ;   in Loop: Header=BB325_9 Depth=1
	v_add_co_u32 v28, vcc_lo, v12, s8
	v_add_co_ci_u32_e32 v29, vcc_lo, s9, v13, vcc_lo
	global_load_u16 v24, v[28:29], off
	s_or_b32 exec_lo, exec_lo, s0
	s_delay_alu instid0(SALU_CYCLE_1)
	s_mov_b32 s0, exec_lo
	v_cmpx_gt_u64_e64 s[4:5], v[0:1]
	s_cbranch_execz .LBB325_17
.LBB325_21:                             ;   in Loop: Header=BB325_9 Depth=1
	s_waitcnt vmcnt(0)
	v_cvt_f32_f16_e32 v28, v27
	v_cmp_o_f16_e32 vcc_lo, v27, v27
	s_delay_alu instid0(VALU_DEP_2) | instskip(NEXT) | instid1(VALU_DEP_1)
	v_bfe_u32 v29, v28, 16, 1
	v_add3_u32 v28, v28, v29, 0x7fff
	s_delay_alu instid0(VALU_DEP_1) | instskip(NEXT) | instid1(VALU_DEP_1)
	v_lshrrev_b32_e32 v28, 16, v28
	v_cndmask_b32_e32 v30, 0x7fc0, v28, vcc_lo
	v_add_co_u32 v28, vcc_lo, v10, s8
	v_add_co_ci_u32_e32 v29, vcc_lo, s9, v11, vcc_lo
	global_store_b16 v[28:29], v30, off
	s_or_b32 exec_lo, exec_lo, s0
	s_delay_alu instid0(SALU_CYCLE_1)
	s_mov_b32 s0, exec_lo
	v_cmpx_gt_u64_e64 s[4:5], v[2:3]
	s_cbranch_execz .LBB325_18
.LBB325_22:                             ;   in Loop: Header=BB325_9 Depth=1
	s_waitcnt vmcnt(0)
	v_cvt_f32_f16_e32 v2, v26
	v_cmp_o_f16_e32 vcc_lo, v26, v26
	s_delay_alu instid0(VALU_DEP_2) | instskip(NEXT) | instid1(VALU_DEP_1)
	v_bfe_u32 v3, v2, 16, 1
	v_add3_u32 v2, v2, v3, 0x7fff
	s_delay_alu instid0(VALU_DEP_1) | instskip(NEXT) | instid1(VALU_DEP_1)
	v_lshrrev_b32_e32 v2, 16, v2
	v_cndmask_b32_e32 v28, 0x7fc0, v2, vcc_lo
	v_add_co_u32 v2, vcc_lo, v22, s8
	v_add_co_ci_u32_e32 v3, vcc_lo, s9, v23, vcc_lo
	global_store_b16 v[2:3], v28, off
	s_or_b32 exec_lo, exec_lo, s0
	s_delay_alu instid0(SALU_CYCLE_1)
	s_mov_b32 s0, exec_lo
	v_cmpx_gt_u64_e64 s[4:5], v[4:5]
	s_cbranch_execz .LBB325_19
.LBB325_23:                             ;   in Loop: Header=BB325_9 Depth=1
	s_waitcnt vmcnt(0)
	v_cvt_f32_f16_e32 v2, v25
	v_cmp_o_f16_e32 vcc_lo, v25, v25
	s_delay_alu instid0(VALU_DEP_2) | instskip(NEXT) | instid1(VALU_DEP_1)
	v_bfe_u32 v3, v2, 16, 1
	v_add3_u32 v2, v2, v3, 0x7fff
	s_delay_alu instid0(VALU_DEP_1) | instskip(NEXT) | instid1(VALU_DEP_1)
	v_lshrrev_b32_e32 v2, 16, v2
	v_cndmask_b32_e32 v4, 0x7fc0, v2, vcc_lo
	v_add_co_u32 v2, vcc_lo, v18, s8
	v_add_co_ci_u32_e32 v3, vcc_lo, s9, v19, vcc_lo
	global_store_b16 v[2:3], v4, off
	s_or_b32 exec_lo, exec_lo, s0
	s_delay_alu instid0(SALU_CYCLE_1)
	s_mov_b32 s0, exec_lo
	v_cmpx_gt_u64_e64 s[4:5], v[6:7]
	s_cbranch_execz .LBB325_8
.LBB325_24:                             ;   in Loop: Header=BB325_9 Depth=1
	s_waitcnt vmcnt(0)
	v_cvt_f32_f16_e32 v2, v24
	v_cmp_o_f16_e32 vcc_lo, v24, v24
	s_delay_alu instid0(VALU_DEP_2) | instskip(NEXT) | instid1(VALU_DEP_1)
	v_bfe_u32 v3, v2, 16, 1
	v_add3_u32 v2, v2, v3, 0x7fff
	s_delay_alu instid0(VALU_DEP_1) | instskip(NEXT) | instid1(VALU_DEP_1)
	v_lshrrev_b32_e32 v2, 16, v2
	v_cndmask_b32_e32 v4, 0x7fc0, v2, vcc_lo
	v_add_co_u32 v2, vcc_lo, v14, s8
	v_add_co_ci_u32_e32 v3, vcc_lo, s9, v15, vcc_lo
	global_store_b16 v[2:3], v4, off
	s_branch .LBB325_8
.LBB325_25:
	s_nop 0
	s_sendmsg sendmsg(MSG_DEALLOC_VGPRS)
	s_endpgm
	.section	.rodata,"a",@progbits
	.p2align	6, 0x0
	.amdhsa_kernel _ZN2at6native12_GLOBAL__N_125multi_tensor_apply_kernelINS1_18TensorListMetadataILi2EEENS1_11CopyFunctorIN3c108BFloat16ENS6_4HalfELi2ELi1ELi1EEEJNS0_4CopyIS7_S8_EEEEEvT_T0_DpT1_
		.amdhsa_group_segment_fixed_size 0
		.amdhsa_private_segment_fixed_size 0
		.amdhsa_kernarg_size 3408
		.amdhsa_user_sgpr_count 15
		.amdhsa_user_sgpr_dispatch_ptr 0
		.amdhsa_user_sgpr_queue_ptr 0
		.amdhsa_user_sgpr_kernarg_segment_ptr 1
		.amdhsa_user_sgpr_dispatch_id 0
		.amdhsa_user_sgpr_private_segment_size 0
		.amdhsa_wavefront_size32 1
		.amdhsa_uses_dynamic_stack 0
		.amdhsa_enable_private_segment 0
		.amdhsa_system_sgpr_workgroup_id_x 1
		.amdhsa_system_sgpr_workgroup_id_y 0
		.amdhsa_system_sgpr_workgroup_id_z 0
		.amdhsa_system_sgpr_workgroup_info 0
		.amdhsa_system_vgpr_workitem_id 0
		.amdhsa_next_free_vgpr 31
		.amdhsa_next_free_sgpr 17
		.amdhsa_reserve_vcc 1
		.amdhsa_float_round_mode_32 0
		.amdhsa_float_round_mode_16_64 0
		.amdhsa_float_denorm_mode_32 3
		.amdhsa_float_denorm_mode_16_64 3
		.amdhsa_dx10_clamp 1
		.amdhsa_ieee_mode 1
		.amdhsa_fp16_overflow 0
		.amdhsa_workgroup_processor_mode 1
		.amdhsa_memory_ordered 1
		.amdhsa_forward_progress 0
		.amdhsa_shared_vgpr_count 0
		.amdhsa_exception_fp_ieee_invalid_op 0
		.amdhsa_exception_fp_denorm_src 0
		.amdhsa_exception_fp_ieee_div_zero 0
		.amdhsa_exception_fp_ieee_overflow 0
		.amdhsa_exception_fp_ieee_underflow 0
		.amdhsa_exception_fp_ieee_inexact 0
		.amdhsa_exception_int_div_zero 0
	.end_amdhsa_kernel
	.section	.text._ZN2at6native12_GLOBAL__N_125multi_tensor_apply_kernelINS1_18TensorListMetadataILi2EEENS1_11CopyFunctorIN3c108BFloat16ENS6_4HalfELi2ELi1ELi1EEEJNS0_4CopyIS7_S8_EEEEEvT_T0_DpT1_,"axG",@progbits,_ZN2at6native12_GLOBAL__N_125multi_tensor_apply_kernelINS1_18TensorListMetadataILi2EEENS1_11CopyFunctorIN3c108BFloat16ENS6_4HalfELi2ELi1ELi1EEEJNS0_4CopyIS7_S8_EEEEEvT_T0_DpT1_,comdat
.Lfunc_end325:
	.size	_ZN2at6native12_GLOBAL__N_125multi_tensor_apply_kernelINS1_18TensorListMetadataILi2EEENS1_11CopyFunctorIN3c108BFloat16ENS6_4HalfELi2ELi1ELi1EEEJNS0_4CopyIS7_S8_EEEEEvT_T0_DpT1_, .Lfunc_end325-_ZN2at6native12_GLOBAL__N_125multi_tensor_apply_kernelINS1_18TensorListMetadataILi2EEENS1_11CopyFunctorIN3c108BFloat16ENS6_4HalfELi2ELi1ELi1EEEJNS0_4CopyIS7_S8_EEEEEvT_T0_DpT1_
                                        ; -- End function
	.section	.AMDGPU.csdata,"",@progbits
; Kernel info:
; codeLenInByte = 1844
; NumSgprs: 19
; NumVgprs: 31
; ScratchSize: 0
; MemoryBound: 0
; FloatMode: 240
; IeeeMode: 1
; LDSByteSize: 0 bytes/workgroup (compile time only)
; SGPRBlocks: 2
; VGPRBlocks: 3
; NumSGPRsForWavesPerEU: 19
; NumVGPRsForWavesPerEU: 31
; Occupancy: 16
; WaveLimiterHint : 0
; COMPUTE_PGM_RSRC2:SCRATCH_EN: 0
; COMPUTE_PGM_RSRC2:USER_SGPR: 15
; COMPUTE_PGM_RSRC2:TRAP_HANDLER: 0
; COMPUTE_PGM_RSRC2:TGID_X_EN: 1
; COMPUTE_PGM_RSRC2:TGID_Y_EN: 0
; COMPUTE_PGM_RSRC2:TGID_Z_EN: 0
; COMPUTE_PGM_RSRC2:TIDIG_COMP_CNT: 0
	.section	.text._ZN2at6native12_GLOBAL__N_125multi_tensor_apply_kernelINS1_18TensorListMetadataILi2EEENS1_14UnaryOpFunctorIN3c108BFloat16ELi2ELi1ELi1EEEJNS0_4CopyIS7_S7_EEEEEvT_T0_DpT1_,"axG",@progbits,_ZN2at6native12_GLOBAL__N_125multi_tensor_apply_kernelINS1_18TensorListMetadataILi2EEENS1_14UnaryOpFunctorIN3c108BFloat16ELi2ELi1ELi1EEEJNS0_4CopyIS7_S7_EEEEEvT_T0_DpT1_,comdat
	.globl	_ZN2at6native12_GLOBAL__N_125multi_tensor_apply_kernelINS1_18TensorListMetadataILi2EEENS1_14UnaryOpFunctorIN3c108BFloat16ELi2ELi1ELi1EEEJNS0_4CopyIS7_S7_EEEEEvT_T0_DpT1_ ; -- Begin function _ZN2at6native12_GLOBAL__N_125multi_tensor_apply_kernelINS1_18TensorListMetadataILi2EEENS1_14UnaryOpFunctorIN3c108BFloat16ELi2ELi1ELi1EEEJNS0_4CopyIS7_S7_EEEEEvT_T0_DpT1_
	.p2align	8
	.type	_ZN2at6native12_GLOBAL__N_125multi_tensor_apply_kernelINS1_18TensorListMetadataILi2EEENS1_14UnaryOpFunctorIN3c108BFloat16ELi2ELi1ELi1EEEJNS0_4CopyIS7_S7_EEEEEvT_T0_DpT1_,@function
_ZN2at6native12_GLOBAL__N_125multi_tensor_apply_kernelINS1_18TensorListMetadataILi2EEENS1_14UnaryOpFunctorIN3c108BFloat16ELi2ELi1ELi1EEEJNS0_4CopyIS7_S7_EEEEEvT_T0_DpT1_: ; @_ZN2at6native12_GLOBAL__N_125multi_tensor_apply_kernelINS1_18TensorListMetadataILi2EEENS1_14UnaryOpFunctorIN3c108BFloat16ELi2ELi1ELi1EEEJNS0_4CopyIS7_S7_EEEEEvT_T0_DpT1_
; %bb.0:
	v_mov_b32_e32 v1, s15
	s_add_u32 s2, s0, s15
	s_mul_hi_u32 s3, s15, 3
	s_mul_i32 s15, s15, 3
	s_addc_u32 s4, s1, 0
	global_load_u8 v1, v1, s[0:1] offset:1536
	s_add_u32 s2, s2, s15
	s_addc_u32 s3, s4, s3
	s_mov_b32 s9, 0
	s_load_b32 s2, s[2:3], 0x740
	s_mov_b32 s17, s9
	s_mov_b32 s15, s9
	s_waitcnt vmcnt(0)
	v_readfirstlane_b32 s5, v1
	s_delay_alu instid0(VALU_DEP_1)
	s_lshl_b32 s3, s5, 3
	s_clause 0x2
	s_load_b64 s[10:11], s[0:1], s3 offset:0x0
	s_load_b64 s[12:13], s[0:1], s3 offset:0x200
	;; [unrolled: 1-line block ×3, first 2 shown]
	s_waitcnt lgkmcnt(0)
	s_ashr_i32 s3, s2, 31
	s_delay_alu instid0(SALU_CYCLE_1) | instskip(SKIP_4) | instid1(SALU_CYCLE_1)
	s_lshl_b64 s[6:7], s[2:3], 17
	s_lshl_b64 s[2:3], s[2:3], 16
	s_and_b32 s8, s10, 7
	s_and_b32 s14, s12, 7
	;; [unrolled: 1-line block ×3, first 2 shown]
	s_or_b64 s[8:9], s[8:9], s[16:17]
	s_delay_alu instid0(SALU_CYCLE_1)
	s_or_b64 s[14:15], s[14:15], s[8:9]
	s_sub_u32 s8, s4, s2
	s_subb_u32 s9, s5, s3
	s_cmp_eq_u64 s[14:15], 0
	s_mov_b32 s2, -1
	s_cbranch_scc0 .LBB326_5
; %bb.1:
	v_dual_mov_b32 v2, 0 :: v_dual_lshlrev_b32 v1, 2, v0
	s_mov_b32 s5, exec_lo
	s_delay_alu instid0(VALU_DEP_1)
	v_cmpx_gt_i64_e64 s[8:9], v[1:2]
	s_cbranch_execz .LBB326_4
; %bb.2:
	s_load_b32 s2, s[0:1], 0xc5c
	v_lshlrev_b32_e32 v1, 3, v0
	s_mov_b32 s14, 0
	s_delay_alu instid0(VALU_DEP_1) | instskip(NEXT) | instid1(VALU_DEP_1)
	v_add_co_u32 v3, s3, s6, v1
	v_add_co_ci_u32_e64 v4, null, s7, 0, s3
	s_waitcnt lgkmcnt(0)
	s_and_b32 s2, s2, 0xffff
	s_delay_alu instid0(SALU_CYCLE_1)
	v_add_lshl_u32 v1, v0, s2, 2
	s_lshl_b32 s15, s2, 3
	s_lshl_b32 s16, s2, 2
.LBB326_3:                              ; =>This Inner Loop Header: Depth=1
	v_add_co_u32 v5, vcc_lo, s10, v3
	v_add_co_ci_u32_e32 v6, vcc_lo, s11, v4, vcc_lo
	v_add_co_u32 v7, vcc_lo, s12, v3
	v_add_co_ci_u32_e32 v8, vcc_lo, s13, v4, vcc_lo
	global_load_b64 v[5:6], v[5:6], off
	v_cmp_le_i64_e32 vcc_lo, s[8:9], v[1:2]
	v_cmp_lt_u64_e64 s2, 0xffff, v[1:2]
	v_add_co_u32 v3, s3, v3, s15
	s_delay_alu instid0(VALU_DEP_1) | instskip(SKIP_1) | instid1(VALU_DEP_4)
	v_add_co_ci_u32_e64 v4, s3, 0, v4, s3
	v_add_co_u32 v1, s3, v1, s16
	s_or_b32 s2, vcc_lo, s2
	v_add_co_ci_u32_e64 v2, s3, 0, v2, s3
	s_and_b32 s2, exec_lo, s2
	s_delay_alu instid0(SALU_CYCLE_1)
	s_or_b32 s14, s2, s14
	s_waitcnt vmcnt(0)
	v_and_b32_e32 v9, 0xffff0000, v5
	v_lshlrev_b32_e32 v11, 16, v5
	v_alignbit_b32 v10, v6, v5, 16
	v_and_b32_e32 v5, 0xffff, v5
	v_and_b32_e32 v12, 0xffff, v6
	v_cmp_o_f32_e64 s4, v9, v9
	v_and_b32_e32 v6, 0xffff0000, v6
	v_and_b32_e32 v10, 0xffff0000, v10
	s_delay_alu instid0(VALU_DEP_3) | instskip(SKIP_1) | instid1(VALU_DEP_1)
	v_cndmask_b32_e64 v9, 0x7fc00000, v9, s4
	v_cmp_o_f32_e64 s4, v11, v11
	v_cndmask_b32_e64 v5, 0x7fc0, v5, s4
	v_cmp_o_f32_e64 s4, v6, v6
	s_delay_alu instid0(VALU_DEP_2) | instskip(NEXT) | instid1(VALU_DEP_2)
	v_or_b32_e32 v5, v5, v9
	v_cndmask_b32_e64 v6, 0x7fc00000, v6, s4
	v_cmp_o_f32_e64 s4, v10, v10
	s_delay_alu instid0(VALU_DEP_3) | instskip(NEXT) | instid1(VALU_DEP_2)
	v_or3_b32 v5, v5, 0, 0
	v_cndmask_b32_e64 v10, 0x7fc0, v12, s4
	s_delay_alu instid0(VALU_DEP_1)
	v_or3_b32 v6, 0, v10, v6
	global_store_b64 v[7:8], v[5:6], off
	s_and_not1_b32 exec_lo, exec_lo, s14
	s_cbranch_execnz .LBB326_3
.LBB326_4:
	s_or_b32 exec_lo, exec_lo, s5
	s_mov_b32 s2, 0
.LBB326_5:
	s_delay_alu instid0(SALU_CYCLE_1)
	s_and_not1_b32 vcc_lo, exec_lo, s2
	s_cbranch_vccnz .LBB326_25
; %bb.6:
	v_cmp_lt_i64_e64 s2, s[8:9], 1
	s_delay_alu instid0(VALU_DEP_1)
	s_and_b32 vcc_lo, exec_lo, s2
	s_cbranch_vccnz .LBB326_25
; %bb.7:
	s_load_b32 s0, s[0:1], 0xc5c
	v_dual_mov_b32 v10, 0 :: v_dual_lshlrev_b32 v9, 1, v0
	v_cmp_gt_u64_e64 s1, 0x10000, s[8:9]
	s_delay_alu instid0(VALU_DEP_2) | instskip(NEXT) | instid1(VALU_DEP_1)
	v_add_co_u32 v1, s2, s10, v9
	v_add_co_ci_u32_e64 v2, null, s11, 0, s2
	v_add_co_u32 v3, s2, s12, v9
	s_delay_alu instid0(VALU_DEP_1)
	v_add_co_ci_u32_e64 v4, null, s13, 0, s2
	s_waitcnt lgkmcnt(0)
	s_and_b32 s0, s0, 0xffff
	s_and_b32 s1, s1, exec_lo
	v_mad_u64_u32 v[7:8], null, s0, 6, v[9:10]
	s_cselect_b32 s5, s9, 0
	s_cselect_b32 s4, s8, 0x10000
	s_mul_i32 s2, s0, 3
	s_lshl_b32 s14, s0, 2
	s_lshl_b32 s1, s0, 1
	v_add_co_u32 v14, s3, s14, v9
	v_add_co_u32 v9, s2, s2, v0
	s_delay_alu instid0(VALU_DEP_1) | instskip(SKIP_3) | instid1(VALU_DEP_3)
	v_add_co_ci_u32_e64 v10, null, 0, 0, s2
	v_add_co_u32 v13, s2, v0, s0
	v_add_co_u32 v5, vcc_lo, s10, v7
	v_add_co_ci_u32_e32 v6, vcc_lo, s11, v8, vcc_lo
	v_lshlrev_b32_e32 v21, 1, v13
	v_add_co_u32 v7, vcc_lo, s12, v7
	v_add_co_ci_u32_e64 v15, null, 0, 0, s3
	v_add_co_ci_u32_e32 v8, vcc_lo, s13, v8, vcc_lo
	v_add_co_u32 v17, s1, s1, v0
	v_add_co_u32 v11, vcc_lo, s10, v14
	v_add_co_ci_u32_e64 v18, null, 0, 0, s1
	v_add_co_u32 v19, s1, s10, v21
	v_add_co_ci_u32_e32 v12, vcc_lo, s11, v15, vcc_lo
	v_add_co_u32 v14, vcc_lo, s12, v14
	v_add_co_ci_u32_e64 v20, null, s11, 0, s1
	v_add_co_u32 v21, s1, s12, v21
	v_add_co_ci_u32_e32 v15, vcc_lo, s13, v15, vcc_lo
	v_add_co_ci_u32_e64 v16, null, 0, 0, s2
	v_add_co_ci_u32_e64 v22, null, s13, 0, s1
	s_lshl_b32 s12, s0, 3
	s_mov_b64 s[10:11], 0
	s_branch .LBB326_9
.LBB326_8:                              ;   in Loop: Header=BB326_9 Depth=1
	s_or_b32 exec_lo, exec_lo, s0
	v_add_co_u32 v1, vcc_lo, v1, s12
	v_add_co_ci_u32_e32 v2, vcc_lo, 0, v2, vcc_lo
	v_add_co_u32 v3, vcc_lo, v3, s12
	v_add_co_ci_u32_e32 v4, vcc_lo, 0, v4, vcc_lo
	;; [unrolled: 2-line block ×5, first 2 shown]
	s_add_u32 s10, s10, s14
	v_add_co_u32 v14, vcc_lo, v14, s12
	s_addc_u32 s11, s11, 0
	v_add_co_ci_u32_e32 v15, vcc_lo, 0, v15, vcc_lo
	v_cmp_ge_i64_e64 s0, s[10:11], s[8:9]
	v_cmp_lt_u64_e64 s1, 0xffff, s[10:11]
	v_add_co_u32 v19, vcc_lo, v19, s12
	v_add_co_ci_u32_e32 v20, vcc_lo, 0, v20, vcc_lo
	v_add_co_u32 v21, vcc_lo, v21, s12
	v_add_co_ci_u32_e32 v22, vcc_lo, 0, v22, vcc_lo
	s_or_b32 s0, s0, s1
	s_delay_alu instid0(SALU_CYCLE_1)
	s_and_b32 vcc_lo, exec_lo, s0
	s_cbranch_vccnz .LBB326_25
.LBB326_9:                              ; =>This Inner Loop Header: Depth=1
	s_waitcnt vmcnt(0)
	v_add_co_u32 v23, s0, v0, s10
	s_delay_alu instid0(VALU_DEP_1) | instskip(NEXT) | instid1(VALU_DEP_1)
	v_add_co_ci_u32_e64 v24, null, 0, s11, s0
	v_cmp_gt_u64_e32 vcc_lo, s[4:5], v[23:24]
	v_mov_b32_e32 v24, 0
	s_and_saveexec_b32 s1, vcc_lo
	s_cbranch_execz .LBB326_11
; %bb.10:                               ;   in Loop: Header=BB326_9 Depth=1
	v_add_co_u32 v23, s0, v1, s6
	s_delay_alu instid0(VALU_DEP_1)
	v_add_co_ci_u32_e64 v24, s0, s7, v2, s0
	global_load_u16 v24, v[23:24], off
.LBB326_11:                             ;   in Loop: Header=BB326_9 Depth=1
	s_or_b32 exec_lo, exec_lo, s1
	v_add_co_u32 v25, s0, v13, s10
	s_delay_alu instid0(VALU_DEP_1) | instskip(NEXT) | instid1(VALU_DEP_1)
	v_add_co_ci_u32_e64 v26, s0, s11, v16, s0
	v_cmp_gt_u64_e64 s0, s[4:5], v[25:26]
	v_mov_b32_e32 v25, 0
	s_delay_alu instid0(VALU_DEP_2)
	s_and_saveexec_b32 s2, s0
	s_cbranch_execz .LBB326_13
; %bb.12:                               ;   in Loop: Header=BB326_9 Depth=1
	v_add_co_u32 v25, s1, v19, s6
	s_delay_alu instid0(VALU_DEP_1)
	v_add_co_ci_u32_e64 v26, s1, s7, v20, s1
	global_load_u16 v25, v[25:26], off
.LBB326_13:                             ;   in Loop: Header=BB326_9 Depth=1
	s_or_b32 exec_lo, exec_lo, s2
	v_add_co_u32 v26, s1, v17, s10
	s_delay_alu instid0(VALU_DEP_1) | instskip(SKIP_1) | instid1(VALU_DEP_2)
	v_add_co_ci_u32_e64 v27, s1, s11, v18, s1
	v_mov_b32_e32 v23, 0
	v_cmp_gt_u64_e64 s1, s[4:5], v[26:27]
	v_mov_b32_e32 v26, 0
	s_delay_alu instid0(VALU_DEP_2)
	s_and_saveexec_b32 s3, s1
	s_cbranch_execz .LBB326_15
; %bb.14:                               ;   in Loop: Header=BB326_9 Depth=1
	v_add_co_u32 v26, s2, v11, s6
	s_delay_alu instid0(VALU_DEP_1)
	v_add_co_ci_u32_e64 v27, s2, s7, v12, s2
	global_load_u16 v26, v[26:27], off
.LBB326_15:                             ;   in Loop: Header=BB326_9 Depth=1
	s_or_b32 exec_lo, exec_lo, s3
	v_add_co_u32 v27, s2, v9, s10
	s_delay_alu instid0(VALU_DEP_1) | instskip(NEXT) | instid1(VALU_DEP_1)
	v_add_co_ci_u32_e64 v28, s2, s11, v10, s2
	v_cmp_gt_u64_e64 s2, s[4:5], v[27:28]
	s_delay_alu instid0(VALU_DEP_1)
	s_and_saveexec_b32 s13, s2
	s_cbranch_execnz .LBB326_20
; %bb.16:                               ;   in Loop: Header=BB326_9 Depth=1
	s_or_b32 exec_lo, exec_lo, s13
	s_and_saveexec_b32 s3, vcc_lo
	s_cbranch_execnz .LBB326_21
.LBB326_17:                             ;   in Loop: Header=BB326_9 Depth=1
	s_or_b32 exec_lo, exec_lo, s3
	s_and_saveexec_b32 s3, s0
	s_cbranch_execnz .LBB326_22
.LBB326_18:                             ;   in Loop: Header=BB326_9 Depth=1
	s_or_b32 exec_lo, exec_lo, s3
	s_and_saveexec_b32 s0, s1
	s_cbranch_execnz .LBB326_23
.LBB326_19:                             ;   in Loop: Header=BB326_9 Depth=1
	s_or_b32 exec_lo, exec_lo, s0
	s_and_saveexec_b32 s0, s2
	s_cbranch_execz .LBB326_8
	s_branch .LBB326_24
.LBB326_20:                             ;   in Loop: Header=BB326_9 Depth=1
	v_add_co_u32 v27, s3, v5, s6
	s_delay_alu instid0(VALU_DEP_1)
	v_add_co_ci_u32_e64 v28, s3, s7, v6, s3
	global_load_u16 v23, v[27:28], off
	s_or_b32 exec_lo, exec_lo, s13
	s_and_saveexec_b32 s3, vcc_lo
	s_cbranch_execz .LBB326_17
.LBB326_21:                             ;   in Loop: Header=BB326_9 Depth=1
	s_waitcnt vmcnt(0)
	v_lshlrev_b32_e32 v29, 16, v24
	v_add_co_u32 v27, vcc_lo, v3, s6
	v_add_co_ci_u32_e32 v28, vcc_lo, s7, v4, vcc_lo
	s_delay_alu instid0(VALU_DEP_3)
	v_cmp_o_f32_e32 vcc_lo, v29, v29
	v_cndmask_b32_e32 v24, 0x7fc0, v24, vcc_lo
	global_store_b16 v[27:28], v24, off
	s_or_b32 exec_lo, exec_lo, s3
	s_and_saveexec_b32 s3, s0
	s_cbranch_execz .LBB326_18
.LBB326_22:                             ;   in Loop: Header=BB326_9 Depth=1
	s_waitcnt vmcnt(0)
	v_lshlrev_b32_e32 v24, 16, v25
	s_delay_alu instid0(VALU_DEP_1)
	v_cmp_o_f32_e32 vcc_lo, v24, v24
	v_cndmask_b32_e32 v27, 0x7fc0, v25, vcc_lo
	v_add_co_u32 v24, vcc_lo, v21, s6
	v_add_co_ci_u32_e32 v25, vcc_lo, s7, v22, vcc_lo
	global_store_b16 v[24:25], v27, off
	s_or_b32 exec_lo, exec_lo, s3
	s_and_saveexec_b32 s0, s1
	s_cbranch_execz .LBB326_19
.LBB326_23:                             ;   in Loop: Header=BB326_9 Depth=1
	s_waitcnt vmcnt(0)
	v_lshlrev_b32_e32 v24, 16, v26
	s_delay_alu instid0(VALU_DEP_1)
	v_cmp_o_f32_e32 vcc_lo, v24, v24
	v_cndmask_b32_e32 v26, 0x7fc0, v26, vcc_lo
	v_add_co_u32 v24, vcc_lo, v14, s6
	v_add_co_ci_u32_e32 v25, vcc_lo, s7, v15, vcc_lo
	global_store_b16 v[24:25], v26, off
	s_or_b32 exec_lo, exec_lo, s0
	s_and_saveexec_b32 s0, s2
	s_cbranch_execz .LBB326_8
.LBB326_24:                             ;   in Loop: Header=BB326_9 Depth=1
	s_waitcnt vmcnt(0)
	v_lshlrev_b32_e32 v24, 16, v23
	s_delay_alu instid0(VALU_DEP_1)
	v_cmp_o_f32_e32 vcc_lo, v24, v24
	v_cndmask_b32_e32 v25, 0x7fc0, v23, vcc_lo
	v_add_co_u32 v23, vcc_lo, v7, s6
	v_add_co_ci_u32_e32 v24, vcc_lo, s7, v8, vcc_lo
	global_store_b16 v[23:24], v25, off
	s_branch .LBB326_8
.LBB326_25:
	s_nop 0
	s_sendmsg sendmsg(MSG_DEALLOC_VGPRS)
	s_endpgm
	.section	.rodata,"a",@progbits
	.p2align	6, 0x0
	.amdhsa_kernel _ZN2at6native12_GLOBAL__N_125multi_tensor_apply_kernelINS1_18TensorListMetadataILi2EEENS1_14UnaryOpFunctorIN3c108BFloat16ELi2ELi1ELi1EEEJNS0_4CopyIS7_S7_EEEEEvT_T0_DpT1_
		.amdhsa_group_segment_fixed_size 0
		.amdhsa_private_segment_fixed_size 0
		.amdhsa_kernarg_size 3408
		.amdhsa_user_sgpr_count 15
		.amdhsa_user_sgpr_dispatch_ptr 0
		.amdhsa_user_sgpr_queue_ptr 0
		.amdhsa_user_sgpr_kernarg_segment_ptr 1
		.amdhsa_user_sgpr_dispatch_id 0
		.amdhsa_user_sgpr_private_segment_size 0
		.amdhsa_wavefront_size32 1
		.amdhsa_uses_dynamic_stack 0
		.amdhsa_enable_private_segment 0
		.amdhsa_system_sgpr_workgroup_id_x 1
		.amdhsa_system_sgpr_workgroup_id_y 0
		.amdhsa_system_sgpr_workgroup_id_z 0
		.amdhsa_system_sgpr_workgroup_info 0
		.amdhsa_system_vgpr_workitem_id 0
		.amdhsa_next_free_vgpr 30
		.amdhsa_next_free_sgpr 18
		.amdhsa_reserve_vcc 1
		.amdhsa_float_round_mode_32 0
		.amdhsa_float_round_mode_16_64 0
		.amdhsa_float_denorm_mode_32 3
		.amdhsa_float_denorm_mode_16_64 3
		.amdhsa_dx10_clamp 1
		.amdhsa_ieee_mode 1
		.amdhsa_fp16_overflow 0
		.amdhsa_workgroup_processor_mode 1
		.amdhsa_memory_ordered 1
		.amdhsa_forward_progress 0
		.amdhsa_shared_vgpr_count 0
		.amdhsa_exception_fp_ieee_invalid_op 0
		.amdhsa_exception_fp_denorm_src 0
		.amdhsa_exception_fp_ieee_div_zero 0
		.amdhsa_exception_fp_ieee_overflow 0
		.amdhsa_exception_fp_ieee_underflow 0
		.amdhsa_exception_fp_ieee_inexact 0
		.amdhsa_exception_int_div_zero 0
	.end_amdhsa_kernel
	.section	.text._ZN2at6native12_GLOBAL__N_125multi_tensor_apply_kernelINS1_18TensorListMetadataILi2EEENS1_14UnaryOpFunctorIN3c108BFloat16ELi2ELi1ELi1EEEJNS0_4CopyIS7_S7_EEEEEvT_T0_DpT1_,"axG",@progbits,_ZN2at6native12_GLOBAL__N_125multi_tensor_apply_kernelINS1_18TensorListMetadataILi2EEENS1_14UnaryOpFunctorIN3c108BFloat16ELi2ELi1ELi1EEEJNS0_4CopyIS7_S7_EEEEEvT_T0_DpT1_,comdat
.Lfunc_end326:
	.size	_ZN2at6native12_GLOBAL__N_125multi_tensor_apply_kernelINS1_18TensorListMetadataILi2EEENS1_14UnaryOpFunctorIN3c108BFloat16ELi2ELi1ELi1EEEJNS0_4CopyIS7_S7_EEEEEvT_T0_DpT1_, .Lfunc_end326-_ZN2at6native12_GLOBAL__N_125multi_tensor_apply_kernelINS1_18TensorListMetadataILi2EEENS1_14UnaryOpFunctorIN3c108BFloat16ELi2ELi1ELi1EEEJNS0_4CopyIS7_S7_EEEEEvT_T0_DpT1_
                                        ; -- End function
	.section	.AMDGPU.csdata,"",@progbits
; Kernel info:
; codeLenInByte = 1600
; NumSgprs: 20
; NumVgprs: 30
; ScratchSize: 0
; MemoryBound: 0
; FloatMode: 240
; IeeeMode: 1
; LDSByteSize: 0 bytes/workgroup (compile time only)
; SGPRBlocks: 2
; VGPRBlocks: 3
; NumSGPRsForWavesPerEU: 20
; NumVGPRsForWavesPerEU: 30
; Occupancy: 16
; WaveLimiterHint : 0
; COMPUTE_PGM_RSRC2:SCRATCH_EN: 0
; COMPUTE_PGM_RSRC2:USER_SGPR: 15
; COMPUTE_PGM_RSRC2:TRAP_HANDLER: 0
; COMPUTE_PGM_RSRC2:TGID_X_EN: 1
; COMPUTE_PGM_RSRC2:TGID_Y_EN: 0
; COMPUTE_PGM_RSRC2:TGID_Z_EN: 0
; COMPUTE_PGM_RSRC2:TIDIG_COMP_CNT: 0
	.section	.text._ZN2at6native12_GLOBAL__N_125multi_tensor_apply_kernelINS1_18TensorListMetadataILi2EEENS1_11CopyFunctorIN3c108BFloat16EbLi2ELi1ELi1EEEJNS0_4CopyIS7_bEEEEEvT_T0_DpT1_,"axG",@progbits,_ZN2at6native12_GLOBAL__N_125multi_tensor_apply_kernelINS1_18TensorListMetadataILi2EEENS1_11CopyFunctorIN3c108BFloat16EbLi2ELi1ELi1EEEJNS0_4CopyIS7_bEEEEEvT_T0_DpT1_,comdat
	.globl	_ZN2at6native12_GLOBAL__N_125multi_tensor_apply_kernelINS1_18TensorListMetadataILi2EEENS1_11CopyFunctorIN3c108BFloat16EbLi2ELi1ELi1EEEJNS0_4CopyIS7_bEEEEEvT_T0_DpT1_ ; -- Begin function _ZN2at6native12_GLOBAL__N_125multi_tensor_apply_kernelINS1_18TensorListMetadataILi2EEENS1_11CopyFunctorIN3c108BFloat16EbLi2ELi1ELi1EEEJNS0_4CopyIS7_bEEEEEvT_T0_DpT1_
	.p2align	8
	.type	_ZN2at6native12_GLOBAL__N_125multi_tensor_apply_kernelINS1_18TensorListMetadataILi2EEENS1_11CopyFunctorIN3c108BFloat16EbLi2ELi1ELi1EEEJNS0_4CopyIS7_bEEEEEvT_T0_DpT1_,@function
_ZN2at6native12_GLOBAL__N_125multi_tensor_apply_kernelINS1_18TensorListMetadataILi2EEENS1_11CopyFunctorIN3c108BFloat16EbLi2ELi1ELi1EEEJNS0_4CopyIS7_bEEEEEvT_T0_DpT1_: ; @_ZN2at6native12_GLOBAL__N_125multi_tensor_apply_kernelINS1_18TensorListMetadataILi2EEENS1_11CopyFunctorIN3c108BFloat16EbLi2ELi1ELi1EEEJNS0_4CopyIS7_bEEEEEvT_T0_DpT1_
; %bb.0:
	v_mov_b32_e32 v1, s15
	s_add_u32 s2, s0, s15
	s_mul_hi_u32 s3, s15, 3
	s_mul_i32 s15, s15, 3
	s_addc_u32 s4, s1, 0
	global_load_u8 v1, v1, s[0:1] offset:1536
	s_add_u32 s2, s2, s15
	s_addc_u32 s3, s4, s3
	s_mov_b32 s17, 0
	s_load_b32 s12, s[2:3], 0x740
	s_mov_b32 s19, s17
	s_waitcnt lgkmcnt(0)
	s_ashr_i32 s13, s12, 31
	s_delay_alu instid0(SALU_CYCLE_1) | instskip(SKIP_2) | instid1(VALU_DEP_1)
	s_lshl_b64 s[10:11], s[12:13], 16
	s_waitcnt vmcnt(0)
	v_readfirstlane_b32 s5, v1
	s_lshl_b32 s2, s5, 3
	s_clause 0x2
	s_load_b64 s[8:9], s[0:1], s2 offset:0x0
	s_load_b64 s[14:15], s[0:1], s2 offset:0x200
	;; [unrolled: 1-line block ×3, first 2 shown]
	s_waitcnt lgkmcnt(0)
	s_add_u32 s3, s8, s10
	s_addc_u32 s6, s9, s11
	s_and_b32 s2, s14, 7
	s_and_b32 s7, s4, 3
	;; [unrolled: 1-line block ×3, first 2 shown]
	s_or_b32 s18, s7, s2
	s_mov_b32 s2, -1
	s_or_b64 s[16:17], s[16:17], s[18:19]
	s_sub_u32 s4, s4, s10
	s_subb_u32 s5, s5, s11
	s_cmp_eq_u64 s[16:17], 0
	s_cbranch_scc0 .LBB327_5
; %bb.1:
	v_dual_mov_b32 v2, 0 :: v_dual_lshlrev_b32 v1, 2, v0
	s_mov_b32 s7, exec_lo
	s_delay_alu instid0(VALU_DEP_1)
	v_cmpx_gt_i64_e64 s[4:5], v[1:2]
	s_cbranch_execz .LBB327_4
; %bb.2:
	s_load_b32 s2, s[0:1], 0xc5c
	v_lshlrev_b32_e32 v3, 3, v0
	s_lshl_b64 s[18:19], s[12:13], 17
	s_waitcnt lgkmcnt(0)
	s_and_b32 s2, s2, 0xffff
	s_delay_alu instid0(SALU_CYCLE_1) | instskip(SKIP_3) | instid1(VALU_DEP_1)
	s_lshl_b32 s16, s2, 2
	s_add_u32 s17, s14, s18
	s_addc_u32 s18, s15, s19
	v_add_co_u32 v3, s17, s17, v3
	v_add_co_ci_u32_e64 v4, null, s18, 0, s17
	s_mov_b32 s17, 0
	s_lshl_b32 s18, s2, 3
.LBB327_3:                              ; =>This Inner Loop Header: Depth=1
	v_add_co_u32 v5, vcc_lo, s3, v1
	v_add_co_ci_u32_e32 v6, vcc_lo, s6, v2, vcc_lo
	v_add_co_u32 v1, vcc_lo, s16, v1
	v_add_co_ci_u32_e32 v2, vcc_lo, 0, v2, vcc_lo
	global_load_b32 v5, v[5:6], off
	v_cmp_le_i64_e32 vcc_lo, s[4:5], v[1:2]
	v_cmp_lt_u64_e64 s2, 0xffff, v[1:2]
	s_delay_alu instid0(VALU_DEP_1) | instskip(NEXT) | instid1(SALU_CYCLE_1)
	s_or_b32 s2, vcc_lo, s2
	s_and_b32 s2, exec_lo, s2
	s_delay_alu instid0(SALU_CYCLE_1)
	s_or_b32 s17, s2, s17
	s_waitcnt vmcnt(0)
	v_and_b32_e32 v6, 1, v5
	v_and_b32_e32 v7, 0x10000, v5
	;; [unrolled: 1-line block ×3, first 2 shown]
	v_lshrrev_b16 v5, 8, v5
	s_delay_alu instid0(VALU_DEP_4) | instskip(NEXT) | instid1(VALU_DEP_2)
	v_cmp_eq_u32_e32 vcc_lo, 1, v6
	v_and_b32_e32 v5, 1, v5
	v_cndmask_b32_e64 v6, 0, 1.0, vcc_lo
	v_cmp_ne_u32_e32 vcc_lo, 0, v7
	s_delay_alu instid0(VALU_DEP_2) | instskip(SKIP_2) | instid1(VALU_DEP_3)
	v_bfe_u32 v9, v6, 16, 1
	v_cndmask_b32_e64 v7, 0, 1.0, vcc_lo
	v_cmp_ne_u32_e32 vcc_lo, 0, v8
	v_add3_u32 v6, v6, v9, 0x7fff
	s_delay_alu instid0(VALU_DEP_3) | instskip(SKIP_2) | instid1(VALU_DEP_3)
	v_bfe_u32 v10, v7, 16, 1
	v_cndmask_b32_e64 v8, 0, 1.0, vcc_lo
	v_cmp_eq_u32_e32 vcc_lo, 1, v5
	v_add3_u32 v7, v7, v10, 0x7fff
	s_delay_alu instid0(VALU_DEP_3) | instskip(SKIP_2) | instid1(VALU_DEP_4)
	v_bfe_u32 v11, v8, 16, 1
	v_cndmask_b32_e64 v5, 0, 1.0, vcc_lo
	v_lshrrev_b32_e32 v10, 16, v6
	v_lshrrev_b32_e32 v6, 16, v7
	s_delay_alu instid0(VALU_DEP_4) | instskip(NEXT) | instid1(VALU_DEP_4)
	v_add3_u32 v8, v8, v11, 0x7fff
	v_bfe_u32 v9, v5, 16, 1
	s_delay_alu instid0(VALU_DEP_2) | instskip(NEXT) | instid1(VALU_DEP_2)
	v_and_b32_e32 v7, 0xffff0000, v8
	v_add3_u32 v5, v5, v9, 0x7fff
	s_delay_alu instid0(VALU_DEP_2) | instskip(NEXT) | instid1(VALU_DEP_2)
	v_or_b32_e32 v6, v7, v6
	v_and_or_b32 v5, 0xffff0000, v5, v10
	global_store_b64 v[3:4], v[5:6], off
	v_add_co_u32 v3, vcc_lo, v3, s18
	v_add_co_ci_u32_e32 v4, vcc_lo, 0, v4, vcc_lo
	s_and_not1_b32 exec_lo, exec_lo, s17
	s_cbranch_execnz .LBB327_3
.LBB327_4:
	s_or_b32 exec_lo, exec_lo, s7
	s_mov_b32 s2, 0
.LBB327_5:
	s_delay_alu instid0(SALU_CYCLE_1)
	s_and_not1_b32 vcc_lo, exec_lo, s2
	s_cbranch_vccnz .LBB327_25
; %bb.6:
	v_cmp_lt_i64_e64 s2, s[4:5], 1
	s_delay_alu instid0(VALU_DEP_1)
	s_and_b32 vcc_lo, exec_lo, s2
	s_cbranch_vccnz .LBB327_25
; %bb.7:
	s_load_b32 s0, s[0:1], 0xc5c
	v_cmp_gt_u64_e64 s1, 0x10000, s[4:5]
	v_add_co_u32 v3, s2, s10, v0
	s_delay_alu instid0(VALU_DEP_1) | instskip(SKIP_1) | instid1(VALU_DEP_3)
	v_add_co_ci_u32_e64 v4, null, s11, 0, s2
	v_lshlrev_b32_e32 v1, 1, v0
	v_add_co_u32 v13, vcc_lo, s8, v3
	s_delay_alu instid0(VALU_DEP_3)
	v_add_co_ci_u32_e32 v14, vcc_lo, s9, v4, vcc_lo
                                        ; implicit-def: $vgpr27
                                        ; implicit-def: $vgpr28
                                        ; implicit-def: $vgpr29
                                        ; implicit-def: $vgpr30
	s_waitcnt lgkmcnt(0)
	s_and_b32 s2, s0, 0xffff
	s_and_b32 s0, s1, exec_lo
	s_cselect_b32 s7, s5, 0
	s_cselect_b32 s6, s4, 0x10000
	s_lshl_b64 s[0:1], s[12:13], 17
	s_lshl_b32 s3, s2, 1
	s_lshl_b32 s12, s2, 2
	s_add_u32 s0, s14, s0
	s_mul_i32 s16, s2, 3
	s_addc_u32 s1, s15, s1
	s_lshl_b32 s13, s2, 3
	v_add_co_u32 v1, s15, s0, v1
	s_add_u32 s14, s10, s16
	v_add_co_ci_u32_e64 v2, null, s1, 0, s15
	s_addc_u32 s15, s11, 0
	s_add_u32 s14, s8, s14
	s_addc_u32 s15, s9, s15
	s_add_u32 s10, s10, s3
	v_add_co_u32 v21, s3, s3, v0
	s_delay_alu instid0(VALU_DEP_1) | instskip(SKIP_4) | instid1(VALU_DEP_1)
	v_add_co_ci_u32_e64 v22, null, 0, 0, s3
	v_add_co_u32 v23, s3, v0, s2
	s_addc_u32 s11, s11, 0
	s_add_u32 s10, s8, s10
	s_addc_u32 s11, s9, s11
	v_lshlrev_b32_e32 v5, 1, v23
	v_add_co_u32 v15, s14, s14, v0
	s_add_u32 s8, s8, s2
	v_add_co_ci_u32_e64 v16, null, s15, 0, s14
	v_add_co_u32 v17, s14, s16, v0
	v_add_co_u32 v19, s10, s10, v0
	s_addc_u32 s9, s9, 0
	v_add_co_u32 v25, vcc_lo, s8, v3
	v_add_co_u32 v3, s0, s0, v5
	v_add_co_ci_u32_e64 v18, null, 0, 0, s14
	v_add_co_ci_u32_e64 v20, null, s11, 0, s10
	;; [unrolled: 1-line block ×3, first 2 shown]
	v_add_co_ci_u32_e32 v26, vcc_lo, s9, v4, vcc_lo
	v_add_co_ci_u32_e64 v4, null, s1, 0, s0
	s_mul_i32 s10, s2, 6
	s_mov_b64 s[8:9], 0
	s_branch .LBB327_9
.LBB327_8:                              ;   in Loop: Header=BB327_9 Depth=1
	s_or_b32 exec_lo, exec_lo, s1
	s_add_u32 s8, s8, s12
	s_addc_u32 s9, s9, 0
	v_add_co_u32 v1, vcc_lo, v1, s13
	v_cmp_ge_i64_e64 s0, s[8:9], s[4:5]
	v_cmp_lt_u64_e64 s1, 0xffff, s[8:9]
	v_add_co_ci_u32_e32 v2, vcc_lo, 0, v2, vcc_lo
	v_add_co_u32 v3, vcc_lo, v3, s13
	v_add_co_ci_u32_e32 v4, vcc_lo, 0, v4, vcc_lo
	s_delay_alu instid0(VALU_DEP_4) | instskip(NEXT) | instid1(SALU_CYCLE_1)
	s_or_b32 s0, s0, s1
	s_and_b32 vcc_lo, exec_lo, s0
	s_cbranch_vccnz .LBB327_25
.LBB327_9:                              ; =>This Inner Loop Header: Depth=1
	v_add_co_u32 v5, s0, v0, s8
	s_delay_alu instid0(VALU_DEP_1) | instskip(NEXT) | instid1(VALU_DEP_1)
	v_add_co_ci_u32_e64 v6, null, 0, s9, s0
	v_cmp_gt_i64_e32 vcc_lo, s[4:5], v[5:6]
	v_cmp_gt_u64_e64 s0, 0x10000, v[5:6]
	s_delay_alu instid0(VALU_DEP_1) | instskip(NEXT) | instid1(SALU_CYCLE_1)
	s_and_b32 s1, vcc_lo, s0
	s_and_saveexec_b32 s0, s1
	s_cbranch_execz .LBB327_11
; %bb.10:                               ;   in Loop: Header=BB327_9 Depth=1
	v_add_co_u32 v7, vcc_lo, v13, s8
	v_add_co_ci_u32_e32 v8, vcc_lo, s9, v14, vcc_lo
	global_load_u8 v27, v[7:8], off
.LBB327_11:                             ;   in Loop: Header=BB327_9 Depth=1
	s_or_b32 exec_lo, exec_lo, s0
	v_add_co_u32 v7, vcc_lo, v23, s8
	v_add_co_ci_u32_e32 v8, vcc_lo, s9, v24, vcc_lo
	s_delay_alu instid0(VALU_DEP_1) | instskip(SKIP_1) | instid1(VALU_DEP_1)
	v_cmp_gt_i64_e32 vcc_lo, s[4:5], v[7:8]
	v_cmp_gt_u64_e64 s0, 0x10000, v[7:8]
	s_and_b32 s1, vcc_lo, s0
	s_delay_alu instid0(SALU_CYCLE_1)
	s_and_saveexec_b32 s0, s1
	s_cbranch_execz .LBB327_13
; %bb.12:                               ;   in Loop: Header=BB327_9 Depth=1
	v_add_co_u32 v9, vcc_lo, v25, s8
	v_add_co_ci_u32_e32 v10, vcc_lo, s9, v26, vcc_lo
	global_load_u8 v28, v[9:10], off
.LBB327_13:                             ;   in Loop: Header=BB327_9 Depth=1
	s_or_b32 exec_lo, exec_lo, s0
	v_add_co_u32 v9, vcc_lo, v21, s8
	v_add_co_ci_u32_e32 v10, vcc_lo, s9, v22, vcc_lo
	s_delay_alu instid0(VALU_DEP_1) | instskip(SKIP_1) | instid1(VALU_DEP_1)
	v_cmp_gt_i64_e32 vcc_lo, s[4:5], v[9:10]
	v_cmp_gt_u64_e64 s0, 0x10000, v[9:10]
	s_and_b32 s1, vcc_lo, s0
	s_delay_alu instid0(SALU_CYCLE_1)
	s_and_saveexec_b32 s0, s1
	s_cbranch_execz .LBB327_15
; %bb.14:                               ;   in Loop: Header=BB327_9 Depth=1
	v_add_co_u32 v11, vcc_lo, v19, s8
	v_add_co_ci_u32_e32 v12, vcc_lo, s9, v20, vcc_lo
	global_load_u8 v29, v[11:12], off
.LBB327_15:                             ;   in Loop: Header=BB327_9 Depth=1
	s_or_b32 exec_lo, exec_lo, s0
	v_add_co_u32 v11, vcc_lo, v17, s8
	v_add_co_ci_u32_e32 v12, vcc_lo, s9, v18, vcc_lo
	s_delay_alu instid0(VALU_DEP_1) | instskip(SKIP_1) | instid1(VALU_DEP_1)
	v_cmp_gt_i64_e32 vcc_lo, s[4:5], v[11:12]
	v_cmp_gt_u64_e64 s0, 0x10000, v[11:12]
	s_and_b32 s1, vcc_lo, s0
	s_delay_alu instid0(SALU_CYCLE_1)
	s_and_saveexec_b32 s0, s1
	s_cbranch_execz .LBB327_17
; %bb.16:                               ;   in Loop: Header=BB327_9 Depth=1
	v_add_co_u32 v30, vcc_lo, v15, s8
	v_add_co_ci_u32_e32 v31, vcc_lo, s9, v16, vcc_lo
	global_load_u8 v30, v[30:31], off
.LBB327_17:                             ;   in Loop: Header=BB327_9 Depth=1
	s_or_b32 exec_lo, exec_lo, s0
	s_waitcnt vmcnt(0)
	v_and_b32_e32 v31, 1, v27
	v_and_b32_e32 v32, 1, v28
	;; [unrolled: 1-line block ×4, first 2 shown]
	s_mov_b32 s11, exec_lo
	v_cmp_eq_u32_e64 s2, 1, v31
	v_cmp_eq_u32_e64 s1, 1, v32
	;; [unrolled: 1-line block ×3, first 2 shown]
	v_cmp_eq_u32_e32 vcc_lo, 1, v34
	v_cmpx_gt_u64_e64 s[6:7], v[5:6]
	s_cbranch_execnz .LBB327_21
; %bb.18:                               ;   in Loop: Header=BB327_9 Depth=1
	s_or_b32 exec_lo, exec_lo, s11
	s_delay_alu instid0(SALU_CYCLE_1)
	s_mov_b32 s3, exec_lo
	v_cmpx_gt_u64_e64 s[6:7], v[7:8]
	s_cbranch_execnz .LBB327_22
.LBB327_19:                             ;   in Loop: Header=BB327_9 Depth=1
	s_or_b32 exec_lo, exec_lo, s3
	s_delay_alu instid0(SALU_CYCLE_1)
	s_mov_b32 s2, exec_lo
	v_cmpx_gt_u64_e64 s[6:7], v[9:10]
	s_cbranch_execnz .LBB327_23
.LBB327_20:                             ;   in Loop: Header=BB327_9 Depth=1
	s_or_b32 exec_lo, exec_lo, s2
	s_delay_alu instid0(SALU_CYCLE_1)
	s_mov_b32 s1, exec_lo
	v_cmpx_gt_u64_e64 s[6:7], v[11:12]
	s_cbranch_execz .LBB327_8
	s_branch .LBB327_24
.LBB327_21:                             ;   in Loop: Header=BB327_9 Depth=1
	v_cndmask_b32_e64 v5, 0, 1.0, s2
	s_delay_alu instid0(VALU_DEP_1) | instskip(NEXT) | instid1(VALU_DEP_1)
	v_bfe_u32 v6, v5, 16, 1
	v_add3_u32 v5, v5, v6, 0x7fff
	global_store_d16_hi_b16 v[1:2], v5, off
	s_or_b32 exec_lo, exec_lo, s11
	s_delay_alu instid0(SALU_CYCLE_1)
	s_mov_b32 s3, exec_lo
	v_cmpx_gt_u64_e64 s[6:7], v[7:8]
	s_cbranch_execz .LBB327_19
.LBB327_22:                             ;   in Loop: Header=BB327_9 Depth=1
	v_cndmask_b32_e64 v5, 0, 1.0, s1
	s_delay_alu instid0(VALU_DEP_1) | instskip(NEXT) | instid1(VALU_DEP_1)
	v_bfe_u32 v6, v5, 16, 1
	v_add3_u32 v5, v5, v6, 0x7fff
	global_store_d16_hi_b16 v[3:4], v5, off
	s_or_b32 exec_lo, exec_lo, s3
	s_delay_alu instid0(SALU_CYCLE_1)
	s_mov_b32 s2, exec_lo
	v_cmpx_gt_u64_e64 s[6:7], v[9:10]
	s_cbranch_execz .LBB327_20
.LBB327_23:                             ;   in Loop: Header=BB327_9 Depth=1
	v_cndmask_b32_e64 v5, 0, 1.0, s0
	s_delay_alu instid0(VALU_DEP_1) | instskip(NEXT) | instid1(VALU_DEP_1)
	v_bfe_u32 v6, v5, 16, 1
	v_add3_u32 v7, v5, v6, 0x7fff
	v_add_co_u32 v5, s0, v1, s12
	s_delay_alu instid0(VALU_DEP_1) | instskip(SKIP_2) | instid1(SALU_CYCLE_1)
	v_add_co_ci_u32_e64 v6, s0, 0, v2, s0
	global_store_d16_hi_b16 v[5:6], v7, off
	s_or_b32 exec_lo, exec_lo, s2
	s_mov_b32 s1, exec_lo
	v_cmpx_gt_u64_e64 s[6:7], v[11:12]
	s_cbranch_execz .LBB327_8
.LBB327_24:                             ;   in Loop: Header=BB327_9 Depth=1
	v_cndmask_b32_e64 v5, 0, 1.0, vcc_lo
	s_delay_alu instid0(VALU_DEP_1) | instskip(NEXT) | instid1(VALU_DEP_1)
	v_bfe_u32 v6, v5, 16, 1
	v_add3_u32 v7, v5, v6, 0x7fff
	v_add_co_u32 v5, vcc_lo, v1, s10
	v_add_co_ci_u32_e32 v6, vcc_lo, 0, v2, vcc_lo
	global_store_d16_hi_b16 v[5:6], v7, off
	s_branch .LBB327_8
.LBB327_25:
	s_nop 0
	s_sendmsg sendmsg(MSG_DEALLOC_VGPRS)
	s_endpgm
	.section	.rodata,"a",@progbits
	.p2align	6, 0x0
	.amdhsa_kernel _ZN2at6native12_GLOBAL__N_125multi_tensor_apply_kernelINS1_18TensorListMetadataILi2EEENS1_11CopyFunctorIN3c108BFloat16EbLi2ELi1ELi1EEEJNS0_4CopyIS7_bEEEEEvT_T0_DpT1_
		.amdhsa_group_segment_fixed_size 0
		.amdhsa_private_segment_fixed_size 0
		.amdhsa_kernarg_size 3408
		.amdhsa_user_sgpr_count 15
		.amdhsa_user_sgpr_dispatch_ptr 0
		.amdhsa_user_sgpr_queue_ptr 0
		.amdhsa_user_sgpr_kernarg_segment_ptr 1
		.amdhsa_user_sgpr_dispatch_id 0
		.amdhsa_user_sgpr_private_segment_size 0
		.amdhsa_wavefront_size32 1
		.amdhsa_uses_dynamic_stack 0
		.amdhsa_enable_private_segment 0
		.amdhsa_system_sgpr_workgroup_id_x 1
		.amdhsa_system_sgpr_workgroup_id_y 0
		.amdhsa_system_sgpr_workgroup_id_z 0
		.amdhsa_system_sgpr_workgroup_info 0
		.amdhsa_system_vgpr_workitem_id 0
		.amdhsa_next_free_vgpr 35
		.amdhsa_next_free_sgpr 20
		.amdhsa_reserve_vcc 1
		.amdhsa_float_round_mode_32 0
		.amdhsa_float_round_mode_16_64 0
		.amdhsa_float_denorm_mode_32 3
		.amdhsa_float_denorm_mode_16_64 3
		.amdhsa_dx10_clamp 1
		.amdhsa_ieee_mode 1
		.amdhsa_fp16_overflow 0
		.amdhsa_workgroup_processor_mode 1
		.amdhsa_memory_ordered 1
		.amdhsa_forward_progress 0
		.amdhsa_shared_vgpr_count 0
		.amdhsa_exception_fp_ieee_invalid_op 0
		.amdhsa_exception_fp_denorm_src 0
		.amdhsa_exception_fp_ieee_div_zero 0
		.amdhsa_exception_fp_ieee_overflow 0
		.amdhsa_exception_fp_ieee_underflow 0
		.amdhsa_exception_fp_ieee_inexact 0
		.amdhsa_exception_int_div_zero 0
	.end_amdhsa_kernel
	.section	.text._ZN2at6native12_GLOBAL__N_125multi_tensor_apply_kernelINS1_18TensorListMetadataILi2EEENS1_11CopyFunctorIN3c108BFloat16EbLi2ELi1ELi1EEEJNS0_4CopyIS7_bEEEEEvT_T0_DpT1_,"axG",@progbits,_ZN2at6native12_GLOBAL__N_125multi_tensor_apply_kernelINS1_18TensorListMetadataILi2EEENS1_11CopyFunctorIN3c108BFloat16EbLi2ELi1ELi1EEEJNS0_4CopyIS7_bEEEEEvT_T0_DpT1_,comdat
.Lfunc_end327:
	.size	_ZN2at6native12_GLOBAL__N_125multi_tensor_apply_kernelINS1_18TensorListMetadataILi2EEENS1_11CopyFunctorIN3c108BFloat16EbLi2ELi1ELi1EEEJNS0_4CopyIS7_bEEEEEvT_T0_DpT1_, .Lfunc_end327-_ZN2at6native12_GLOBAL__N_125multi_tensor_apply_kernelINS1_18TensorListMetadataILi2EEENS1_11CopyFunctorIN3c108BFloat16EbLi2ELi1ELi1EEEJNS0_4CopyIS7_bEEEEEvT_T0_DpT1_
                                        ; -- End function
	.section	.AMDGPU.csdata,"",@progbits
; Kernel info:
; codeLenInByte = 1696
; NumSgprs: 22
; NumVgprs: 35
; ScratchSize: 0
; MemoryBound: 0
; FloatMode: 240
; IeeeMode: 1
; LDSByteSize: 0 bytes/workgroup (compile time only)
; SGPRBlocks: 2
; VGPRBlocks: 4
; NumSGPRsForWavesPerEU: 22
; NumVGPRsForWavesPerEU: 35
; Occupancy: 16
; WaveLimiterHint : 0
; COMPUTE_PGM_RSRC2:SCRATCH_EN: 0
; COMPUTE_PGM_RSRC2:USER_SGPR: 15
; COMPUTE_PGM_RSRC2:TRAP_HANDLER: 0
; COMPUTE_PGM_RSRC2:TGID_X_EN: 1
; COMPUTE_PGM_RSRC2:TGID_Y_EN: 0
; COMPUTE_PGM_RSRC2:TGID_Z_EN: 0
; COMPUTE_PGM_RSRC2:TIDIG_COMP_CNT: 0
	.section	.text._ZN2at6native12_GLOBAL__N_125multi_tensor_apply_kernelINS1_18TensorListMetadataILi2EEENS1_11CopyFunctorIN3c108BFloat16ENS6_13Float8_e4m3fnELi2ELi1ELi1EEEJNS0_4CopyIS7_S8_EEEEEvT_T0_DpT1_,"axG",@progbits,_ZN2at6native12_GLOBAL__N_125multi_tensor_apply_kernelINS1_18TensorListMetadataILi2EEENS1_11CopyFunctorIN3c108BFloat16ENS6_13Float8_e4m3fnELi2ELi1ELi1EEEJNS0_4CopyIS7_S8_EEEEEvT_T0_DpT1_,comdat
	.globl	_ZN2at6native12_GLOBAL__N_125multi_tensor_apply_kernelINS1_18TensorListMetadataILi2EEENS1_11CopyFunctorIN3c108BFloat16ENS6_13Float8_e4m3fnELi2ELi1ELi1EEEJNS0_4CopyIS7_S8_EEEEEvT_T0_DpT1_ ; -- Begin function _ZN2at6native12_GLOBAL__N_125multi_tensor_apply_kernelINS1_18TensorListMetadataILi2EEENS1_11CopyFunctorIN3c108BFloat16ENS6_13Float8_e4m3fnELi2ELi1ELi1EEEJNS0_4CopyIS7_S8_EEEEEvT_T0_DpT1_
	.p2align	8
	.type	_ZN2at6native12_GLOBAL__N_125multi_tensor_apply_kernelINS1_18TensorListMetadataILi2EEENS1_11CopyFunctorIN3c108BFloat16ENS6_13Float8_e4m3fnELi2ELi1ELi1EEEJNS0_4CopyIS7_S8_EEEEEvT_T0_DpT1_,@function
_ZN2at6native12_GLOBAL__N_125multi_tensor_apply_kernelINS1_18TensorListMetadataILi2EEENS1_11CopyFunctorIN3c108BFloat16ENS6_13Float8_e4m3fnELi2ELi1ELi1EEEJNS0_4CopyIS7_S8_EEEEEvT_T0_DpT1_: ; @_ZN2at6native12_GLOBAL__N_125multi_tensor_apply_kernelINS1_18TensorListMetadataILi2EEENS1_11CopyFunctorIN3c108BFloat16ENS6_13Float8_e4m3fnELi2ELi1ELi1EEEJNS0_4CopyIS7_S8_EEEEEvT_T0_DpT1_
; %bb.0:
	v_mov_b32_e32 v1, s15
	s_add_u32 s2, s0, s15
	s_mul_hi_u32 s3, s15, 3
	s_mul_i32 s15, s15, 3
	s_addc_u32 s4, s1, 0
	global_load_u8 v1, v1, s[0:1] offset:1536
	s_add_u32 s2, s2, s15
	s_addc_u32 s3, s4, s3
	s_load_b32 s10, s[2:3], 0x740
	s_waitcnt lgkmcnt(0)
	s_ashr_i32 s11, s10, 31
	s_delay_alu instid0(SALU_CYCLE_1) | instskip(SKIP_2) | instid1(VALU_DEP_1)
	s_lshl_b64 s[8:9], s[10:11], 16
	s_waitcnt vmcnt(0)
	v_readfirstlane_b32 s5, v1
	s_lshl_b32 s2, s5, 3
	s_mov_b32 s5, 0
	s_clause 0x2
	s_load_b64 s[6:7], s[0:1], s2 offset:0x0
	s_load_b64 s[12:13], s[0:1], s2 offset:0x200
	;; [unrolled: 1-line block ×3, first 2 shown]
	s_waitcnt lgkmcnt(0)
	s_add_u32 s14, s6, s8
	s_addc_u32 s15, s7, s9
	s_and_b32 s16, s12, 7
	s_and_b32 s17, s2, 3
	;; [unrolled: 1-line block ×3, first 2 shown]
	s_or_b32 s16, s17, s16
	s_mov_b32 s17, s5
	s_delay_alu instid0(SALU_CYCLE_1)
	s_or_b64 s[16:17], s[4:5], s[16:17]
	s_sub_u32 s4, s2, s8
	s_subb_u32 s5, s3, s9
	s_cmp_eq_u64 s[16:17], 0
	s_mov_b32 s2, -1
	s_cbranch_scc0 .LBB328_5
; %bb.1:
	v_dual_mov_b32 v2, 0 :: v_dual_lshlrev_b32 v1, 2, v0
	s_mov_b32 s16, exec_lo
	s_delay_alu instid0(VALU_DEP_1)
	v_cmpx_gt_i64_e64 s[4:5], v[1:2]
	s_cbranch_execz .LBB328_4
; %bb.2:
	s_load_b32 s17, s[0:1], 0xc5c
	v_lshlrev_b32_e32 v3, 3, v0
	s_lshl_b64 s[2:3], s[10:11], 17
	s_mov_b32 s18, 0
	s_waitcnt lgkmcnt(0)
	s_and_b32 s19, s17, 0xffff
	s_delay_alu instid0(SALU_CYCLE_1) | instskip(SKIP_3) | instid1(VALU_DEP_1)
	s_lshl_b32 s17, s19, 2
	s_add_u32 s2, s12, s2
	s_addc_u32 s3, s13, s3
	v_add_co_u32 v3, s2, s2, v3
	v_add_co_ci_u32_e64 v4, null, s3, 0, s2
	s_lshl_b32 s19, s19, 3
.LBB328_3:                              ; =>This Inner Loop Header: Depth=1
	v_add_co_u32 v5, vcc_lo, s14, v1
	v_add_co_ci_u32_e32 v6, vcc_lo, s15, v2, vcc_lo
	v_add_co_u32 v1, vcc_lo, s17, v1
	v_add_co_ci_u32_e32 v2, vcc_lo, 0, v2, vcc_lo
	global_load_b32 v5, v[5:6], off
	v_cmp_le_i64_e32 vcc_lo, s[4:5], v[1:2]
	v_cmp_lt_u64_e64 s2, 0xffff, v[1:2]
	s_delay_alu instid0(VALU_DEP_1) | instskip(NEXT) | instid1(SALU_CYCLE_1)
	s_or_b32 s2, vcc_lo, s2
	s_and_b32 s20, exec_lo, s2
	s_delay_alu instid0(SALU_CYCLE_1)
	s_or_b32 s18, s20, s18
	s_waitcnt vmcnt(0)
	v_and_b32_e32 v9, 0x7f000000, v5
	v_lshlrev_b32_e32 v8, 8, v5
	v_lshlrev_b32_e32 v6, 24, v5
	;; [unrolled: 1-line block ×3, first 2 shown]
	s_delay_alu instid0(VALU_DEP_4) | instskip(NEXT) | instid1(VALU_DEP_4)
	v_clz_i32_u32_e32 v13, v9
	v_and_b32_e32 v12, 0x7f000000, v8
	v_add_nc_u32_e32 v14, 0x1000000, v9
	v_and_b32_e32 v10, 0x7f000000, v6
	v_cmp_ne_u32_e32 vcc_lo, 0, v9
	v_min_u32_e32 v13, 32, v13
	v_clz_i32_u32_e32 v19, v12
	v_ashrrev_i32_e32 v14, 8, v14
	v_clz_i32_u32_e32 v15, v10
	v_add_nc_u32_e32 v20, 0x1000000, v12
	v_sub_nc_u32_e64 v13, v13, 4 clamp
	v_min_u32_e32 v19, 32, v19
	v_cmp_ne_u32_e64 s3, 0, v12
	v_min_u32_e32 v15, 32, v15
	v_add_nc_u32_e32 v16, 0x1000000, v10
	v_lshlrev_b32_e32 v21, v13, v9
	v_lshlrev_b32_e32 v13, 23, v13
	v_sub_nc_u32_e64 v19, v19, 4 clamp
	v_sub_nc_u32_e64 v15, v15, 4 clamp
	v_ashrrev_i32_e32 v16, 8, v16
	v_lshrrev_b32_e32 v21, 4, v21
	v_ashrrev_i32_e32 v20, 8, v20
	v_lshlrev_b32_e32 v24, v19, v12
	v_lshlrev_b32_e32 v22, v15, v10
	;; [unrolled: 1-line block ×3, first 2 shown]
	v_sub_nc_u32_e32 v13, v21, v13
	v_lshlrev_b32_e32 v19, 23, v19
	v_lshrrev_b32_e32 v24, 4, v24
	v_lshrrev_b32_e32 v22, 4, v22
	s_delay_alu instid0(VALU_DEP_4) | instskip(NEXT) | instid1(VALU_DEP_3)
	v_add_nc_u32_e32 v13, 0x3c000000, v13
	v_sub_nc_u32_e32 v19, v24, v19
	s_delay_alu instid0(VALU_DEP_3) | instskip(NEXT) | instid1(VALU_DEP_3)
	v_sub_nc_u32_e32 v15, v22, v15
	v_and_or_b32 v13, 0x7f800000, v14, v13
	v_and_b32_e32 v11, 0x7f000000, v7
	s_delay_alu instid0(VALU_DEP_4) | instskip(NEXT) | instid1(VALU_DEP_3)
	v_add_nc_u32_e32 v19, 0x3c000000, v19
	v_dual_cndmask_b32 v12, 0, v13 :: v_dual_add_nc_u32 v15, 0x3c000000, v15
	s_delay_alu instid0(VALU_DEP_3) | instskip(SKIP_1) | instid1(VALU_DEP_3)
	v_clz_i32_u32_e32 v17, v11
	v_add_nc_u32_e32 v18, 0x1000000, v11
	v_and_or_b32 v9, 0x7f800000, v16, v15
	v_cmp_ne_u32_e64 s2, 0, v11
	v_cmp_ne_u32_e32 vcc_lo, 0, v10
	v_min_u32_e32 v17, 32, v17
	v_ashrrev_i32_e32 v18, 8, v18
	v_and_or_b32 v5, 0x80000000, v5, v12
	v_bfe_u32 v12, v12, 16, 1
	v_cndmask_b32_e32 v9, 0, v9, vcc_lo
	v_sub_nc_u32_e64 v17, v17, 4 clamp
	s_delay_alu instid0(VALU_DEP_4) | instskip(NEXT) | instid1(VALU_DEP_4)
	v_cmp_o_f32_e32 vcc_lo, v5, v5
	v_add3_u32 v12, v5, v12, 0x7fff
	s_delay_alu instid0(VALU_DEP_4) | instskip(NEXT) | instid1(VALU_DEP_4)
	v_and_or_b32 v6, 0x80000000, v6, v9
	v_lshlrev_b32_e32 v23, v17, v11
	v_lshlrev_b32_e32 v17, 23, v17
	v_and_or_b32 v11, 0x7f800000, v20, v19
	v_bfe_u32 v9, v9, 16, 1
	v_and_b32_e32 v12, 0xffff0000, v12
	v_lshrrev_b32_e32 v23, 4, v23
	s_delay_alu instid0(VALU_DEP_4) | instskip(NEXT) | instid1(VALU_DEP_4)
	v_cndmask_b32_e64 v11, 0, v11, s3
	v_add3_u32 v9, v6, v9, 0x7fff
	s_delay_alu instid0(VALU_DEP_3) | instskip(NEXT) | instid1(VALU_DEP_3)
	v_sub_nc_u32_e32 v17, v23, v17
	v_and_or_b32 v8, 0x80000000, v8, v11
	v_bfe_u32 v11, v11, 16, 1
	s_delay_alu instid0(VALU_DEP_4) | instskip(NEXT) | instid1(VALU_DEP_4)
	v_lshrrev_b32_e32 v5, 16, v9
	v_add_nc_u32_e32 v17, 0x3c000000, v17
	s_delay_alu instid0(VALU_DEP_4) | instskip(NEXT) | instid1(VALU_DEP_4)
	v_cmp_o_f32_e64 s3, v8, v8
	v_add3_u32 v11, v8, v11, 0x7fff
	s_delay_alu instid0(VALU_DEP_3) | instskip(NEXT) | instid1(VALU_DEP_1)
	v_and_or_b32 v14, 0x7f800000, v18, v17
	v_cndmask_b32_e64 v10, 0, v14, s2
	v_cmp_o_f32_e64 s2, v6, v6
	s_delay_alu instid0(VALU_DEP_2) | instskip(SKIP_1) | instid1(VALU_DEP_3)
	v_and_or_b32 v7, 0x80000000, v7, v10
	v_bfe_u32 v10, v10, 16, 1
	v_cndmask_b32_e64 v5, 0x7fc0, v5, s2
	s_delay_alu instid0(VALU_DEP_2) | instskip(NEXT) | instid1(VALU_DEP_1)
	v_add3_u32 v10, v7, v10, 0x7fff
	v_and_b32_e32 v9, 0xffff0000, v10
	v_lshrrev_b32_e32 v10, 16, v11
	v_cndmask_b32_e32 v11, 0x7fc00000, v12, vcc_lo
	v_cmp_o_f32_e32 vcc_lo, v7, v7
	s_delay_alu instid0(VALU_DEP_3) | instskip(SKIP_1) | instid1(VALU_DEP_2)
	v_cndmask_b32_e64 v6, 0x7fc0, v10, s3
	v_cndmask_b32_e32 v7, 0x7fc00000, v9, vcc_lo
	v_or3_b32 v6, v11, 0, v6
	s_delay_alu instid0(VALU_DEP_2)
	v_or3_b32 v5, v7, v5, 0
	global_store_b64 v[3:4], v[5:6], off
	v_add_co_u32 v3, vcc_lo, v3, s19
	v_add_co_ci_u32_e32 v4, vcc_lo, 0, v4, vcc_lo
	s_and_not1_b32 exec_lo, exec_lo, s18
	s_cbranch_execnz .LBB328_3
.LBB328_4:
	s_or_b32 exec_lo, exec_lo, s16
	s_mov_b32 s2, 0
.LBB328_5:
	s_delay_alu instid0(SALU_CYCLE_1)
	s_and_not1_b32 vcc_lo, exec_lo, s2
	s_cbranch_vccnz .LBB328_25
; %bb.6:
	v_cmp_lt_i64_e64 s2, s[4:5], 1
	s_delay_alu instid0(VALU_DEP_1)
	s_and_b32 vcc_lo, exec_lo, s2
	s_cbranch_vccnz .LBB328_25
; %bb.7:
	s_load_b32 s0, s[0:1], 0xc5c
	v_cmp_gt_u64_e64 s1, 0x10000, s[4:5]
	v_add_co_u32 v3, s2, s8, v0
	v_lshlrev_b32_e32 v1, 1, v0
	v_add_co_ci_u32_e64 v4, null, s9, 0, s2
	s_delay_alu instid0(VALU_DEP_3) | instskip(NEXT) | instid1(VALU_DEP_2)
	v_add_co_u32 v13, vcc_lo, s6, v3
                                        ; implicit-def: $vgpr27
                                        ; implicit-def: $vgpr28
                                        ; implicit-def: $vgpr29
                                        ; implicit-def: $vgpr30
	v_add_co_ci_u32_e32 v14, vcc_lo, s7, v4, vcc_lo
	s_waitcnt lgkmcnt(0)
	s_and_b32 s0, s0, 0xffff
	s_and_b32 s1, s1, exec_lo
	s_cselect_b32 s3, s5, 0
	s_cselect_b32 s2, s4, 0x10000
	s_lshl_b64 s[10:11], s[10:11], 17
	s_lshl_b32 s14, s0, 1
	s_lshl_b32 s1, s0, 2
	s_add_u32 s12, s12, s10
	s_mul_i32 s15, s0, 3
	s_addc_u32 s11, s13, s11
	s_lshl_b32 s10, s0, 3
	v_add_co_u32 v1, s16, s12, v1
	s_add_u32 s13, s8, s15
	v_add_co_ci_u32_e64 v2, null, s11, 0, s16
	s_addc_u32 s16, s9, 0
	s_add_u32 s13, s6, s13
	s_addc_u32 s16, s7, s16
	s_add_u32 s8, s8, s14
	;; [unrolled: 2-line block ×3, first 2 shown]
	s_addc_u32 s9, s7, s9
	v_add_co_u32 v19, s8, s8, v0
	s_delay_alu instid0(VALU_DEP_1) | instskip(SKIP_1) | instid1(VALU_DEP_1)
	v_add_co_ci_u32_e64 v20, null, s9, 0, s8
	v_add_co_u32 v21, s8, s14, v0
	v_add_co_ci_u32_e64 v22, null, 0, 0, s8
	v_add_co_u32 v23, s8, v0, s0
	v_add_co_u32 v15, s13, s13, v0
	s_add_u32 s6, s6, s0
	s_delay_alu instid0(VALU_DEP_2)
	v_lshlrev_b32_e32 v5, 1, v23
	v_add_co_ci_u32_e64 v16, null, s16, 0, s13
	v_add_co_u32 v17, s13, s15, v0
	s_addc_u32 s7, s7, 0
	v_add_co_u32 v25, vcc_lo, s6, v3
	v_add_co_u32 v3, s6, s12, v5
	v_add_co_ci_u32_e64 v18, null, 0, 0, s13
	v_add_co_ci_u32_e64 v24, null, 0, 0, s8
	v_add_co_ci_u32_e32 v26, vcc_lo, s7, v4, vcc_lo
	v_add_co_ci_u32_e64 v4, null, s11, 0, s6
	s_mul_i32 s8, s0, 6
	s_mov_b64 s[6:7], 0
	s_branch .LBB328_9
.LBB328_8:                              ;   in Loop: Header=BB328_9 Depth=1
	s_or_b32 exec_lo, exec_lo, s0
	s_add_u32 s6, s6, s1
	s_addc_u32 s7, s7, 0
	v_add_co_u32 v1, vcc_lo, v1, s10
	v_cmp_ge_i64_e64 s0, s[6:7], s[4:5]
	v_cmp_lt_u64_e64 s9, 0xffff, s[6:7]
	v_add_co_ci_u32_e32 v2, vcc_lo, 0, v2, vcc_lo
	v_add_co_u32 v3, vcc_lo, v3, s10
	v_add_co_ci_u32_e32 v4, vcc_lo, 0, v4, vcc_lo
	s_delay_alu instid0(VALU_DEP_4) | instskip(NEXT) | instid1(SALU_CYCLE_1)
	s_or_b32 s0, s0, s9
	s_and_b32 vcc_lo, exec_lo, s0
	s_cbranch_vccnz .LBB328_25
.LBB328_9:                              ; =>This Inner Loop Header: Depth=1
	v_add_co_u32 v11, s0, v0, s6
	s_delay_alu instid0(VALU_DEP_1) | instskip(NEXT) | instid1(VALU_DEP_1)
	v_add_co_ci_u32_e64 v12, null, 0, s7, s0
	v_cmp_gt_i64_e32 vcc_lo, s[4:5], v[11:12]
	v_cmp_gt_u64_e64 s0, 0x10000, v[11:12]
	s_delay_alu instid0(VALU_DEP_1) | instskip(NEXT) | instid1(SALU_CYCLE_1)
	s_and_b32 s9, vcc_lo, s0
	s_and_saveexec_b32 s0, s9
	s_cbranch_execz .LBB328_11
; %bb.10:                               ;   in Loop: Header=BB328_9 Depth=1
	v_add_co_u32 v5, vcc_lo, v13, s6
	v_add_co_ci_u32_e32 v6, vcc_lo, s7, v14, vcc_lo
	global_load_u8 v30, v[5:6], off
.LBB328_11:                             ;   in Loop: Header=BB328_9 Depth=1
	s_or_b32 exec_lo, exec_lo, s0
	v_add_co_u32 v9, vcc_lo, v23, s6
	v_add_co_ci_u32_e32 v10, vcc_lo, s7, v24, vcc_lo
	s_delay_alu instid0(VALU_DEP_1) | instskip(SKIP_1) | instid1(VALU_DEP_1)
	v_cmp_gt_i64_e32 vcc_lo, s[4:5], v[9:10]
	v_cmp_gt_u64_e64 s0, 0x10000, v[9:10]
	s_and_b32 s9, vcc_lo, s0
	s_delay_alu instid0(SALU_CYCLE_1)
	s_and_saveexec_b32 s0, s9
	s_cbranch_execz .LBB328_13
; %bb.12:                               ;   in Loop: Header=BB328_9 Depth=1
	v_add_co_u32 v5, vcc_lo, v25, s6
	v_add_co_ci_u32_e32 v6, vcc_lo, s7, v26, vcc_lo
	global_load_u8 v29, v[5:6], off
.LBB328_13:                             ;   in Loop: Header=BB328_9 Depth=1
	s_or_b32 exec_lo, exec_lo, s0
	v_add_co_u32 v7, vcc_lo, v21, s6
	v_add_co_ci_u32_e32 v8, vcc_lo, s7, v22, vcc_lo
	s_delay_alu instid0(VALU_DEP_1) | instskip(SKIP_1) | instid1(VALU_DEP_1)
	v_cmp_gt_i64_e32 vcc_lo, s[4:5], v[7:8]
	v_cmp_gt_u64_e64 s0, 0x10000, v[7:8]
	s_and_b32 s9, vcc_lo, s0
	s_delay_alu instid0(SALU_CYCLE_1)
	;; [unrolled: 15-line block ×3, first 2 shown]
	s_and_saveexec_b32 s0, s9
	s_cbranch_execnz .LBB328_20
; %bb.16:                               ;   in Loop: Header=BB328_9 Depth=1
	s_or_b32 exec_lo, exec_lo, s0
	s_delay_alu instid0(SALU_CYCLE_1)
	s_mov_b32 s0, exec_lo
	v_cmpx_gt_u64_e64 s[2:3], v[11:12]
	s_cbranch_execnz .LBB328_21
.LBB328_17:                             ;   in Loop: Header=BB328_9 Depth=1
	s_or_b32 exec_lo, exec_lo, s0
	s_delay_alu instid0(SALU_CYCLE_1)
	s_mov_b32 s0, exec_lo
	v_cmpx_gt_u64_e64 s[2:3], v[9:10]
	s_cbranch_execnz .LBB328_22
.LBB328_18:                             ;   in Loop: Header=BB328_9 Depth=1
	s_or_b32 exec_lo, exec_lo, s0
	s_delay_alu instid0(SALU_CYCLE_1)
	s_mov_b32 s0, exec_lo
	v_cmpx_gt_u64_e64 s[2:3], v[7:8]
	s_cbranch_execnz .LBB328_23
.LBB328_19:                             ;   in Loop: Header=BB328_9 Depth=1
	s_or_b32 exec_lo, exec_lo, s0
	s_delay_alu instid0(SALU_CYCLE_1)
	s_mov_b32 s0, exec_lo
	v_cmpx_gt_u64_e64 s[2:3], v[5:6]
	s_cbranch_execz .LBB328_8
	s_branch .LBB328_24
.LBB328_20:                             ;   in Loop: Header=BB328_9 Depth=1
	v_add_co_u32 v31, vcc_lo, v15, s6
	v_add_co_ci_u32_e32 v32, vcc_lo, s7, v16, vcc_lo
	global_load_u8 v27, v[31:32], off
	s_or_b32 exec_lo, exec_lo, s0
	s_delay_alu instid0(SALU_CYCLE_1)
	s_mov_b32 s0, exec_lo
	v_cmpx_gt_u64_e64 s[2:3], v[11:12]
	s_cbranch_execz .LBB328_17
.LBB328_21:                             ;   in Loop: Header=BB328_9 Depth=1
	s_waitcnt vmcnt(0)
	v_lshlrev_b32_e32 v11, 24, v30
	s_delay_alu instid0(VALU_DEP_1) | instskip(NEXT) | instid1(VALU_DEP_1)
	v_and_b32_e32 v12, 0x7f000000, v11
	v_clz_i32_u32_e32 v31, v12
	v_add_nc_u32_e32 v33, 0x1000000, v12
	v_cmp_ne_u32_e32 vcc_lo, 0, v12
	s_delay_alu instid0(VALU_DEP_3) | instskip(NEXT) | instid1(VALU_DEP_1)
	v_min_u32_e32 v31, 32, v31
	v_sub_nc_u32_e64 v31, v31, 4 clamp
	s_delay_alu instid0(VALU_DEP_1) | instskip(SKIP_1) | instid1(VALU_DEP_2)
	v_lshlrev_b32_e32 v32, v31, v12
	v_lshlrev_b32_e32 v31, 23, v31
	v_lshrrev_b32_e32 v32, 4, v32
	s_delay_alu instid0(VALU_DEP_1) | instskip(SKIP_1) | instid1(VALU_DEP_2)
	v_sub_nc_u32_e32 v31, v32, v31
	v_ashrrev_i32_e32 v32, 8, v33
	v_add_nc_u32_e32 v31, 0x3c000000, v31
	s_delay_alu instid0(VALU_DEP_1) | instskip(NEXT) | instid1(VALU_DEP_1)
	v_and_or_b32 v31, 0x7f800000, v32, v31
	v_cndmask_b32_e32 v12, 0, v31, vcc_lo
	s_delay_alu instid0(VALU_DEP_1) | instskip(SKIP_1) | instid1(VALU_DEP_2)
	v_and_or_b32 v11, 0x80000000, v11, v12
	v_bfe_u32 v12, v12, 16, 1
	v_cmp_o_f32_e32 vcc_lo, v11, v11
	s_delay_alu instid0(VALU_DEP_2) | instskip(NEXT) | instid1(VALU_DEP_1)
	v_add3_u32 v12, v11, v12, 0x7fff
	v_lshrrev_b32_e32 v12, 16, v12
	s_delay_alu instid0(VALU_DEP_1) | instskip(SKIP_2) | instid1(SALU_CYCLE_1)
	v_cndmask_b32_e32 v11, 0x7fc0, v12, vcc_lo
	global_store_b16 v[1:2], v11, off
	s_or_b32 exec_lo, exec_lo, s0
	s_mov_b32 s0, exec_lo
	v_cmpx_gt_u64_e64 s[2:3], v[9:10]
	s_cbranch_execz .LBB328_18
.LBB328_22:                             ;   in Loop: Header=BB328_9 Depth=1
	s_waitcnt vmcnt(0)
	v_lshlrev_b32_e32 v9, 24, v29
	s_delay_alu instid0(VALU_DEP_1) | instskip(NEXT) | instid1(VALU_DEP_1)
	v_and_b32_e32 v10, 0x7f000000, v9
	v_clz_i32_u32_e32 v11, v10
	v_add_nc_u32_e32 v31, 0x1000000, v10
	v_cmp_ne_u32_e32 vcc_lo, 0, v10
	s_delay_alu instid0(VALU_DEP_3) | instskip(NEXT) | instid1(VALU_DEP_1)
	v_min_u32_e32 v11, 32, v11
	v_sub_nc_u32_e64 v11, v11, 4 clamp
	s_delay_alu instid0(VALU_DEP_1) | instskip(SKIP_1) | instid1(VALU_DEP_2)
	v_lshlrev_b32_e32 v12, v11, v10
	v_lshlrev_b32_e32 v11, 23, v11
	v_lshrrev_b32_e32 v12, 4, v12
	s_delay_alu instid0(VALU_DEP_1) | instskip(SKIP_1) | instid1(VALU_DEP_2)
	v_sub_nc_u32_e32 v11, v12, v11
	v_ashrrev_i32_e32 v12, 8, v31
	v_add_nc_u32_e32 v11, 0x3c000000, v11
	s_delay_alu instid0(VALU_DEP_1) | instskip(NEXT) | instid1(VALU_DEP_1)
	v_and_or_b32 v11, 0x7f800000, v12, v11
	v_cndmask_b32_e32 v10, 0, v11, vcc_lo
	s_delay_alu instid0(VALU_DEP_1) | instskip(SKIP_1) | instid1(VALU_DEP_2)
	v_and_or_b32 v9, 0x80000000, v9, v10
	v_bfe_u32 v10, v10, 16, 1
	v_cmp_o_f32_e32 vcc_lo, v9, v9
	s_delay_alu instid0(VALU_DEP_2) | instskip(NEXT) | instid1(VALU_DEP_1)
	v_add3_u32 v10, v9, v10, 0x7fff
	v_lshrrev_b32_e32 v10, 16, v10
	s_delay_alu instid0(VALU_DEP_1) | instskip(SKIP_2) | instid1(SALU_CYCLE_1)
	v_cndmask_b32_e32 v9, 0x7fc0, v10, vcc_lo
	global_store_b16 v[3:4], v9, off
	s_or_b32 exec_lo, exec_lo, s0
	s_mov_b32 s0, exec_lo
	v_cmpx_gt_u64_e64 s[2:3], v[7:8]
	s_cbranch_execz .LBB328_19
.LBB328_23:                             ;   in Loop: Header=BB328_9 Depth=1
	s_waitcnt vmcnt(0)
	v_lshlrev_b32_e32 v7, 24, v28
	s_delay_alu instid0(VALU_DEP_1) | instskip(NEXT) | instid1(VALU_DEP_1)
	v_and_b32_e32 v8, 0x7f000000, v7
	v_clz_i32_u32_e32 v9, v8
	v_add_nc_u32_e32 v11, 0x1000000, v8
	v_cmp_ne_u32_e32 vcc_lo, 0, v8
	s_delay_alu instid0(VALU_DEP_3) | instskip(NEXT) | instid1(VALU_DEP_1)
	v_min_u32_e32 v9, 32, v9
	v_sub_nc_u32_e64 v9, v9, 4 clamp
	s_delay_alu instid0(VALU_DEP_1) | instskip(SKIP_1) | instid1(VALU_DEP_2)
	v_lshlrev_b32_e32 v10, v9, v8
	v_lshlrev_b32_e32 v9, 23, v9
	v_lshrrev_b32_e32 v10, 4, v10
	s_delay_alu instid0(VALU_DEP_1) | instskip(SKIP_1) | instid1(VALU_DEP_2)
	v_sub_nc_u32_e32 v9, v10, v9
	v_ashrrev_i32_e32 v10, 8, v11
	v_add_nc_u32_e32 v9, 0x3c000000, v9
	s_delay_alu instid0(VALU_DEP_1) | instskip(NEXT) | instid1(VALU_DEP_1)
	v_and_or_b32 v9, 0x7f800000, v10, v9
	v_cndmask_b32_e32 v8, 0, v9, vcc_lo
	s_delay_alu instid0(VALU_DEP_1) | instskip(SKIP_1) | instid1(VALU_DEP_2)
	v_and_or_b32 v7, 0x80000000, v7, v8
	v_bfe_u32 v8, v8, 16, 1
	v_cmp_o_f32_e32 vcc_lo, v7, v7
	s_delay_alu instid0(VALU_DEP_2) | instskip(NEXT) | instid1(VALU_DEP_1)
	v_add3_u32 v8, v7, v8, 0x7fff
	v_lshrrev_b32_e32 v8, 16, v8
	s_delay_alu instid0(VALU_DEP_1) | instskip(SKIP_4) | instid1(SALU_CYCLE_1)
	v_cndmask_b32_e32 v9, 0x7fc0, v8, vcc_lo
	v_add_co_u32 v7, vcc_lo, v1, s1
	v_add_co_ci_u32_e32 v8, vcc_lo, 0, v2, vcc_lo
	global_store_b16 v[7:8], v9, off
	s_or_b32 exec_lo, exec_lo, s0
	s_mov_b32 s0, exec_lo
	v_cmpx_gt_u64_e64 s[2:3], v[5:6]
	s_cbranch_execz .LBB328_8
.LBB328_24:                             ;   in Loop: Header=BB328_9 Depth=1
	s_waitcnt vmcnt(0)
	v_lshlrev_b32_e32 v5, 24, v27
	s_delay_alu instid0(VALU_DEP_1) | instskip(NEXT) | instid1(VALU_DEP_1)
	v_and_b32_e32 v6, 0x7f000000, v5
	v_clz_i32_u32_e32 v7, v6
	v_cmp_ne_u32_e32 vcc_lo, 0, v6
	v_add_nc_u32_e32 v9, 0x1000000, v6
	s_delay_alu instid0(VALU_DEP_3) | instskip(NEXT) | instid1(VALU_DEP_1)
	v_min_u32_e32 v7, 32, v7
	v_sub_nc_u32_e64 v7, v7, 4 clamp
	s_delay_alu instid0(VALU_DEP_1) | instskip(SKIP_1) | instid1(VALU_DEP_2)
	v_lshlrev_b32_e32 v8, v7, v6
	v_lshlrev_b32_e32 v7, 23, v7
	v_lshrrev_b32_e32 v8, 4, v8
	s_delay_alu instid0(VALU_DEP_1) | instskip(SKIP_1) | instid1(VALU_DEP_2)
	v_sub_nc_u32_e32 v7, v8, v7
	v_ashrrev_i32_e32 v8, 8, v9
	v_add_nc_u32_e32 v7, 0x3c000000, v7
	s_delay_alu instid0(VALU_DEP_1) | instskip(NEXT) | instid1(VALU_DEP_1)
	v_and_or_b32 v7, 0x7f800000, v8, v7
	v_cndmask_b32_e32 v6, 0, v7, vcc_lo
	s_delay_alu instid0(VALU_DEP_1) | instskip(SKIP_1) | instid1(VALU_DEP_2)
	v_and_or_b32 v5, 0x80000000, v5, v6
	v_bfe_u32 v6, v6, 16, 1
	v_cmp_o_f32_e32 vcc_lo, v5, v5
	s_delay_alu instid0(VALU_DEP_2) | instskip(NEXT) | instid1(VALU_DEP_1)
	v_add3_u32 v6, v5, v6, 0x7fff
	v_lshrrev_b32_e32 v6, 16, v6
	s_delay_alu instid0(VALU_DEP_1)
	v_cndmask_b32_e32 v7, 0x7fc0, v6, vcc_lo
	v_add_co_u32 v5, vcc_lo, v1, s8
	v_add_co_ci_u32_e32 v6, vcc_lo, 0, v2, vcc_lo
	global_store_b16 v[5:6], v7, off
	s_branch .LBB328_8
.LBB328_25:
	s_nop 0
	s_sendmsg sendmsg(MSG_DEALLOC_VGPRS)
	s_endpgm
	.section	.rodata,"a",@progbits
	.p2align	6, 0x0
	.amdhsa_kernel _ZN2at6native12_GLOBAL__N_125multi_tensor_apply_kernelINS1_18TensorListMetadataILi2EEENS1_11CopyFunctorIN3c108BFloat16ENS6_13Float8_e4m3fnELi2ELi1ELi1EEEJNS0_4CopyIS7_S8_EEEEEvT_T0_DpT1_
		.amdhsa_group_segment_fixed_size 0
		.amdhsa_private_segment_fixed_size 0
		.amdhsa_kernarg_size 3408
		.amdhsa_user_sgpr_count 15
		.amdhsa_user_sgpr_dispatch_ptr 0
		.amdhsa_user_sgpr_queue_ptr 0
		.amdhsa_user_sgpr_kernarg_segment_ptr 1
		.amdhsa_user_sgpr_dispatch_id 0
		.amdhsa_user_sgpr_private_segment_size 0
		.amdhsa_wavefront_size32 1
		.amdhsa_uses_dynamic_stack 0
		.amdhsa_enable_private_segment 0
		.amdhsa_system_sgpr_workgroup_id_x 1
		.amdhsa_system_sgpr_workgroup_id_y 0
		.amdhsa_system_sgpr_workgroup_id_z 0
		.amdhsa_system_sgpr_workgroup_info 0
		.amdhsa_system_vgpr_workitem_id 0
		.amdhsa_next_free_vgpr 34
		.amdhsa_next_free_sgpr 21
		.amdhsa_reserve_vcc 1
		.amdhsa_float_round_mode_32 0
		.amdhsa_float_round_mode_16_64 0
		.amdhsa_float_denorm_mode_32 3
		.amdhsa_float_denorm_mode_16_64 3
		.amdhsa_dx10_clamp 1
		.amdhsa_ieee_mode 1
		.amdhsa_fp16_overflow 0
		.amdhsa_workgroup_processor_mode 1
		.amdhsa_memory_ordered 1
		.amdhsa_forward_progress 0
		.amdhsa_shared_vgpr_count 0
		.amdhsa_exception_fp_ieee_invalid_op 0
		.amdhsa_exception_fp_denorm_src 0
		.amdhsa_exception_fp_ieee_div_zero 0
		.amdhsa_exception_fp_ieee_overflow 0
		.amdhsa_exception_fp_ieee_underflow 0
		.amdhsa_exception_fp_ieee_inexact 0
		.amdhsa_exception_int_div_zero 0
	.end_amdhsa_kernel
	.section	.text._ZN2at6native12_GLOBAL__N_125multi_tensor_apply_kernelINS1_18TensorListMetadataILi2EEENS1_11CopyFunctorIN3c108BFloat16ENS6_13Float8_e4m3fnELi2ELi1ELi1EEEJNS0_4CopyIS7_S8_EEEEEvT_T0_DpT1_,"axG",@progbits,_ZN2at6native12_GLOBAL__N_125multi_tensor_apply_kernelINS1_18TensorListMetadataILi2EEENS1_11CopyFunctorIN3c108BFloat16ENS6_13Float8_e4m3fnELi2ELi1ELi1EEEJNS0_4CopyIS7_S8_EEEEEvT_T0_DpT1_,comdat
.Lfunc_end328:
	.size	_ZN2at6native12_GLOBAL__N_125multi_tensor_apply_kernelINS1_18TensorListMetadataILi2EEENS1_11CopyFunctorIN3c108BFloat16ENS6_13Float8_e4m3fnELi2ELi1ELi1EEEJNS0_4CopyIS7_S8_EEEEEvT_T0_DpT1_, .Lfunc_end328-_ZN2at6native12_GLOBAL__N_125multi_tensor_apply_kernelINS1_18TensorListMetadataILi2EEENS1_11CopyFunctorIN3c108BFloat16ENS6_13Float8_e4m3fnELi2ELi1ELi1EEEJNS0_4CopyIS7_S8_EEEEEvT_T0_DpT1_
                                        ; -- End function
	.section	.AMDGPU.csdata,"",@progbits
; Kernel info:
; codeLenInByte = 2632
; NumSgprs: 23
; NumVgprs: 34
; ScratchSize: 0
; MemoryBound: 0
; FloatMode: 240
; IeeeMode: 1
; LDSByteSize: 0 bytes/workgroup (compile time only)
; SGPRBlocks: 2
; VGPRBlocks: 4
; NumSGPRsForWavesPerEU: 23
; NumVGPRsForWavesPerEU: 34
; Occupancy: 16
; WaveLimiterHint : 0
; COMPUTE_PGM_RSRC2:SCRATCH_EN: 0
; COMPUTE_PGM_RSRC2:USER_SGPR: 15
; COMPUTE_PGM_RSRC2:TRAP_HANDLER: 0
; COMPUTE_PGM_RSRC2:TGID_X_EN: 1
; COMPUTE_PGM_RSRC2:TGID_Y_EN: 0
; COMPUTE_PGM_RSRC2:TGID_Z_EN: 0
; COMPUTE_PGM_RSRC2:TIDIG_COMP_CNT: 0
	.section	.text._ZN2at6native12_GLOBAL__N_125multi_tensor_apply_kernelINS1_18TensorListMetadataILi2EEENS1_11CopyFunctorIN3c108BFloat16ENS6_15Float8_e4m3fnuzELi2ELi1ELi1EEEJNS0_4CopyIS7_S8_EEEEEvT_T0_DpT1_,"axG",@progbits,_ZN2at6native12_GLOBAL__N_125multi_tensor_apply_kernelINS1_18TensorListMetadataILi2EEENS1_11CopyFunctorIN3c108BFloat16ENS6_15Float8_e4m3fnuzELi2ELi1ELi1EEEJNS0_4CopyIS7_S8_EEEEEvT_T0_DpT1_,comdat
	.globl	_ZN2at6native12_GLOBAL__N_125multi_tensor_apply_kernelINS1_18TensorListMetadataILi2EEENS1_11CopyFunctorIN3c108BFloat16ENS6_15Float8_e4m3fnuzELi2ELi1ELi1EEEJNS0_4CopyIS7_S8_EEEEEvT_T0_DpT1_ ; -- Begin function _ZN2at6native12_GLOBAL__N_125multi_tensor_apply_kernelINS1_18TensorListMetadataILi2EEENS1_11CopyFunctorIN3c108BFloat16ENS6_15Float8_e4m3fnuzELi2ELi1ELi1EEEJNS0_4CopyIS7_S8_EEEEEvT_T0_DpT1_
	.p2align	8
	.type	_ZN2at6native12_GLOBAL__N_125multi_tensor_apply_kernelINS1_18TensorListMetadataILi2EEENS1_11CopyFunctorIN3c108BFloat16ENS6_15Float8_e4m3fnuzELi2ELi1ELi1EEEJNS0_4CopyIS7_S8_EEEEEvT_T0_DpT1_,@function
_ZN2at6native12_GLOBAL__N_125multi_tensor_apply_kernelINS1_18TensorListMetadataILi2EEENS1_11CopyFunctorIN3c108BFloat16ENS6_15Float8_e4m3fnuzELi2ELi1ELi1EEEJNS0_4CopyIS7_S8_EEEEEvT_T0_DpT1_: ; @_ZN2at6native12_GLOBAL__N_125multi_tensor_apply_kernelINS1_18TensorListMetadataILi2EEENS1_11CopyFunctorIN3c108BFloat16ENS6_15Float8_e4m3fnuzELi2ELi1ELi1EEEJNS0_4CopyIS7_S8_EEEEEvT_T0_DpT1_
; %bb.0:
	v_mov_b32_e32 v1, s15
	s_add_u32 s2, s0, s15
	s_mul_hi_u32 s3, s15, 3
	s_mul_i32 s15, s15, 3
	s_addc_u32 s4, s1, 0
	global_load_u8 v1, v1, s[0:1] offset:1536
	s_add_u32 s2, s2, s15
	s_addc_u32 s3, s4, s3
	s_mov_b32 s17, 0
	s_load_b32 s10, s[2:3], 0x740
	s_mov_b32 s19, s17
	s_waitcnt lgkmcnt(0)
	s_ashr_i32 s11, s10, 31
	s_delay_alu instid0(SALU_CYCLE_1) | instskip(SKIP_2) | instid1(VALU_DEP_1)
	s_lshl_b64 s[8:9], s[10:11], 16
	s_waitcnt vmcnt(0)
	v_readfirstlane_b32 s5, v1
	s_lshl_b32 s2, s5, 3
	s_clause 0x2
	s_load_b64 s[6:7], s[0:1], s2 offset:0x0
	s_load_b64 s[12:13], s[0:1], s2 offset:0x200
	s_load_b64 s[4:5], s[0:1], s2 offset:0x400
	s_waitcnt lgkmcnt(0)
	s_add_u32 s3, s6, s8
	s_addc_u32 s14, s7, s9
	s_and_b32 s2, s12, 7
	s_and_b32 s15, s4, 3
	;; [unrolled: 1-line block ×3, first 2 shown]
	s_or_b32 s18, s15, s2
	s_mov_b32 s2, -1
	s_or_b64 s[16:17], s[16:17], s[18:19]
	s_sub_u32 s4, s4, s8
	s_subb_u32 s5, s5, s9
	s_cmp_eq_u64 s[16:17], 0
	s_cbranch_scc0 .LBB329_37
; %bb.1:
	v_dual_mov_b32 v2, 0 :: v_dual_lshlrev_b32 v1, 2, v0
	s_mov_b32 s15, exec_lo
	s_delay_alu instid0(VALU_DEP_1)
	v_cmpx_gt_i64_e64 s[4:5], v[1:2]
	s_cbranch_execz .LBB329_36
; %bb.2:
	s_load_b32 s2, s[0:1], 0xc5c
	v_lshlrev_b32_e32 v3, 3, v0
	s_lshl_b64 s[18:19], s[10:11], 17
	s_waitcnt lgkmcnt(0)
	s_and_b32 s2, s2, 0xffff
	s_delay_alu instid0(SALU_CYCLE_1) | instskip(SKIP_3) | instid1(VALU_DEP_1)
	s_lshl_b32 s16, s2, 2
	s_add_u32 s17, s12, s18
	s_addc_u32 s18, s13, s19
	v_add_co_u32 v3, s17, s17, v3
	v_add_co_ci_u32_e64 v4, null, s18, 0, s17
	s_mov_b32 s17, 0
	s_lshl_b32 s18, s2, 3
	s_branch .LBB329_4
.LBB329_3:                              ;   in Loop: Header=BB329_4 Depth=1
	s_or_b32 exec_lo, exec_lo, s19
	s_delay_alu instid0(VALU_DEP_1)
	v_bfe_u32 v5, v10, 16, 1
	v_bfe_u32 v11, v7, 16, 1
	;; [unrolled: 1-line block ×3, first 2 shown]
	v_cmp_o_f32_e32 vcc_lo, v10, v10
	v_bfe_u32 v9, v8, 16, 1
	v_add3_u32 v5, v10, v5, 0x7fff
	v_add3_u32 v11, v7, v11, 0x7fff
	;; [unrolled: 1-line block ×3, first 2 shown]
	s_delay_alu instid0(VALU_DEP_4) | instskip(NEXT) | instid1(VALU_DEP_4)
	v_add3_u32 v9, v8, v9, 0x7fff
	v_and_b32_e32 v5, 0xffff0000, v5
	s_delay_alu instid0(VALU_DEP_4) | instskip(NEXT) | instid1(VALU_DEP_4)
	v_and_b32_e32 v11, 0xffff0000, v11
	v_lshrrev_b32_e32 v12, 16, v12
	s_delay_alu instid0(VALU_DEP_4) | instskip(NEXT) | instid1(VALU_DEP_4)
	v_lshrrev_b32_e32 v9, 16, v9
	v_cndmask_b32_e32 v5, 0x7fc00000, v5, vcc_lo
	v_cmp_o_f32_e32 vcc_lo, v7, v7
	v_cndmask_b32_e32 v7, 0x7fc00000, v11, vcc_lo
	v_cmp_o_f32_e32 vcc_lo, v6, v6
	v_cndmask_b32_e32 v6, 0x7fc0, v12, vcc_lo
	v_add_co_u32 v1, vcc_lo, s16, v1
	v_add_co_ci_u32_e32 v2, vcc_lo, 0, v2, vcc_lo
	v_cmp_o_f32_e32 vcc_lo, v8, v8
	s_delay_alu instid0(VALU_DEP_4) | instskip(NEXT) | instid1(VALU_DEP_3)
	v_or_b32_e32 v7, v7, v6
	v_cmp_lt_u64_e64 s2, 0xffff, v[1:2]
	v_cndmask_b32_e32 v8, 0x7fc0, v9, vcc_lo
	v_cmp_le_i64_e32 vcc_lo, s[4:5], v[1:2]
	s_delay_alu instid0(VALU_DEP_2) | instskip(SKIP_2) | instid1(SALU_CYCLE_1)
	v_or3_b32 v6, 0, v8, v5
	v_or3_b32 v5, v7, 0, 0
	s_or_b32 s2, vcc_lo, s2
	s_and_b32 s2, exec_lo, s2
	global_store_b64 v[3:4], v[5:6], off
	v_add_co_u32 v3, vcc_lo, v3, s18
	v_add_co_ci_u32_e32 v4, vcc_lo, 0, v4, vcc_lo
	s_or_b32 s17, s2, s17
	s_delay_alu instid0(SALU_CYCLE_1)
	s_and_not1_b32 exec_lo, exec_lo, s17
	s_cbranch_execz .LBB329_36
.LBB329_4:                              ; =>This Inner Loop Header: Depth=1
	v_add_co_u32 v5, vcc_lo, s3, v1
	v_add_co_ci_u32_e32 v6, vcc_lo, s14, v2, vcc_lo
	s_mov_b32 s2, 0
	s_mov_b32 s20, exec_lo
                                        ; implicit-def: $sgpr19
	global_load_b32 v5, v[5:6], off
	s_waitcnt vmcnt(0)
	v_and_b32_e32 v7, 0xff, v5
	s_delay_alu instid0(VALU_DEP_1)
	v_cmpx_lt_i16_e32 0x7f, v7
	s_xor_b32 s20, exec_lo, s20
	s_cbranch_execnz .LBB329_19
; %bb.5:                                ;   in Loop: Header=BB329_4 Depth=1
	s_or_saveexec_b32 s20, s20
	v_mov_b32_e32 v6, s19
	s_xor_b32 exec_lo, exec_lo, s20
	s_cbranch_execnz .LBB329_22
.LBB329_6:                              ;   in Loop: Header=BB329_4 Depth=1
	s_or_b32 exec_lo, exec_lo, s20
	s_and_saveexec_b32 s19, s2
	s_cbranch_execz .LBB329_8
.LBB329_7:                              ;   in Loop: Header=BB329_4 Depth=1
	v_bfe_u32 v9, v5, 3, 4
	v_lshlrev_b32_e32 v10, 24, v5
	s_delay_alu instid0(VALU_DEP_2) | instskip(SKIP_1) | instid1(VALU_DEP_1)
	v_cmp_eq_u32_e32 vcc_lo, 0, v9
	v_and_b32_e32 v6, 7, v5
	v_clz_i32_u32_e32 v7, v6
	s_delay_alu instid0(VALU_DEP_1) | instskip(NEXT) | instid1(VALU_DEP_1)
	v_min_u32_e32 v7, 32, v7
	v_subrev_nc_u32_e32 v8, 28, v7
	v_sub_nc_u32_e32 v7, 29, v7
	s_delay_alu instid0(VALU_DEP_1) | instskip(NEXT) | instid1(VALU_DEP_1)
	v_dual_cndmask_b32 v7, v9, v7 :: v_dual_lshlrev_b32 v8, v8, v5
	v_and_b32_e32 v8, 7, v8
	s_delay_alu instid0(VALU_DEP_2) | instskip(NEXT) | instid1(VALU_DEP_2)
	v_lshl_add_u32 v7, v7, 23, 0x3b800000
	v_cndmask_b32_e32 v6, v6, v8, vcc_lo
	v_and_b32_e32 v8, 0x80000000, v10
	s_delay_alu instid0(VALU_DEP_2) | instskip(NEXT) | instid1(VALU_DEP_1)
	v_lshlrev_b32_e32 v6, 20, v6
	v_or3_b32 v6, v8, v7, v6
.LBB329_8:                              ;   in Loop: Header=BB329_4 Depth=1
	s_or_b32 exec_lo, exec_lo, s19
	v_lshrrev_b32_e32 v8, 8, v5
	s_mov_b32 s2, 0
	s_mov_b32 s20, exec_lo
                                        ; implicit-def: $sgpr19
	s_delay_alu instid0(VALU_DEP_1) | instskip(NEXT) | instid1(VALU_DEP_1)
	v_and_b32_e32 v9, 0xff, v8
	v_cmpx_lt_i16_e32 0x7f, v9
	s_xor_b32 s20, exec_lo, s20
	s_cbranch_execnz .LBB329_23
; %bb.9:                                ;   in Loop: Header=BB329_4 Depth=1
	s_or_saveexec_b32 s20, s20
	v_mov_b32_e32 v7, s19
	s_xor_b32 exec_lo, exec_lo, s20
	s_cbranch_execnz .LBB329_26
.LBB329_10:                             ;   in Loop: Header=BB329_4 Depth=1
	s_or_b32 exec_lo, exec_lo, s20
	s_and_saveexec_b32 s19, s2
	s_cbranch_execz .LBB329_12
.LBB329_11:                             ;   in Loop: Header=BB329_4 Depth=1
	v_bfe_u32 v7, v5, 8, 3
	v_bfe_u32 v11, v5, 11, 4
	s_delay_alu instid0(VALU_DEP_2) | instskip(NEXT) | instid1(VALU_DEP_2)
	v_clz_i32_u32_e32 v9, v7
	v_cmp_eq_u32_e32 vcc_lo, 0, v11
	s_delay_alu instid0(VALU_DEP_2) | instskip(NEXT) | instid1(VALU_DEP_1)
	v_min_u32_e32 v9, 32, v9
	v_subrev_nc_u32_e32 v10, 28, v9
	v_sub_nc_u32_e32 v9, 29, v9
	s_delay_alu instid0(VALU_DEP_1) | instskip(NEXT) | instid1(VALU_DEP_1)
	v_dual_cndmask_b32 v9, v11, v9 :: v_dual_lshlrev_b32 v10, v10, v8
	v_and_b32_e32 v10, 7, v10
	v_lshlrev_b32_e32 v8, 24, v8
	s_delay_alu instid0(VALU_DEP_3) | instskip(NEXT) | instid1(VALU_DEP_2)
	v_lshl_add_u32 v9, v9, 23, 0x3b800000
	v_dual_cndmask_b32 v7, v7, v10 :: v_dual_and_b32 v8, 0x80000000, v8
	s_delay_alu instid0(VALU_DEP_1) | instskip(NEXT) | instid1(VALU_DEP_1)
	v_lshlrev_b32_e32 v7, 20, v7
	v_or3_b32 v7, v8, v9, v7
.LBB329_12:                             ;   in Loop: Header=BB329_4 Depth=1
	s_or_b32 exec_lo, exec_lo, s19
	v_lshrrev_b32_e32 v9, 16, v5
	s_mov_b32 s2, 0
	s_mov_b32 s20, exec_lo
                                        ; implicit-def: $sgpr19
	s_delay_alu instid0(VALU_DEP_1) | instskip(NEXT) | instid1(VALU_DEP_1)
	v_and_b32_e32 v10, 0xff, v9
	v_cmpx_lt_i16_e32 0x7f, v10
	s_xor_b32 s20, exec_lo, s20
	s_cbranch_execnz .LBB329_27
; %bb.13:                               ;   in Loop: Header=BB329_4 Depth=1
	s_or_saveexec_b32 s20, s20
	v_mov_b32_e32 v8, s19
	s_xor_b32 exec_lo, exec_lo, s20
	s_cbranch_execnz .LBB329_30
.LBB329_14:                             ;   in Loop: Header=BB329_4 Depth=1
	s_or_b32 exec_lo, exec_lo, s20
	s_and_saveexec_b32 s19, s2
	s_cbranch_execz .LBB329_16
.LBB329_15:                             ;   in Loop: Header=BB329_4 Depth=1
	v_bfe_u32 v8, v5, 16, 3
	v_bfe_u32 v12, v5, 19, 4
	s_delay_alu instid0(VALU_DEP_2) | instskip(NEXT) | instid1(VALU_DEP_2)
	v_clz_i32_u32_e32 v10, v8
	v_cmp_eq_u32_e32 vcc_lo, 0, v12
	s_delay_alu instid0(VALU_DEP_2) | instskip(NEXT) | instid1(VALU_DEP_1)
	v_min_u32_e32 v10, 32, v10
	v_subrev_nc_u32_e32 v11, 28, v10
	v_sub_nc_u32_e32 v10, 29, v10
	s_delay_alu instid0(VALU_DEP_1) | instskip(NEXT) | instid1(VALU_DEP_1)
	v_dual_cndmask_b32 v10, v12, v10 :: v_dual_lshlrev_b32 v11, v11, v9
	v_and_b32_e32 v11, 7, v11
	v_lshlrev_b32_e32 v9, 24, v9
	s_delay_alu instid0(VALU_DEP_3) | instskip(NEXT) | instid1(VALU_DEP_2)
	v_lshl_add_u32 v10, v10, 23, 0x3b800000
	v_dual_cndmask_b32 v8, v8, v11 :: v_dual_and_b32 v9, 0x80000000, v9
	s_delay_alu instid0(VALU_DEP_1) | instskip(NEXT) | instid1(VALU_DEP_1)
	v_lshlrev_b32_e32 v8, 20, v8
	v_or3_b32 v8, v9, v10, v8
.LBB329_16:                             ;   in Loop: Header=BB329_4 Depth=1
	s_or_b32 exec_lo, exec_lo, s19
	v_lshrrev_b32_e32 v9, 24, v5
	s_mov_b32 s2, 0
	s_mov_b32 s20, exec_lo
                                        ; implicit-def: $sgpr19
	s_delay_alu instid0(VALU_DEP_1)
	v_cmpx_lt_i16_e32 0x7f, v9
	s_xor_b32 s20, exec_lo, s20
	s_cbranch_execnz .LBB329_31
; %bb.17:                               ;   in Loop: Header=BB329_4 Depth=1
	s_or_saveexec_b32 s20, s20
	v_mov_b32_e32 v10, s19
	s_xor_b32 exec_lo, exec_lo, s20
	s_cbranch_execnz .LBB329_34
.LBB329_18:                             ;   in Loop: Header=BB329_4 Depth=1
	s_or_b32 exec_lo, exec_lo, s20
	s_and_saveexec_b32 s19, s2
	s_cbranch_execz .LBB329_3
	s_branch .LBB329_35
.LBB329_19:                             ;   in Loop: Header=BB329_4 Depth=1
	s_mov_b32 s2, -1
	s_mov_b32 s21, exec_lo
                                        ; implicit-def: $sgpr19
	v_cmpx_eq_u16_e32 0x80, v7
; %bb.20:                               ;   in Loop: Header=BB329_4 Depth=1
	s_mov_b32 s19, 0x7f800001
	s_xor_b32 s2, exec_lo, -1
; %bb.21:                               ;   in Loop: Header=BB329_4 Depth=1
	s_or_b32 exec_lo, exec_lo, s21
	s_delay_alu instid0(SALU_CYCLE_1)
	s_and_b32 s2, s2, exec_lo
                                        ; implicit-def: $vgpr7
	s_or_saveexec_b32 s20, s20
	v_mov_b32_e32 v6, s19
	s_xor_b32 exec_lo, exec_lo, s20
	s_cbranch_execz .LBB329_6
.LBB329_22:                             ;   in Loop: Header=BB329_4 Depth=1
	v_cmp_ne_u16_e32 vcc_lo, 0, v7
	v_mov_b32_e32 v6, 0
	s_and_not1_b32 s2, s2, exec_lo
	s_and_b32 s19, vcc_lo, exec_lo
	s_delay_alu instid0(SALU_CYCLE_1)
	s_or_b32 s2, s2, s19
	s_or_b32 exec_lo, exec_lo, s20
	s_and_saveexec_b32 s19, s2
	s_cbranch_execnz .LBB329_7
	s_branch .LBB329_8
.LBB329_23:                             ;   in Loop: Header=BB329_4 Depth=1
	s_mov_b32 s2, -1
	s_mov_b32 s21, exec_lo
                                        ; implicit-def: $sgpr19
	v_cmpx_eq_u16_e32 0x80, v9
; %bb.24:                               ;   in Loop: Header=BB329_4 Depth=1
	s_mov_b32 s19, 0x7f800001
	s_xor_b32 s2, exec_lo, -1
; %bb.25:                               ;   in Loop: Header=BB329_4 Depth=1
	s_or_b32 exec_lo, exec_lo, s21
	s_delay_alu instid0(SALU_CYCLE_1)
	s_and_b32 s2, s2, exec_lo
                                        ; implicit-def: $vgpr9
	s_or_saveexec_b32 s20, s20
	v_mov_b32_e32 v7, s19
	s_xor_b32 exec_lo, exec_lo, s20
	s_cbranch_execz .LBB329_10
.LBB329_26:                             ;   in Loop: Header=BB329_4 Depth=1
	v_cmp_ne_u16_e32 vcc_lo, 0, v9
	v_mov_b32_e32 v7, 0
	s_and_not1_b32 s2, s2, exec_lo
	s_and_b32 s19, vcc_lo, exec_lo
	s_delay_alu instid0(SALU_CYCLE_1)
	s_or_b32 s2, s2, s19
	s_or_b32 exec_lo, exec_lo, s20
	s_and_saveexec_b32 s19, s2
	s_cbranch_execnz .LBB329_11
	s_branch .LBB329_12
.LBB329_27:                             ;   in Loop: Header=BB329_4 Depth=1
	s_mov_b32 s2, -1
	s_mov_b32 s21, exec_lo
                                        ; implicit-def: $sgpr19
	v_cmpx_eq_u16_e32 0x80, v10
; %bb.28:                               ;   in Loop: Header=BB329_4 Depth=1
	s_mov_b32 s19, 0x7f800001
	s_xor_b32 s2, exec_lo, -1
; %bb.29:                               ;   in Loop: Header=BB329_4 Depth=1
	s_or_b32 exec_lo, exec_lo, s21
	s_delay_alu instid0(SALU_CYCLE_1)
	s_and_b32 s2, s2, exec_lo
                                        ; implicit-def: $vgpr10
	s_or_saveexec_b32 s20, s20
	v_mov_b32_e32 v8, s19
	s_xor_b32 exec_lo, exec_lo, s20
	s_cbranch_execz .LBB329_14
.LBB329_30:                             ;   in Loop: Header=BB329_4 Depth=1
	v_cmp_ne_u16_e32 vcc_lo, 0, v10
	v_mov_b32_e32 v8, 0
	s_and_not1_b32 s2, s2, exec_lo
	s_and_b32 s19, vcc_lo, exec_lo
	s_delay_alu instid0(SALU_CYCLE_1)
	s_or_b32 s2, s2, s19
	s_or_b32 exec_lo, exec_lo, s20
	s_and_saveexec_b32 s19, s2
	s_cbranch_execnz .LBB329_15
	s_branch .LBB329_16
.LBB329_31:                             ;   in Loop: Header=BB329_4 Depth=1
	s_mov_b32 s2, -1
	s_mov_b32 s21, exec_lo
                                        ; implicit-def: $sgpr19
	v_cmpx_eq_u16_e32 0x80, v9
; %bb.32:                               ;   in Loop: Header=BB329_4 Depth=1
	s_mov_b32 s19, 0x7f800001
	s_xor_b32 s2, exec_lo, -1
; %bb.33:                               ;   in Loop: Header=BB329_4 Depth=1
	s_or_b32 exec_lo, exec_lo, s21
	s_delay_alu instid0(SALU_CYCLE_1)
	s_and_b32 s2, s2, exec_lo
	s_or_saveexec_b32 s20, s20
	v_mov_b32_e32 v10, s19
	s_xor_b32 exec_lo, exec_lo, s20
	s_cbranch_execz .LBB329_18
.LBB329_34:                             ;   in Loop: Header=BB329_4 Depth=1
	v_cmp_ne_u16_e32 vcc_lo, 0, v9
	v_mov_b32_e32 v10, 0
	s_and_not1_b32 s2, s2, exec_lo
	s_and_b32 s19, vcc_lo, exec_lo
	s_delay_alu instid0(SALU_CYCLE_1)
	s_or_b32 s2, s2, s19
	s_or_b32 exec_lo, exec_lo, s20
	s_and_saveexec_b32 s19, s2
	s_cbranch_execz .LBB329_3
.LBB329_35:                             ;   in Loop: Header=BB329_4 Depth=1
	v_bfe_u32 v10, v5, 24, 3
	s_delay_alu instid0(VALU_DEP_1) | instskip(NEXT) | instid1(VALU_DEP_1)
	v_clz_i32_u32_e32 v11, v10
	v_min_u32_e32 v11, 32, v11
	s_delay_alu instid0(VALU_DEP_1) | instskip(SKIP_1) | instid1(VALU_DEP_2)
	v_subrev_nc_u32_e32 v12, 28, v11
	v_sub_nc_u32_e32 v11, 29, v11
	v_lshlrev_b32_e32 v9, v12, v9
	v_bfe_u32 v12, v5, 27, 4
	v_and_b32_e32 v5, 0x80000000, v5
	s_delay_alu instid0(VALU_DEP_3) | instskip(NEXT) | instid1(VALU_DEP_3)
	v_and_b32_e32 v9, 7, v9
	v_cmp_eq_u32_e32 vcc_lo, 0, v12
	v_cndmask_b32_e32 v11, v12, v11, vcc_lo
	s_delay_alu instid0(VALU_DEP_3) | instskip(NEXT) | instid1(VALU_DEP_2)
	v_cndmask_b32_e32 v9, v10, v9, vcc_lo
	v_lshl_add_u32 v10, v11, 23, 0x3b800000
	s_delay_alu instid0(VALU_DEP_2) | instskip(NEXT) | instid1(VALU_DEP_1)
	v_lshlrev_b32_e32 v9, 20, v9
	v_or3_b32 v10, v5, v10, v9
	s_branch .LBB329_3
.LBB329_36:
	s_or_b32 exec_lo, exec_lo, s15
	s_mov_b32 s2, 0
.LBB329_37:
	s_delay_alu instid0(SALU_CYCLE_1)
	s_and_not1_b32 vcc_lo, exec_lo, s2
	s_cbranch_vccnz .LBB329_89
; %bb.38:
	v_cmp_lt_i64_e64 s2, s[4:5], 1
	s_delay_alu instid0(VALU_DEP_1)
	s_and_b32 vcc_lo, exec_lo, s2
	s_cbranch_vccnz .LBB329_89
; %bb.39:
	s_load_b32 s0, s[0:1], 0xc5c
	v_cmp_gt_u64_e64 s1, 0x10000, s[4:5]
	v_add_co_u32 v3, s2, s8, v0
	v_lshlrev_b32_e32 v1, 1, v0
	v_add_co_ci_u32_e64 v4, null, s9, 0, s2
	s_delay_alu instid0(VALU_DEP_3) | instskip(NEXT) | instid1(VALU_DEP_2)
	v_add_co_u32 v13, vcc_lo, s6, v3
                                        ; implicit-def: $vgpr27
                                        ; implicit-def: $vgpr28
                                        ; implicit-def: $vgpr29
                                        ; implicit-def: $vgpr30
	v_add_co_ci_u32_e32 v14, vcc_lo, s7, v4, vcc_lo
	s_waitcnt lgkmcnt(0)
	s_and_b32 s0, s0, 0xffff
	s_and_b32 s1, s1, exec_lo
	s_cselect_b32 s3, s5, 0
	s_cselect_b32 s2, s4, 0x10000
	s_lshl_b64 s[10:11], s[10:11], 17
	s_lshl_b32 s14, s0, 1
	s_lshl_b32 s1, s0, 2
	s_add_u32 s12, s12, s10
	s_mul_i32 s15, s0, 3
	s_addc_u32 s11, s13, s11
	s_lshl_b32 s10, s0, 3
	v_add_co_u32 v1, s16, s12, v1
	s_add_u32 s13, s8, s15
	v_add_co_ci_u32_e64 v2, null, s11, 0, s16
	s_addc_u32 s16, s9, 0
	s_add_u32 s13, s6, s13
	s_addc_u32 s16, s7, s16
	s_add_u32 s8, s8, s14
	;; [unrolled: 2-line block ×3, first 2 shown]
	s_addc_u32 s9, s7, s9
	v_add_co_u32 v19, s8, s8, v0
	s_delay_alu instid0(VALU_DEP_1) | instskip(SKIP_1) | instid1(VALU_DEP_1)
	v_add_co_ci_u32_e64 v20, null, s9, 0, s8
	v_add_co_u32 v21, s8, s14, v0
	v_add_co_ci_u32_e64 v22, null, 0, 0, s8
	v_add_co_u32 v23, s8, v0, s0
	v_add_co_u32 v15, s13, s13, v0
	s_add_u32 s6, s6, s0
	s_delay_alu instid0(VALU_DEP_2)
	v_lshlrev_b32_e32 v5, 1, v23
	v_add_co_ci_u32_e64 v16, null, s16, 0, s13
	v_add_co_u32 v17, s13, s15, v0
	s_addc_u32 s7, s7, 0
	v_add_co_u32 v25, vcc_lo, s6, v3
	v_add_co_u32 v3, s6, s12, v5
	v_add_co_ci_u32_e64 v18, null, 0, 0, s13
	v_add_co_ci_u32_e64 v24, null, 0, 0, s8
	v_add_co_ci_u32_e32 v26, vcc_lo, s7, v4, vcc_lo
	v_add_co_ci_u32_e64 v4, null, s11, 0, s6
	s_mul_i32 s8, s0, 6
	s_mov_b64 s[6:7], 0
	s_branch .LBB329_41
.LBB329_40:                             ;   in Loop: Header=BB329_41 Depth=1
	s_or_b32 exec_lo, exec_lo, s0
	s_add_u32 s6, s6, s1
	s_addc_u32 s7, s7, 0
	v_add_co_u32 v1, vcc_lo, v1, s10
	v_cmp_ge_i64_e64 s0, s[6:7], s[4:5]
	v_cmp_lt_u64_e64 s9, 0xffff, s[6:7]
	v_add_co_ci_u32_e32 v2, vcc_lo, 0, v2, vcc_lo
	v_add_co_u32 v3, vcc_lo, v3, s10
	v_add_co_ci_u32_e32 v4, vcc_lo, 0, v4, vcc_lo
	s_delay_alu instid0(VALU_DEP_4) | instskip(NEXT) | instid1(SALU_CYCLE_1)
	s_or_b32 s0, s0, s9
	s_and_b32 vcc_lo, exec_lo, s0
	s_cbranch_vccnz .LBB329_89
.LBB329_41:                             ; =>This Inner Loop Header: Depth=1
	v_add_co_u32 v5, s0, v0, s6
	s_delay_alu instid0(VALU_DEP_1) | instskip(NEXT) | instid1(VALU_DEP_1)
	v_add_co_ci_u32_e64 v6, null, 0, s7, s0
	v_cmp_gt_i64_e32 vcc_lo, s[4:5], v[5:6]
	v_cmp_gt_u64_e64 s0, 0x10000, v[5:6]
	s_delay_alu instid0(VALU_DEP_1) | instskip(NEXT) | instid1(SALU_CYCLE_1)
	s_and_b32 s9, vcc_lo, s0
	s_and_saveexec_b32 s0, s9
	s_cbranch_execz .LBB329_43
; %bb.42:                               ;   in Loop: Header=BB329_41 Depth=1
	v_add_co_u32 v7, vcc_lo, v13, s6
	v_add_co_ci_u32_e32 v8, vcc_lo, s7, v14, vcc_lo
	global_load_u8 v30, v[7:8], off
.LBB329_43:                             ;   in Loop: Header=BB329_41 Depth=1
	s_or_b32 exec_lo, exec_lo, s0
	v_add_co_u32 v7, vcc_lo, v23, s6
	v_add_co_ci_u32_e32 v8, vcc_lo, s7, v24, vcc_lo
	s_delay_alu instid0(VALU_DEP_1) | instskip(SKIP_1) | instid1(VALU_DEP_1)
	v_cmp_gt_i64_e32 vcc_lo, s[4:5], v[7:8]
	v_cmp_gt_u64_e64 s0, 0x10000, v[7:8]
	s_and_b32 s9, vcc_lo, s0
	s_delay_alu instid0(SALU_CYCLE_1)
	s_and_saveexec_b32 s0, s9
	s_cbranch_execz .LBB329_45
; %bb.44:                               ;   in Loop: Header=BB329_41 Depth=1
	v_add_co_u32 v9, vcc_lo, v25, s6
	v_add_co_ci_u32_e32 v10, vcc_lo, s7, v26, vcc_lo
	global_load_u8 v29, v[9:10], off
.LBB329_45:                             ;   in Loop: Header=BB329_41 Depth=1
	s_or_b32 exec_lo, exec_lo, s0
	v_add_co_u32 v9, vcc_lo, v21, s6
	v_add_co_ci_u32_e32 v10, vcc_lo, s7, v22, vcc_lo
	s_delay_alu instid0(VALU_DEP_1) | instskip(SKIP_1) | instid1(VALU_DEP_1)
	v_cmp_gt_i64_e32 vcc_lo, s[4:5], v[9:10]
	v_cmp_gt_u64_e64 s0, 0x10000, v[9:10]
	s_and_b32 s9, vcc_lo, s0
	s_delay_alu instid0(SALU_CYCLE_1)
	;; [unrolled: 15-line block ×3, first 2 shown]
	s_and_saveexec_b32 s0, s9
	s_cbranch_execz .LBB329_49
; %bb.48:                               ;   in Loop: Header=BB329_41 Depth=1
	v_add_co_u32 v31, vcc_lo, v15, s6
	v_add_co_ci_u32_e32 v32, vcc_lo, s7, v16, vcc_lo
	global_load_u8 v27, v[31:32], off
.LBB329_49:                             ;   in Loop: Header=BB329_41 Depth=1
	s_or_b32 exec_lo, exec_lo, s0
	s_waitcnt vmcnt(0)
	v_and_b32_e32 v32, 0xff, v30
	s_mov_b32 s0, 0
	s_mov_b32 s11, exec_lo
                                        ; implicit-def: $sgpr9
	s_delay_alu instid0(VALU_DEP_1)
	v_cmpx_lt_i16_e32 0x7f, v32
	s_xor_b32 s11, exec_lo, s11
	s_cbranch_execnz .LBB329_69
; %bb.50:                               ;   in Loop: Header=BB329_41 Depth=1
	s_or_saveexec_b32 s11, s11
	v_mov_b32_e32 v31, s9
	s_xor_b32 exec_lo, exec_lo, s11
	s_cbranch_execnz .LBB329_72
.LBB329_51:                             ;   in Loop: Header=BB329_41 Depth=1
	s_or_b32 exec_lo, exec_lo, s11
	s_and_saveexec_b32 s9, s0
	s_cbranch_execz .LBB329_53
.LBB329_52:                             ;   in Loop: Header=BB329_41 Depth=1
	v_lshrrev_b16 v34, 3, v30
	v_lshlrev_b32_e32 v35, 24, v30
	s_delay_alu instid0(VALU_DEP_2) | instskip(NEXT) | instid1(VALU_DEP_1)
	v_and_b32_e32 v34, 15, v34
	v_cmp_eq_u32_e32 vcc_lo, 0, v34
	v_and_b32_e32 v31, 7, v30
	s_delay_alu instid0(VALU_DEP_1) | instskip(NEXT) | instid1(VALU_DEP_1)
	v_clz_i32_u32_e32 v32, v31
	v_min_u32_e32 v32, 32, v32
	s_delay_alu instid0(VALU_DEP_1) | instskip(SKIP_1) | instid1(VALU_DEP_1)
	v_subrev_nc_u32_e32 v33, 28, v32
	v_sub_nc_u32_e32 v32, 29, v32
	v_dual_cndmask_b32 v32, v34, v32 :: v_dual_lshlrev_b32 v33, v33, v30
	s_delay_alu instid0(VALU_DEP_1) | instskip(NEXT) | instid1(VALU_DEP_2)
	v_and_b32_e32 v33, 7, v33
	v_lshl_add_u32 v32, v32, 23, 0x3b800000
	s_delay_alu instid0(VALU_DEP_2) | instskip(SKIP_1) | instid1(VALU_DEP_2)
	v_cndmask_b32_e32 v31, v31, v33, vcc_lo
	v_and_b32_e32 v33, 0x80000000, v35
	v_lshlrev_b32_e32 v31, 20, v31
	s_delay_alu instid0(VALU_DEP_1)
	v_or3_b32 v31, v33, v32, v31
.LBB329_53:                             ;   in Loop: Header=BB329_41 Depth=1
	s_or_b32 exec_lo, exec_lo, s9
	v_and_b32_e32 v33, 0xff, v29
	s_mov_b32 s0, 0
	s_mov_b32 s11, exec_lo
                                        ; implicit-def: $sgpr9
	s_delay_alu instid0(VALU_DEP_1)
	v_cmpx_lt_i16_e32 0x7f, v33
	s_xor_b32 s11, exec_lo, s11
	s_cbranch_execnz .LBB329_73
; %bb.54:                               ;   in Loop: Header=BB329_41 Depth=1
	s_or_saveexec_b32 s11, s11
	v_mov_b32_e32 v32, s9
	s_xor_b32 exec_lo, exec_lo, s11
	s_cbranch_execnz .LBB329_76
.LBB329_55:                             ;   in Loop: Header=BB329_41 Depth=1
	s_or_b32 exec_lo, exec_lo, s11
	s_and_saveexec_b32 s9, s0
	s_cbranch_execz .LBB329_57
.LBB329_56:                             ;   in Loop: Header=BB329_41 Depth=1
	v_and_b32_e32 v32, 7, v29
	v_lshrrev_b16 v35, 3, v29
	v_lshlrev_b32_e32 v36, 24, v29
	s_delay_alu instid0(VALU_DEP_3) | instskip(NEXT) | instid1(VALU_DEP_1)
	v_clz_i32_u32_e32 v33, v32
	v_min_u32_e32 v33, 32, v33
	s_delay_alu instid0(VALU_DEP_1) | instskip(SKIP_1) | instid1(VALU_DEP_2)
	v_subrev_nc_u32_e32 v34, 28, v33
	v_sub_nc_u32_e32 v33, 29, v33
	v_lshlrev_b32_e32 v34, v34, v29
	s_delay_alu instid0(VALU_DEP_1) | instskip(SKIP_1) | instid1(VALU_DEP_1)
	v_and_b32_e32 v34, 7, v34
	v_and_b32_e32 v35, 15, v35
	v_cmp_eq_u32_e32 vcc_lo, 0, v35
	s_delay_alu instid0(VALU_DEP_3) | instskip(SKIP_1) | instid1(VALU_DEP_2)
	v_dual_cndmask_b32 v32, v32, v34 :: v_dual_cndmask_b32 v33, v35, v33
	v_and_b32_e32 v34, 0x80000000, v36
	v_lshlrev_b32_e32 v32, 20, v32
	s_delay_alu instid0(VALU_DEP_3) | instskip(NEXT) | instid1(VALU_DEP_1)
	v_lshl_add_u32 v33, v33, 23, 0x3b800000
	v_or3_b32 v32, v34, v33, v32
.LBB329_57:                             ;   in Loop: Header=BB329_41 Depth=1
	s_or_b32 exec_lo, exec_lo, s9
	v_and_b32_e32 v34, 0xff, v28
	s_mov_b32 s0, 0
	s_mov_b32 s11, exec_lo
                                        ; implicit-def: $sgpr9
	s_delay_alu instid0(VALU_DEP_1)
	v_cmpx_lt_i16_e32 0x7f, v34
	s_xor_b32 s11, exec_lo, s11
	s_cbranch_execnz .LBB329_77
; %bb.58:                               ;   in Loop: Header=BB329_41 Depth=1
	s_or_saveexec_b32 s11, s11
	v_mov_b32_e32 v33, s9
	s_xor_b32 exec_lo, exec_lo, s11
	s_cbranch_execnz .LBB329_80
.LBB329_59:                             ;   in Loop: Header=BB329_41 Depth=1
	s_or_b32 exec_lo, exec_lo, s11
	s_and_saveexec_b32 s9, s0
	s_cbranch_execz .LBB329_61
.LBB329_60:                             ;   in Loop: Header=BB329_41 Depth=1
	v_lshrrev_b16 v36, 3, v28
	v_lshlrev_b32_e32 v37, 24, v28
	s_delay_alu instid0(VALU_DEP_2) | instskip(NEXT) | instid1(VALU_DEP_1)
	v_and_b32_e32 v36, 15, v36
	v_cmp_eq_u32_e32 vcc_lo, 0, v36
	v_and_b32_e32 v33, 7, v28
	s_delay_alu instid0(VALU_DEP_1) | instskip(NEXT) | instid1(VALU_DEP_1)
	v_clz_i32_u32_e32 v34, v33
	v_min_u32_e32 v34, 32, v34
	s_delay_alu instid0(VALU_DEP_1) | instskip(SKIP_1) | instid1(VALU_DEP_1)
	v_subrev_nc_u32_e32 v35, 28, v34
	v_sub_nc_u32_e32 v34, 29, v34
	v_dual_cndmask_b32 v34, v36, v34 :: v_dual_lshlrev_b32 v35, v35, v28
	s_delay_alu instid0(VALU_DEP_1) | instskip(NEXT) | instid1(VALU_DEP_2)
	v_and_b32_e32 v35, 7, v35
	v_lshl_add_u32 v34, v34, 23, 0x3b800000
	s_delay_alu instid0(VALU_DEP_2) | instskip(SKIP_1) | instid1(VALU_DEP_2)
	v_cndmask_b32_e32 v33, v33, v35, vcc_lo
	v_and_b32_e32 v35, 0x80000000, v37
	v_lshlrev_b32_e32 v33, 20, v33
	s_delay_alu instid0(VALU_DEP_1)
	v_or3_b32 v33, v35, v34, v33
.LBB329_61:                             ;   in Loop: Header=BB329_41 Depth=1
	s_or_b32 exec_lo, exec_lo, s9
	v_and_b32_e32 v35, 0xff, v27
	s_mov_b32 s0, 0
	s_mov_b32 s11, exec_lo
                                        ; implicit-def: $sgpr9
	s_delay_alu instid0(VALU_DEP_1)
	v_cmpx_lt_i16_e32 0x7f, v35
	s_xor_b32 s11, exec_lo, s11
	s_cbranch_execnz .LBB329_81
; %bb.62:                               ;   in Loop: Header=BB329_41 Depth=1
	s_or_saveexec_b32 s11, s11
	v_mov_b32_e32 v34, s9
	s_xor_b32 exec_lo, exec_lo, s11
	s_cbranch_execnz .LBB329_84
.LBB329_63:                             ;   in Loop: Header=BB329_41 Depth=1
	s_or_b32 exec_lo, exec_lo, s11
	s_and_saveexec_b32 s9, s0
	s_cbranch_execz .LBB329_65
.LBB329_64:                             ;   in Loop: Header=BB329_41 Depth=1
	v_and_b32_e32 v34, 7, v27
	v_lshrrev_b16 v37, 3, v27
	v_lshlrev_b32_e32 v38, 24, v27
	s_delay_alu instid0(VALU_DEP_3) | instskip(NEXT) | instid1(VALU_DEP_1)
	v_clz_i32_u32_e32 v35, v34
	v_min_u32_e32 v35, 32, v35
	s_delay_alu instid0(VALU_DEP_1) | instskip(SKIP_1) | instid1(VALU_DEP_2)
	v_subrev_nc_u32_e32 v36, 28, v35
	v_sub_nc_u32_e32 v35, 29, v35
	v_lshlrev_b32_e32 v36, v36, v27
	s_delay_alu instid0(VALU_DEP_1) | instskip(SKIP_1) | instid1(VALU_DEP_1)
	v_and_b32_e32 v36, 7, v36
	v_and_b32_e32 v37, 15, v37
	v_cmp_eq_u32_e32 vcc_lo, 0, v37
	s_delay_alu instid0(VALU_DEP_3) | instskip(SKIP_1) | instid1(VALU_DEP_2)
	v_dual_cndmask_b32 v34, v34, v36 :: v_dual_cndmask_b32 v35, v37, v35
	v_and_b32_e32 v36, 0x80000000, v38
	v_lshlrev_b32_e32 v34, 20, v34
	s_delay_alu instid0(VALU_DEP_3) | instskip(NEXT) | instid1(VALU_DEP_1)
	v_lshl_add_u32 v35, v35, 23, 0x3b800000
	v_or3_b32 v34, v36, v35, v34
.LBB329_65:                             ;   in Loop: Header=BB329_41 Depth=1
	s_or_b32 exec_lo, exec_lo, s9
	s_delay_alu instid0(SALU_CYCLE_1)
	s_mov_b32 s0, exec_lo
	v_cmpx_gt_u64_e64 s[2:3], v[5:6]
	s_xor_b32 s0, exec_lo, s0
	s_cbranch_execnz .LBB329_85
; %bb.66:                               ;   in Loop: Header=BB329_41 Depth=1
	s_or_b32 exec_lo, exec_lo, s0
	s_delay_alu instid0(SALU_CYCLE_1)
	s_mov_b32 s0, exec_lo
	v_cmpx_gt_u64_e64 s[2:3], v[7:8]
	s_cbranch_execnz .LBB329_86
.LBB329_67:                             ;   in Loop: Header=BB329_41 Depth=1
	s_or_b32 exec_lo, exec_lo, s0
	s_delay_alu instid0(SALU_CYCLE_1)
	s_mov_b32 s0, exec_lo
	v_cmpx_gt_u64_e64 s[2:3], v[9:10]
	s_cbranch_execnz .LBB329_87
.LBB329_68:                             ;   in Loop: Header=BB329_41 Depth=1
	s_or_b32 exec_lo, exec_lo, s0
	s_delay_alu instid0(SALU_CYCLE_1)
	s_mov_b32 s0, exec_lo
	v_cmpx_gt_u64_e64 s[2:3], v[11:12]
	s_cbranch_execz .LBB329_40
	s_branch .LBB329_88
.LBB329_69:                             ;   in Loop: Header=BB329_41 Depth=1
	s_mov_b32 s0, -1
	s_mov_b32 s12, exec_lo
                                        ; implicit-def: $sgpr9
	v_cmpx_eq_u16_e32 0x80, v32
; %bb.70:                               ;   in Loop: Header=BB329_41 Depth=1
	s_mov_b32 s9, 0x7f800001
	s_xor_b32 s0, exec_lo, -1
; %bb.71:                               ;   in Loop: Header=BB329_41 Depth=1
	s_or_b32 exec_lo, exec_lo, s12
	s_delay_alu instid0(SALU_CYCLE_1)
	s_and_b32 s0, s0, exec_lo
                                        ; implicit-def: $vgpr32
	s_or_saveexec_b32 s11, s11
	v_mov_b32_e32 v31, s9
	s_xor_b32 exec_lo, exec_lo, s11
	s_cbranch_execz .LBB329_51
.LBB329_72:                             ;   in Loop: Header=BB329_41 Depth=1
	v_cmp_ne_u16_e32 vcc_lo, 0, v32
	v_mov_b32_e32 v31, 0
	s_and_not1_b32 s0, s0, exec_lo
	s_and_b32 s9, vcc_lo, exec_lo
	s_delay_alu instid0(SALU_CYCLE_1)
	s_or_b32 s0, s0, s9
	s_or_b32 exec_lo, exec_lo, s11
	s_and_saveexec_b32 s9, s0
	s_cbranch_execnz .LBB329_52
	s_branch .LBB329_53
.LBB329_73:                             ;   in Loop: Header=BB329_41 Depth=1
	s_mov_b32 s0, -1
	s_mov_b32 s12, exec_lo
                                        ; implicit-def: $sgpr9
	v_cmpx_eq_u16_e32 0x80, v33
; %bb.74:                               ;   in Loop: Header=BB329_41 Depth=1
	s_mov_b32 s9, 0x7f800001
	s_xor_b32 s0, exec_lo, -1
; %bb.75:                               ;   in Loop: Header=BB329_41 Depth=1
	s_or_b32 exec_lo, exec_lo, s12
	s_delay_alu instid0(SALU_CYCLE_1)
	s_and_b32 s0, s0, exec_lo
                                        ; implicit-def: $vgpr33
	s_or_saveexec_b32 s11, s11
	v_mov_b32_e32 v32, s9
	s_xor_b32 exec_lo, exec_lo, s11
	s_cbranch_execz .LBB329_55
.LBB329_76:                             ;   in Loop: Header=BB329_41 Depth=1
	v_cmp_ne_u16_e32 vcc_lo, 0, v33
	v_mov_b32_e32 v32, 0
	s_and_not1_b32 s0, s0, exec_lo
	s_and_b32 s9, vcc_lo, exec_lo
	s_delay_alu instid0(SALU_CYCLE_1)
	s_or_b32 s0, s0, s9
	s_or_b32 exec_lo, exec_lo, s11
	s_and_saveexec_b32 s9, s0
	s_cbranch_execnz .LBB329_56
	s_branch .LBB329_57
.LBB329_77:                             ;   in Loop: Header=BB329_41 Depth=1
	s_mov_b32 s0, -1
	s_mov_b32 s12, exec_lo
                                        ; implicit-def: $sgpr9
	v_cmpx_eq_u16_e32 0x80, v34
; %bb.78:                               ;   in Loop: Header=BB329_41 Depth=1
	s_mov_b32 s9, 0x7f800001
	s_xor_b32 s0, exec_lo, -1
; %bb.79:                               ;   in Loop: Header=BB329_41 Depth=1
	s_or_b32 exec_lo, exec_lo, s12
	s_delay_alu instid0(SALU_CYCLE_1)
	s_and_b32 s0, s0, exec_lo
                                        ; implicit-def: $vgpr34
	s_or_saveexec_b32 s11, s11
	v_mov_b32_e32 v33, s9
	s_xor_b32 exec_lo, exec_lo, s11
	s_cbranch_execz .LBB329_59
.LBB329_80:                             ;   in Loop: Header=BB329_41 Depth=1
	v_cmp_ne_u16_e32 vcc_lo, 0, v34
	v_mov_b32_e32 v33, 0
	s_and_not1_b32 s0, s0, exec_lo
	s_and_b32 s9, vcc_lo, exec_lo
	s_delay_alu instid0(SALU_CYCLE_1)
	s_or_b32 s0, s0, s9
	s_or_b32 exec_lo, exec_lo, s11
	s_and_saveexec_b32 s9, s0
	s_cbranch_execnz .LBB329_60
	s_branch .LBB329_61
.LBB329_81:                             ;   in Loop: Header=BB329_41 Depth=1
	s_mov_b32 s0, -1
	s_mov_b32 s12, exec_lo
                                        ; implicit-def: $sgpr9
	v_cmpx_eq_u16_e32 0x80, v35
; %bb.82:                               ;   in Loop: Header=BB329_41 Depth=1
	s_mov_b32 s9, 0x7f800001
	s_xor_b32 s0, exec_lo, -1
; %bb.83:                               ;   in Loop: Header=BB329_41 Depth=1
	s_or_b32 exec_lo, exec_lo, s12
	s_delay_alu instid0(SALU_CYCLE_1)
	s_and_b32 s0, s0, exec_lo
                                        ; implicit-def: $vgpr35
	s_or_saveexec_b32 s11, s11
	v_mov_b32_e32 v34, s9
	s_xor_b32 exec_lo, exec_lo, s11
	s_cbranch_execz .LBB329_63
.LBB329_84:                             ;   in Loop: Header=BB329_41 Depth=1
	v_cmp_ne_u16_e32 vcc_lo, 0, v35
	v_mov_b32_e32 v34, 0
	s_and_not1_b32 s0, s0, exec_lo
	s_and_b32 s9, vcc_lo, exec_lo
	s_delay_alu instid0(SALU_CYCLE_1)
	s_or_b32 s0, s0, s9
	s_or_b32 exec_lo, exec_lo, s11
	s_and_saveexec_b32 s9, s0
	s_cbranch_execnz .LBB329_64
	s_branch .LBB329_65
.LBB329_85:                             ;   in Loop: Header=BB329_41 Depth=1
	v_bfe_u32 v5, v31, 16, 1
	v_cmp_o_f32_e32 vcc_lo, v31, v31
	s_delay_alu instid0(VALU_DEP_2) | instskip(NEXT) | instid1(VALU_DEP_1)
	v_add3_u32 v5, v31, v5, 0x7fff
	v_lshrrev_b32_e32 v5, 16, v5
	s_delay_alu instid0(VALU_DEP_1) | instskip(SKIP_2) | instid1(SALU_CYCLE_1)
	v_cndmask_b32_e32 v5, 0x7fc0, v5, vcc_lo
	global_store_b16 v[1:2], v5, off
	s_or_b32 exec_lo, exec_lo, s0
	s_mov_b32 s0, exec_lo
	v_cmpx_gt_u64_e64 s[2:3], v[7:8]
	s_cbranch_execz .LBB329_67
.LBB329_86:                             ;   in Loop: Header=BB329_41 Depth=1
	v_bfe_u32 v5, v32, 16, 1
	v_cmp_o_f32_e32 vcc_lo, v32, v32
	s_delay_alu instid0(VALU_DEP_2) | instskip(NEXT) | instid1(VALU_DEP_1)
	v_add3_u32 v5, v32, v5, 0x7fff
	v_lshrrev_b32_e32 v5, 16, v5
	s_delay_alu instid0(VALU_DEP_1) | instskip(SKIP_2) | instid1(SALU_CYCLE_1)
	v_cndmask_b32_e32 v5, 0x7fc0, v5, vcc_lo
	global_store_b16 v[3:4], v5, off
	s_or_b32 exec_lo, exec_lo, s0
	s_mov_b32 s0, exec_lo
	v_cmpx_gt_u64_e64 s[2:3], v[9:10]
	s_cbranch_execz .LBB329_68
.LBB329_87:                             ;   in Loop: Header=BB329_41 Depth=1
	v_bfe_u32 v5, v33, 16, 1
	v_cmp_o_f32_e32 vcc_lo, v33, v33
	s_delay_alu instid0(VALU_DEP_2) | instskip(NEXT) | instid1(VALU_DEP_1)
	v_add3_u32 v5, v33, v5, 0x7fff
	v_lshrrev_b32_e32 v5, 16, v5
	s_delay_alu instid0(VALU_DEP_1) | instskip(SKIP_4) | instid1(SALU_CYCLE_1)
	v_cndmask_b32_e32 v7, 0x7fc0, v5, vcc_lo
	v_add_co_u32 v5, vcc_lo, v1, s1
	v_add_co_ci_u32_e32 v6, vcc_lo, 0, v2, vcc_lo
	global_store_b16 v[5:6], v7, off
	s_or_b32 exec_lo, exec_lo, s0
	s_mov_b32 s0, exec_lo
	v_cmpx_gt_u64_e64 s[2:3], v[11:12]
	s_cbranch_execz .LBB329_40
.LBB329_88:                             ;   in Loop: Header=BB329_41 Depth=1
	v_bfe_u32 v5, v34, 16, 1
	v_cmp_o_f32_e32 vcc_lo, v34, v34
	s_delay_alu instid0(VALU_DEP_2) | instskip(NEXT) | instid1(VALU_DEP_1)
	v_add3_u32 v5, v34, v5, 0x7fff
	v_lshrrev_b32_e32 v5, 16, v5
	s_delay_alu instid0(VALU_DEP_1)
	v_cndmask_b32_e32 v7, 0x7fc0, v5, vcc_lo
	v_add_co_u32 v5, vcc_lo, v1, s8
	v_add_co_ci_u32_e32 v6, vcc_lo, 0, v2, vcc_lo
	global_store_b16 v[5:6], v7, off
	s_branch .LBB329_40
.LBB329_89:
	s_nop 0
	s_sendmsg sendmsg(MSG_DEALLOC_VGPRS)
	s_endpgm
	.section	.rodata,"a",@progbits
	.p2align	6, 0x0
	.amdhsa_kernel _ZN2at6native12_GLOBAL__N_125multi_tensor_apply_kernelINS1_18TensorListMetadataILi2EEENS1_11CopyFunctorIN3c108BFloat16ENS6_15Float8_e4m3fnuzELi2ELi1ELi1EEEJNS0_4CopyIS7_S8_EEEEEvT_T0_DpT1_
		.amdhsa_group_segment_fixed_size 0
		.amdhsa_private_segment_fixed_size 0
		.amdhsa_kernarg_size 3408
		.amdhsa_user_sgpr_count 15
		.amdhsa_user_sgpr_dispatch_ptr 0
		.amdhsa_user_sgpr_queue_ptr 0
		.amdhsa_user_sgpr_kernarg_segment_ptr 1
		.amdhsa_user_sgpr_dispatch_id 0
		.amdhsa_user_sgpr_private_segment_size 0
		.amdhsa_wavefront_size32 1
		.amdhsa_uses_dynamic_stack 0
		.amdhsa_enable_private_segment 0
		.amdhsa_system_sgpr_workgroup_id_x 1
		.amdhsa_system_sgpr_workgroup_id_y 0
		.amdhsa_system_sgpr_workgroup_id_z 0
		.amdhsa_system_sgpr_workgroup_info 0
		.amdhsa_system_vgpr_workitem_id 0
		.amdhsa_next_free_vgpr 39
		.amdhsa_next_free_sgpr 22
		.amdhsa_reserve_vcc 1
		.amdhsa_float_round_mode_32 0
		.amdhsa_float_round_mode_16_64 0
		.amdhsa_float_denorm_mode_32 3
		.amdhsa_float_denorm_mode_16_64 3
		.amdhsa_dx10_clamp 1
		.amdhsa_ieee_mode 1
		.amdhsa_fp16_overflow 0
		.amdhsa_workgroup_processor_mode 1
		.amdhsa_memory_ordered 1
		.amdhsa_forward_progress 0
		.amdhsa_shared_vgpr_count 0
		.amdhsa_exception_fp_ieee_invalid_op 0
		.amdhsa_exception_fp_denorm_src 0
		.amdhsa_exception_fp_ieee_div_zero 0
		.amdhsa_exception_fp_ieee_overflow 0
		.amdhsa_exception_fp_ieee_underflow 0
		.amdhsa_exception_fp_ieee_inexact 0
		.amdhsa_exception_int_div_zero 0
	.end_amdhsa_kernel
	.section	.text._ZN2at6native12_GLOBAL__N_125multi_tensor_apply_kernelINS1_18TensorListMetadataILi2EEENS1_11CopyFunctorIN3c108BFloat16ENS6_15Float8_e4m3fnuzELi2ELi1ELi1EEEJNS0_4CopyIS7_S8_EEEEEvT_T0_DpT1_,"axG",@progbits,_ZN2at6native12_GLOBAL__N_125multi_tensor_apply_kernelINS1_18TensorListMetadataILi2EEENS1_11CopyFunctorIN3c108BFloat16ENS6_15Float8_e4m3fnuzELi2ELi1ELi1EEEJNS0_4CopyIS7_S8_EEEEEvT_T0_DpT1_,comdat
.Lfunc_end329:
	.size	_ZN2at6native12_GLOBAL__N_125multi_tensor_apply_kernelINS1_18TensorListMetadataILi2EEENS1_11CopyFunctorIN3c108BFloat16ENS6_15Float8_e4m3fnuzELi2ELi1ELi1EEEJNS0_4CopyIS7_S8_EEEEEvT_T0_DpT1_, .Lfunc_end329-_ZN2at6native12_GLOBAL__N_125multi_tensor_apply_kernelINS1_18TensorListMetadataILi2EEENS1_11CopyFunctorIN3c108BFloat16ENS6_15Float8_e4m3fnuzELi2ELi1ELi1EEEJNS0_4CopyIS7_S8_EEEEEvT_T0_DpT1_
                                        ; -- End function
	.section	.AMDGPU.csdata,"",@progbits
; Kernel info:
; codeLenInByte = 3852
; NumSgprs: 24
; NumVgprs: 39
; ScratchSize: 0
; MemoryBound: 0
; FloatMode: 240
; IeeeMode: 1
; LDSByteSize: 0 bytes/workgroup (compile time only)
; SGPRBlocks: 2
; VGPRBlocks: 4
; NumSGPRsForWavesPerEU: 24
; NumVGPRsForWavesPerEU: 39
; Occupancy: 16
; WaveLimiterHint : 0
; COMPUTE_PGM_RSRC2:SCRATCH_EN: 0
; COMPUTE_PGM_RSRC2:USER_SGPR: 15
; COMPUTE_PGM_RSRC2:TRAP_HANDLER: 0
; COMPUTE_PGM_RSRC2:TGID_X_EN: 1
; COMPUTE_PGM_RSRC2:TGID_Y_EN: 0
; COMPUTE_PGM_RSRC2:TGID_Z_EN: 0
; COMPUTE_PGM_RSRC2:TIDIG_COMP_CNT: 0
	.section	.text._ZN2at6native12_GLOBAL__N_125multi_tensor_apply_kernelINS1_18TensorListMetadataILi2EEENS1_11CopyFunctorIN3c108BFloat16ENS6_11Float8_e5m2ELi2ELi1ELi1EEEJNS0_4CopyIS7_S8_EEEEEvT_T0_DpT1_,"axG",@progbits,_ZN2at6native12_GLOBAL__N_125multi_tensor_apply_kernelINS1_18TensorListMetadataILi2EEENS1_11CopyFunctorIN3c108BFloat16ENS6_11Float8_e5m2ELi2ELi1ELi1EEEJNS0_4CopyIS7_S8_EEEEEvT_T0_DpT1_,comdat
	.globl	_ZN2at6native12_GLOBAL__N_125multi_tensor_apply_kernelINS1_18TensorListMetadataILi2EEENS1_11CopyFunctorIN3c108BFloat16ENS6_11Float8_e5m2ELi2ELi1ELi1EEEJNS0_4CopyIS7_S8_EEEEEvT_T0_DpT1_ ; -- Begin function _ZN2at6native12_GLOBAL__N_125multi_tensor_apply_kernelINS1_18TensorListMetadataILi2EEENS1_11CopyFunctorIN3c108BFloat16ENS6_11Float8_e5m2ELi2ELi1ELi1EEEJNS0_4CopyIS7_S8_EEEEEvT_T0_DpT1_
	.p2align	8
	.type	_ZN2at6native12_GLOBAL__N_125multi_tensor_apply_kernelINS1_18TensorListMetadataILi2EEENS1_11CopyFunctorIN3c108BFloat16ENS6_11Float8_e5m2ELi2ELi1ELi1EEEJNS0_4CopyIS7_S8_EEEEEvT_T0_DpT1_,@function
_ZN2at6native12_GLOBAL__N_125multi_tensor_apply_kernelINS1_18TensorListMetadataILi2EEENS1_11CopyFunctorIN3c108BFloat16ENS6_11Float8_e5m2ELi2ELi1ELi1EEEJNS0_4CopyIS7_S8_EEEEEvT_T0_DpT1_: ; @_ZN2at6native12_GLOBAL__N_125multi_tensor_apply_kernelINS1_18TensorListMetadataILi2EEENS1_11CopyFunctorIN3c108BFloat16ENS6_11Float8_e5m2ELi2ELi1ELi1EEEJNS0_4CopyIS7_S8_EEEEEvT_T0_DpT1_
; %bb.0:
	v_mov_b32_e32 v1, s15
	s_add_u32 s2, s0, s15
	s_mul_hi_u32 s3, s15, 3
	s_mul_i32 s15, s15, 3
	s_addc_u32 s4, s1, 0
	global_load_u8 v1, v1, s[0:1] offset:1536
	s_add_u32 s2, s2, s15
	s_addc_u32 s3, s4, s3
	s_load_b32 s10, s[2:3], 0x740
	s_waitcnt lgkmcnt(0)
	s_ashr_i32 s11, s10, 31
	s_delay_alu instid0(SALU_CYCLE_1) | instskip(SKIP_2) | instid1(VALU_DEP_1)
	s_lshl_b64 s[8:9], s[10:11], 16
	s_waitcnt vmcnt(0)
	v_readfirstlane_b32 s5, v1
	s_lshl_b32 s2, s5, 3
	s_mov_b32 s5, 0
	s_clause 0x2
	s_load_b64 s[6:7], s[0:1], s2 offset:0x0
	s_load_b64 s[12:13], s[0:1], s2 offset:0x200
	;; [unrolled: 1-line block ×3, first 2 shown]
	s_waitcnt lgkmcnt(0)
	s_add_u32 s14, s6, s8
	s_addc_u32 s15, s7, s9
	s_and_b32 s16, s12, 7
	s_and_b32 s17, s2, 3
	;; [unrolled: 1-line block ×3, first 2 shown]
	s_or_b32 s16, s17, s16
	s_mov_b32 s17, s5
	s_delay_alu instid0(SALU_CYCLE_1)
	s_or_b64 s[16:17], s[4:5], s[16:17]
	s_sub_u32 s4, s2, s8
	s_subb_u32 s5, s3, s9
	s_cmp_eq_u64 s[16:17], 0
	s_mov_b32 s2, -1
	s_cbranch_scc0 .LBB330_5
; %bb.1:
	v_dual_mov_b32 v2, 0 :: v_dual_lshlrev_b32 v1, 2, v0
	s_mov_b32 s16, exec_lo
	s_delay_alu instid0(VALU_DEP_1)
	v_cmpx_gt_i64_e64 s[4:5], v[1:2]
	s_cbranch_execz .LBB330_4
; %bb.2:
	s_load_b32 s17, s[0:1], 0xc5c
	v_lshlrev_b32_e32 v3, 3, v0
	s_lshl_b64 s[2:3], s[10:11], 17
	s_mov_b32 s18, 0
	s_mov_b32 s20, 0xfe00000
	s_waitcnt lgkmcnt(0)
	s_and_b32 s19, s17, 0xffff
	s_delay_alu instid0(SALU_CYCLE_1) | instskip(SKIP_3) | instid1(VALU_DEP_1)
	s_lshl_b32 s17, s19, 2
	s_add_u32 s2, s12, s2
	s_addc_u32 s3, s13, s3
	v_add_co_u32 v3, s2, s2, v3
	v_add_co_ci_u32_e64 v4, null, s3, 0, s2
	s_lshl_b32 s19, s19, 3
.LBB330_3:                              ; =>This Inner Loop Header: Depth=1
	v_add_co_u32 v5, vcc_lo, s14, v1
	v_add_co_ci_u32_e32 v6, vcc_lo, s15, v2, vcc_lo
	v_add_co_u32 v1, vcc_lo, s17, v1
	v_add_co_ci_u32_e32 v2, vcc_lo, 0, v2, vcc_lo
	global_load_b32 v5, v[5:6], off
	v_cmp_le_i64_e32 vcc_lo, s[4:5], v[1:2]
	v_cmp_lt_u64_e64 s2, 0xffff, v[1:2]
	s_delay_alu instid0(VALU_DEP_1) | instskip(NEXT) | instid1(SALU_CYCLE_1)
	s_or_b32 s2, vcc_lo, s2
	s_and_b32 s21, exec_lo, s2
	s_delay_alu instid0(SALU_CYCLE_1)
	s_or_b32 s18, s21, s18
	s_waitcnt vmcnt(0)
	v_lshrrev_b32_e32 v15, 3, v5
	v_lshrrev_b32_e32 v10, 16, v5
	;; [unrolled: 1-line block ×3, first 2 shown]
	v_lshlrev_b16 v6, 8, v5
	v_and_or_b32 v16, 0x7f00, v5, 0.5
	v_and_or_b32 v15, v15, s20, 0x70000000
	v_lshlrev_b32_e32 v12, 25, v5
	v_lshlrev_b32_e32 v7, 16, v5
	v_bfe_i32 v17, v6, 0, 16
	s_delay_alu instid0(VALU_DEP_4) | instskip(NEXT) | instid1(VALU_DEP_4)
	v_dual_add_f32 v16, -0.5, v16 :: v_dual_mul_f32 v15, 0x7800000, v15
	v_lshrrev_b32_e32 v20, 4, v12
	v_and_or_b32 v6, 0x7f00, v6, 0.5
	s_delay_alu instid0(VALU_DEP_2) | instskip(SKIP_1) | instid1(VALU_DEP_3)
	v_or_b32_e32 v20, 0x70000000, v20
	v_lshlrev_b32_e32 v14, 5, v5
	v_add_f32_e32 v6, -0.5, v6
	s_delay_alu instid0(VALU_DEP_2) | instskip(NEXT) | instid1(VALU_DEP_1)
	v_and_or_b32 v14, v14, s20, 0x70000000
	v_dual_mul_f32 v14, 0x7800000, v14 :: v_dual_lshlrev_b32 v11, 17, v5
	v_lshlrev_b32_e32 v19, 17, v10
	v_and_or_b32 v10, 0x7f00, v10, 0.5
	v_lshlrev_b32_e32 v13, 13, v5
	s_delay_alu instid0(VALU_DEP_4) | instskip(NEXT) | instid1(VALU_DEP_3)
	v_cmp_gt_u32_e64 s2, 0x8000000, v11
	v_dual_mul_f32 v11, 0x7800000, v20 :: v_dual_add_f32 v10, -0.5, v10
	s_delay_alu instid0(VALU_DEP_3) | instskip(SKIP_3) | instid1(VALU_DEP_4)
	v_and_or_b32 v13, v13, s20, 0x70000000
	v_lshlrev_b32_e32 v18, 17, v8
	v_and_or_b32 v8, 0x7f00, v8, 0.5
	v_lshlrev_b32_e32 v9, 8, v5
	v_mul_f32_e32 v13, 0x7800000, v13
	s_delay_alu instid0(VALU_DEP_4) | instskip(NEXT) | instid1(VALU_DEP_4)
	v_cmp_gt_u32_e32 vcc_lo, 0x8000000, v18
	v_add_f32_e32 v8, -0.5, v8
	s_delay_alu instid0(VALU_DEP_3) | instskip(NEXT) | instid1(VALU_DEP_2)
	v_cndmask_b32_e64 v13, v13, v16, s2
	v_cndmask_b32_e32 v8, v14, v8, vcc_lo
	v_cmp_gt_u32_e32 vcc_lo, 0x8000000, v12
	v_cmp_gt_u32_e64 s3, 0x8000000, v19
	s_delay_alu instid0(VALU_DEP_4) | instskip(NEXT) | instid1(VALU_DEP_4)
	v_and_or_b32 v7, 0x80000000, v7, v13
	v_and_or_b32 v9, 0x80000000, v9, v8
	v_cndmask_b32_e32 v6, v11, v6, vcc_lo
	v_bfe_u32 v8, v8, 16, 1
	v_cndmask_b32_e64 v10, v15, v10, s3
	v_bfe_u32 v11, v13, 16, 1
	v_cmp_o_f32_e32 vcc_lo, v9, v9
	v_bfe_u32 v12, v6, 16, 1
	v_and_or_b32 v6, 0x80000000, v17, v6
	v_add3_u32 v8, v9, v8, 0x7fff
	v_and_or_b32 v5, 0x80000000, v5, v10
	v_bfe_u32 v10, v10, 16, 1
	v_add3_u32 v11, v7, v11, 0x7fff
	v_add3_u32 v12, v6, v12, 0x7fff
	v_lshrrev_b32_e32 v8, 16, v8
	v_cmp_o_f32_e64 s2, v5, v5
	v_add3_u32 v10, v5, v10, 0x7fff
	v_and_b32_e32 v11, 0xffff0000, v11
	v_cmp_o_f32_e64 s3, v7, v7
	v_lshrrev_b32_e32 v5, 16, v12
	v_cndmask_b32_e32 v8, 0x7fc0, v8, vcc_lo
	v_cmp_o_f32_e32 vcc_lo, v6, v6
	v_and_b32_e32 v10, 0xffff0000, v10
	v_cndmask_b32_e64 v7, 0x7fc00000, v11, s3
	v_cndmask_b32_e32 v5, 0x7fc0, v5, vcc_lo
	s_delay_alu instid0(VALU_DEP_3) | instskip(NEXT) | instid1(VALU_DEP_2)
	v_cndmask_b32_e64 v9, 0x7fc00000, v10, s2
	v_or_b32_e32 v5, v7, v5
	s_delay_alu instid0(VALU_DEP_2) | instskip(NEXT) | instid1(VALU_DEP_2)
	v_or3_b32 v6, v8, v9, 0
	v_or3_b32 v5, 0, 0, v5
	global_store_b64 v[3:4], v[5:6], off
	v_add_co_u32 v3, vcc_lo, v3, s19
	v_add_co_ci_u32_e32 v4, vcc_lo, 0, v4, vcc_lo
	s_and_not1_b32 exec_lo, exec_lo, s18
	s_cbranch_execnz .LBB330_3
.LBB330_4:
	s_or_b32 exec_lo, exec_lo, s16
	s_mov_b32 s2, 0
.LBB330_5:
	s_delay_alu instid0(SALU_CYCLE_1)
	s_and_not1_b32 vcc_lo, exec_lo, s2
	s_cbranch_vccnz .LBB330_25
; %bb.6:
	v_cmp_lt_i64_e64 s2, s[4:5], 1
	s_delay_alu instid0(VALU_DEP_1)
	s_and_b32 vcc_lo, exec_lo, s2
	s_cbranch_vccnz .LBB330_25
; %bb.7:
	s_load_b32 s0, s[0:1], 0xc5c
	v_cmp_gt_u64_e64 s1, 0x10000, s[4:5]
	v_add_co_u32 v3, s2, s8, v0
	v_lshlrev_b32_e32 v1, 1, v0
	v_add_co_ci_u32_e64 v4, null, s9, 0, s2
	s_delay_alu instid0(VALU_DEP_3) | instskip(NEXT) | instid1(VALU_DEP_2)
	v_add_co_u32 v13, vcc_lo, s6, v3
                                        ; implicit-def: $vgpr27
                                        ; implicit-def: $vgpr28
                                        ; implicit-def: $vgpr29
                                        ; implicit-def: $vgpr30
	v_add_co_ci_u32_e32 v14, vcc_lo, s7, v4, vcc_lo
	s_waitcnt lgkmcnt(0)
	s_and_b32 s0, s0, 0xffff
	s_and_b32 s1, s1, exec_lo
	s_cselect_b32 s3, s5, 0
	s_cselect_b32 s2, s4, 0x10000
	s_lshl_b64 s[10:11], s[10:11], 17
	s_lshl_b32 s14, s0, 1
	s_lshl_b32 s1, s0, 2
	s_add_u32 s12, s12, s10
	s_mul_i32 s15, s0, 3
	s_addc_u32 s11, s13, s11
	s_lshl_b32 s10, s0, 3
	v_add_co_u32 v1, s16, s12, v1
	s_add_u32 s13, s8, s15
	v_add_co_ci_u32_e64 v2, null, s11, 0, s16
	s_addc_u32 s16, s9, 0
	s_add_u32 s13, s6, s13
	s_addc_u32 s16, s7, s16
	s_add_u32 s8, s8, s14
	;; [unrolled: 2-line block ×3, first 2 shown]
	s_addc_u32 s9, s7, s9
	v_add_co_u32 v19, s8, s8, v0
	s_delay_alu instid0(VALU_DEP_1) | instskip(SKIP_1) | instid1(VALU_DEP_1)
	v_add_co_ci_u32_e64 v20, null, s9, 0, s8
	v_add_co_u32 v21, s8, s14, v0
	v_add_co_ci_u32_e64 v22, null, 0, 0, s8
	v_add_co_u32 v23, s8, v0, s0
	v_add_co_u32 v15, s13, s13, v0
	s_add_u32 s6, s6, s0
	s_delay_alu instid0(VALU_DEP_2)
	v_lshlrev_b32_e32 v5, 1, v23
	v_add_co_ci_u32_e64 v16, null, s16, 0, s13
	v_add_co_u32 v17, s13, s15, v0
	s_addc_u32 s7, s7, 0
	v_add_co_u32 v25, vcc_lo, s6, v3
	v_add_co_u32 v3, s6, s12, v5
	v_add_co_ci_u32_e64 v18, null, 0, 0, s13
	v_add_co_ci_u32_e64 v24, null, 0, 0, s8
	v_add_co_ci_u32_e32 v26, vcc_lo, s7, v4, vcc_lo
	v_add_co_ci_u32_e64 v4, null, s11, 0, s6
	s_mul_i32 s8, s0, 6
	s_mov_b64 s[6:7], 0
	s_branch .LBB330_9
.LBB330_8:                              ;   in Loop: Header=BB330_9 Depth=1
	s_or_b32 exec_lo, exec_lo, s0
	s_add_u32 s6, s6, s1
	s_addc_u32 s7, s7, 0
	v_add_co_u32 v1, vcc_lo, v1, s10
	v_cmp_ge_i64_e64 s0, s[6:7], s[4:5]
	v_cmp_lt_u64_e64 s9, 0xffff, s[6:7]
	v_add_co_ci_u32_e32 v2, vcc_lo, 0, v2, vcc_lo
	v_add_co_u32 v3, vcc_lo, v3, s10
	v_add_co_ci_u32_e32 v4, vcc_lo, 0, v4, vcc_lo
	s_delay_alu instid0(VALU_DEP_4) | instskip(NEXT) | instid1(SALU_CYCLE_1)
	s_or_b32 s0, s0, s9
	s_and_b32 vcc_lo, exec_lo, s0
	s_cbranch_vccnz .LBB330_25
.LBB330_9:                              ; =>This Inner Loop Header: Depth=1
	v_add_co_u32 v11, s0, v0, s6
	s_delay_alu instid0(VALU_DEP_1) | instskip(NEXT) | instid1(VALU_DEP_1)
	v_add_co_ci_u32_e64 v12, null, 0, s7, s0
	v_cmp_gt_i64_e32 vcc_lo, s[4:5], v[11:12]
	v_cmp_gt_u64_e64 s0, 0x10000, v[11:12]
	s_delay_alu instid0(VALU_DEP_1) | instskip(NEXT) | instid1(SALU_CYCLE_1)
	s_and_b32 s9, vcc_lo, s0
	s_and_saveexec_b32 s0, s9
	s_cbranch_execz .LBB330_11
; %bb.10:                               ;   in Loop: Header=BB330_9 Depth=1
	v_add_co_u32 v5, vcc_lo, v13, s6
	v_add_co_ci_u32_e32 v6, vcc_lo, s7, v14, vcc_lo
	global_load_u8 v30, v[5:6], off
.LBB330_11:                             ;   in Loop: Header=BB330_9 Depth=1
	s_or_b32 exec_lo, exec_lo, s0
	v_add_co_u32 v9, vcc_lo, v23, s6
	v_add_co_ci_u32_e32 v10, vcc_lo, s7, v24, vcc_lo
	s_delay_alu instid0(VALU_DEP_1) | instskip(SKIP_1) | instid1(VALU_DEP_1)
	v_cmp_gt_i64_e32 vcc_lo, s[4:5], v[9:10]
	v_cmp_gt_u64_e64 s0, 0x10000, v[9:10]
	s_and_b32 s9, vcc_lo, s0
	s_delay_alu instid0(SALU_CYCLE_1)
	s_and_saveexec_b32 s0, s9
	s_cbranch_execz .LBB330_13
; %bb.12:                               ;   in Loop: Header=BB330_9 Depth=1
	v_add_co_u32 v5, vcc_lo, v25, s6
	v_add_co_ci_u32_e32 v6, vcc_lo, s7, v26, vcc_lo
	global_load_u8 v29, v[5:6], off
.LBB330_13:                             ;   in Loop: Header=BB330_9 Depth=1
	s_or_b32 exec_lo, exec_lo, s0
	v_add_co_u32 v7, vcc_lo, v21, s6
	v_add_co_ci_u32_e32 v8, vcc_lo, s7, v22, vcc_lo
	s_delay_alu instid0(VALU_DEP_1) | instskip(SKIP_1) | instid1(VALU_DEP_1)
	v_cmp_gt_i64_e32 vcc_lo, s[4:5], v[7:8]
	v_cmp_gt_u64_e64 s0, 0x10000, v[7:8]
	s_and_b32 s9, vcc_lo, s0
	s_delay_alu instid0(SALU_CYCLE_1)
	;; [unrolled: 15-line block ×3, first 2 shown]
	s_and_saveexec_b32 s0, s9
	s_cbranch_execnz .LBB330_20
; %bb.16:                               ;   in Loop: Header=BB330_9 Depth=1
	s_or_b32 exec_lo, exec_lo, s0
	s_delay_alu instid0(SALU_CYCLE_1)
	s_mov_b32 s0, exec_lo
	v_cmpx_gt_u64_e64 s[2:3], v[11:12]
	s_cbranch_execnz .LBB330_21
.LBB330_17:                             ;   in Loop: Header=BB330_9 Depth=1
	s_or_b32 exec_lo, exec_lo, s0
	s_delay_alu instid0(SALU_CYCLE_1)
	s_mov_b32 s0, exec_lo
	v_cmpx_gt_u64_e64 s[2:3], v[9:10]
	s_cbranch_execnz .LBB330_22
.LBB330_18:                             ;   in Loop: Header=BB330_9 Depth=1
	s_or_b32 exec_lo, exec_lo, s0
	s_delay_alu instid0(SALU_CYCLE_1)
	s_mov_b32 s0, exec_lo
	v_cmpx_gt_u64_e64 s[2:3], v[7:8]
	s_cbranch_execnz .LBB330_23
.LBB330_19:                             ;   in Loop: Header=BB330_9 Depth=1
	s_or_b32 exec_lo, exec_lo, s0
	s_delay_alu instid0(SALU_CYCLE_1)
	s_mov_b32 s0, exec_lo
	v_cmpx_gt_u64_e64 s[2:3], v[5:6]
	s_cbranch_execz .LBB330_8
	s_branch .LBB330_24
.LBB330_20:                             ;   in Loop: Header=BB330_9 Depth=1
	v_add_co_u32 v31, vcc_lo, v15, s6
	v_add_co_ci_u32_e32 v32, vcc_lo, s7, v16, vcc_lo
	global_load_u8 v27, v[31:32], off
	s_or_b32 exec_lo, exec_lo, s0
	s_delay_alu instid0(SALU_CYCLE_1)
	s_mov_b32 s0, exec_lo
	v_cmpx_gt_u64_e64 s[2:3], v[11:12]
	s_cbranch_execz .LBB330_17
.LBB330_21:                             ;   in Loop: Header=BB330_9 Depth=1
	s_waitcnt vmcnt(0)
	v_lshlrev_b16 v12, 8, v30
	s_delay_alu instid0(VALU_DEP_1) | instskip(SKIP_2) | instid1(VALU_DEP_3)
	v_and_or_b32 v32, 0x7f00, v12, 0.5
	v_lshlrev_b32_e32 v11, 25, v30
	v_bfe_i32 v12, v12, 0, 16
	v_add_f32_e32 v32, -0.5, v32
	s_delay_alu instid0(VALU_DEP_3) | instskip(SKIP_1) | instid1(VALU_DEP_2)
	v_lshrrev_b32_e32 v31, 4, v11
	v_cmp_gt_u32_e32 vcc_lo, 0x8000000, v11
	v_or_b32_e32 v31, 0x70000000, v31
	s_delay_alu instid0(VALU_DEP_1) | instskip(NEXT) | instid1(VALU_DEP_1)
	v_mul_f32_e32 v31, 0x7800000, v31
	v_cndmask_b32_e32 v11, v31, v32, vcc_lo
	s_delay_alu instid0(VALU_DEP_1) | instskip(SKIP_1) | instid1(VALU_DEP_2)
	v_and_or_b32 v12, 0x80000000, v12, v11
	v_bfe_u32 v11, v11, 16, 1
	v_cmp_o_f32_e32 vcc_lo, v12, v12
	s_delay_alu instid0(VALU_DEP_2) | instskip(NEXT) | instid1(VALU_DEP_1)
	v_add3_u32 v11, v12, v11, 0x7fff
	v_lshrrev_b32_e32 v11, 16, v11
	s_delay_alu instid0(VALU_DEP_1) | instskip(SKIP_2) | instid1(SALU_CYCLE_1)
	v_cndmask_b32_e32 v11, 0x7fc0, v11, vcc_lo
	global_store_b16 v[1:2], v11, off
	s_or_b32 exec_lo, exec_lo, s0
	s_mov_b32 s0, exec_lo
	v_cmpx_gt_u64_e64 s[2:3], v[9:10]
	s_cbranch_execz .LBB330_18
.LBB330_22:                             ;   in Loop: Header=BB330_9 Depth=1
	s_waitcnt vmcnt(0)
	v_lshlrev_b16 v10, 8, v29
	s_delay_alu instid0(VALU_DEP_1) | instskip(SKIP_2) | instid1(VALU_DEP_3)
	v_and_or_b32 v12, 0x7f00, v10, 0.5
	v_lshlrev_b32_e32 v9, 25, v29
	v_bfe_i32 v10, v10, 0, 16
	v_add_f32_e32 v12, -0.5, v12
	s_delay_alu instid0(VALU_DEP_3) | instskip(SKIP_1) | instid1(VALU_DEP_2)
	v_lshrrev_b32_e32 v11, 4, v9
	v_cmp_gt_u32_e32 vcc_lo, 0x8000000, v9
	v_or_b32_e32 v11, 0x70000000, v11
	s_delay_alu instid0(VALU_DEP_1) | instskip(NEXT) | instid1(VALU_DEP_1)
	v_mul_f32_e32 v11, 0x7800000, v11
	v_cndmask_b32_e32 v9, v11, v12, vcc_lo
	s_delay_alu instid0(VALU_DEP_1) | instskip(SKIP_1) | instid1(VALU_DEP_2)
	v_and_or_b32 v10, 0x80000000, v10, v9
	v_bfe_u32 v9, v9, 16, 1
	v_cmp_o_f32_e32 vcc_lo, v10, v10
	s_delay_alu instid0(VALU_DEP_2) | instskip(NEXT) | instid1(VALU_DEP_1)
	v_add3_u32 v9, v10, v9, 0x7fff
	v_lshrrev_b32_e32 v9, 16, v9
	s_delay_alu instid0(VALU_DEP_1) | instskip(SKIP_2) | instid1(SALU_CYCLE_1)
	v_cndmask_b32_e32 v9, 0x7fc0, v9, vcc_lo
	global_store_b16 v[3:4], v9, off
	s_or_b32 exec_lo, exec_lo, s0
	s_mov_b32 s0, exec_lo
	v_cmpx_gt_u64_e64 s[2:3], v[7:8]
	s_cbranch_execz .LBB330_19
.LBB330_23:                             ;   in Loop: Header=BB330_9 Depth=1
	s_waitcnt vmcnt(0)
	v_lshlrev_b16 v8, 8, v28
	s_delay_alu instid0(VALU_DEP_1) | instskip(SKIP_2) | instid1(VALU_DEP_3)
	v_and_or_b32 v10, 0x7f00, v8, 0.5
	v_lshlrev_b32_e32 v7, 25, v28
	v_bfe_i32 v8, v8, 0, 16
	v_add_f32_e32 v10, -0.5, v10
	s_delay_alu instid0(VALU_DEP_3) | instskip(SKIP_1) | instid1(VALU_DEP_2)
	v_lshrrev_b32_e32 v9, 4, v7
	v_cmp_gt_u32_e32 vcc_lo, 0x8000000, v7
	v_or_b32_e32 v9, 0x70000000, v9
	s_delay_alu instid0(VALU_DEP_1) | instskip(NEXT) | instid1(VALU_DEP_1)
	v_mul_f32_e32 v9, 0x7800000, v9
	v_cndmask_b32_e32 v7, v9, v10, vcc_lo
	s_delay_alu instid0(VALU_DEP_1) | instskip(SKIP_1) | instid1(VALU_DEP_2)
	v_and_or_b32 v8, 0x80000000, v8, v7
	v_bfe_u32 v7, v7, 16, 1
	v_cmp_o_f32_e32 vcc_lo, v8, v8
	s_delay_alu instid0(VALU_DEP_2) | instskip(NEXT) | instid1(VALU_DEP_1)
	v_add3_u32 v7, v8, v7, 0x7fff
	v_lshrrev_b32_e32 v7, 16, v7
	s_delay_alu instid0(VALU_DEP_1) | instskip(SKIP_4) | instid1(SALU_CYCLE_1)
	v_cndmask_b32_e32 v9, 0x7fc0, v7, vcc_lo
	v_add_co_u32 v7, vcc_lo, v1, s1
	v_add_co_ci_u32_e32 v8, vcc_lo, 0, v2, vcc_lo
	global_store_b16 v[7:8], v9, off
	s_or_b32 exec_lo, exec_lo, s0
	s_mov_b32 s0, exec_lo
	v_cmpx_gt_u64_e64 s[2:3], v[5:6]
	s_cbranch_execz .LBB330_8
.LBB330_24:                             ;   in Loop: Header=BB330_9 Depth=1
	s_waitcnt vmcnt(0)
	v_lshlrev_b16 v6, 8, v27
	s_delay_alu instid0(VALU_DEP_1) | instskip(SKIP_2) | instid1(VALU_DEP_3)
	v_and_or_b32 v8, 0x7f00, v6, 0.5
	v_lshlrev_b32_e32 v5, 25, v27
	v_bfe_i32 v6, v6, 0, 16
	v_add_f32_e32 v8, -0.5, v8
	s_delay_alu instid0(VALU_DEP_3) | instskip(SKIP_1) | instid1(VALU_DEP_2)
	v_lshrrev_b32_e32 v7, 4, v5
	v_cmp_gt_u32_e32 vcc_lo, 0x8000000, v5
	v_or_b32_e32 v7, 0x70000000, v7
	s_delay_alu instid0(VALU_DEP_1) | instskip(NEXT) | instid1(VALU_DEP_1)
	v_mul_f32_e32 v7, 0x7800000, v7
	v_cndmask_b32_e32 v5, v7, v8, vcc_lo
	s_delay_alu instid0(VALU_DEP_1) | instskip(SKIP_1) | instid1(VALU_DEP_2)
	v_and_or_b32 v6, 0x80000000, v6, v5
	v_bfe_u32 v5, v5, 16, 1
	v_cmp_o_f32_e32 vcc_lo, v6, v6
	s_delay_alu instid0(VALU_DEP_2) | instskip(NEXT) | instid1(VALU_DEP_1)
	v_add3_u32 v5, v6, v5, 0x7fff
	v_lshrrev_b32_e32 v5, 16, v5
	s_delay_alu instid0(VALU_DEP_1)
	v_cndmask_b32_e32 v7, 0x7fc0, v5, vcc_lo
	v_add_co_u32 v5, vcc_lo, v1, s8
	v_add_co_ci_u32_e32 v6, vcc_lo, 0, v2, vcc_lo
	global_store_b16 v[5:6], v7, off
	s_branch .LBB330_8
.LBB330_25:
	s_nop 0
	s_sendmsg sendmsg(MSG_DEALLOC_VGPRS)
	s_endpgm
	.section	.rodata,"a",@progbits
	.p2align	6, 0x0
	.amdhsa_kernel _ZN2at6native12_GLOBAL__N_125multi_tensor_apply_kernelINS1_18TensorListMetadataILi2EEENS1_11CopyFunctorIN3c108BFloat16ENS6_11Float8_e5m2ELi2ELi1ELi1EEEJNS0_4CopyIS7_S8_EEEEEvT_T0_DpT1_
		.amdhsa_group_segment_fixed_size 0
		.amdhsa_private_segment_fixed_size 0
		.amdhsa_kernarg_size 3408
		.amdhsa_user_sgpr_count 15
		.amdhsa_user_sgpr_dispatch_ptr 0
		.amdhsa_user_sgpr_queue_ptr 0
		.amdhsa_user_sgpr_kernarg_segment_ptr 1
		.amdhsa_user_sgpr_dispatch_id 0
		.amdhsa_user_sgpr_private_segment_size 0
		.amdhsa_wavefront_size32 1
		.amdhsa_uses_dynamic_stack 0
		.amdhsa_enable_private_segment 0
		.amdhsa_system_sgpr_workgroup_id_x 1
		.amdhsa_system_sgpr_workgroup_id_y 0
		.amdhsa_system_sgpr_workgroup_id_z 0
		.amdhsa_system_sgpr_workgroup_info 0
		.amdhsa_system_vgpr_workitem_id 0
		.amdhsa_next_free_vgpr 33
		.amdhsa_next_free_sgpr 22
		.amdhsa_reserve_vcc 1
		.amdhsa_float_round_mode_32 0
		.amdhsa_float_round_mode_16_64 0
		.amdhsa_float_denorm_mode_32 3
		.amdhsa_float_denorm_mode_16_64 3
		.amdhsa_dx10_clamp 1
		.amdhsa_ieee_mode 1
		.amdhsa_fp16_overflow 0
		.amdhsa_workgroup_processor_mode 1
		.amdhsa_memory_ordered 1
		.amdhsa_forward_progress 0
		.amdhsa_shared_vgpr_count 0
		.amdhsa_exception_fp_ieee_invalid_op 0
		.amdhsa_exception_fp_denorm_src 0
		.amdhsa_exception_fp_ieee_div_zero 0
		.amdhsa_exception_fp_ieee_overflow 0
		.amdhsa_exception_fp_ieee_underflow 0
		.amdhsa_exception_fp_ieee_inexact 0
		.amdhsa_exception_int_div_zero 0
	.end_amdhsa_kernel
	.section	.text._ZN2at6native12_GLOBAL__N_125multi_tensor_apply_kernelINS1_18TensorListMetadataILi2EEENS1_11CopyFunctorIN3c108BFloat16ENS6_11Float8_e5m2ELi2ELi1ELi1EEEJNS0_4CopyIS7_S8_EEEEEvT_T0_DpT1_,"axG",@progbits,_ZN2at6native12_GLOBAL__N_125multi_tensor_apply_kernelINS1_18TensorListMetadataILi2EEENS1_11CopyFunctorIN3c108BFloat16ENS6_11Float8_e5m2ELi2ELi1ELi1EEEJNS0_4CopyIS7_S8_EEEEEvT_T0_DpT1_,comdat
.Lfunc_end330:
	.size	_ZN2at6native12_GLOBAL__N_125multi_tensor_apply_kernelINS1_18TensorListMetadataILi2EEENS1_11CopyFunctorIN3c108BFloat16ENS6_11Float8_e5m2ELi2ELi1ELi1EEEJNS0_4CopyIS7_S8_EEEEEvT_T0_DpT1_, .Lfunc_end330-_ZN2at6native12_GLOBAL__N_125multi_tensor_apply_kernelINS1_18TensorListMetadataILi2EEENS1_11CopyFunctorIN3c108BFloat16ENS6_11Float8_e5m2ELi2ELi1ELi1EEEJNS0_4CopyIS7_S8_EEEEEvT_T0_DpT1_
                                        ; -- End function
	.section	.AMDGPU.csdata,"",@progbits
; Kernel info:
; codeLenInByte = 2444
; NumSgprs: 24
; NumVgprs: 33
; ScratchSize: 0
; MemoryBound: 0
; FloatMode: 240
; IeeeMode: 1
; LDSByteSize: 0 bytes/workgroup (compile time only)
; SGPRBlocks: 2
; VGPRBlocks: 4
; NumSGPRsForWavesPerEU: 24
; NumVGPRsForWavesPerEU: 33
; Occupancy: 16
; WaveLimiterHint : 0
; COMPUTE_PGM_RSRC2:SCRATCH_EN: 0
; COMPUTE_PGM_RSRC2:USER_SGPR: 15
; COMPUTE_PGM_RSRC2:TRAP_HANDLER: 0
; COMPUTE_PGM_RSRC2:TGID_X_EN: 1
; COMPUTE_PGM_RSRC2:TGID_Y_EN: 0
; COMPUTE_PGM_RSRC2:TGID_Z_EN: 0
; COMPUTE_PGM_RSRC2:TIDIG_COMP_CNT: 0
	.section	.text._ZN2at6native12_GLOBAL__N_125multi_tensor_apply_kernelINS1_18TensorListMetadataILi2EEENS1_11CopyFunctorIN3c108BFloat16ENS6_15Float8_e5m2fnuzELi2ELi1ELi1EEEJNS0_4CopyIS7_S8_EEEEEvT_T0_DpT1_,"axG",@progbits,_ZN2at6native12_GLOBAL__N_125multi_tensor_apply_kernelINS1_18TensorListMetadataILi2EEENS1_11CopyFunctorIN3c108BFloat16ENS6_15Float8_e5m2fnuzELi2ELi1ELi1EEEJNS0_4CopyIS7_S8_EEEEEvT_T0_DpT1_,comdat
	.globl	_ZN2at6native12_GLOBAL__N_125multi_tensor_apply_kernelINS1_18TensorListMetadataILi2EEENS1_11CopyFunctorIN3c108BFloat16ENS6_15Float8_e5m2fnuzELi2ELi1ELi1EEEJNS0_4CopyIS7_S8_EEEEEvT_T0_DpT1_ ; -- Begin function _ZN2at6native12_GLOBAL__N_125multi_tensor_apply_kernelINS1_18TensorListMetadataILi2EEENS1_11CopyFunctorIN3c108BFloat16ENS6_15Float8_e5m2fnuzELi2ELi1ELi1EEEJNS0_4CopyIS7_S8_EEEEEvT_T0_DpT1_
	.p2align	8
	.type	_ZN2at6native12_GLOBAL__N_125multi_tensor_apply_kernelINS1_18TensorListMetadataILi2EEENS1_11CopyFunctorIN3c108BFloat16ENS6_15Float8_e5m2fnuzELi2ELi1ELi1EEEJNS0_4CopyIS7_S8_EEEEEvT_T0_DpT1_,@function
_ZN2at6native12_GLOBAL__N_125multi_tensor_apply_kernelINS1_18TensorListMetadataILi2EEENS1_11CopyFunctorIN3c108BFloat16ENS6_15Float8_e5m2fnuzELi2ELi1ELi1EEEJNS0_4CopyIS7_S8_EEEEEvT_T0_DpT1_: ; @_ZN2at6native12_GLOBAL__N_125multi_tensor_apply_kernelINS1_18TensorListMetadataILi2EEENS1_11CopyFunctorIN3c108BFloat16ENS6_15Float8_e5m2fnuzELi2ELi1ELi1EEEJNS0_4CopyIS7_S8_EEEEEvT_T0_DpT1_
; %bb.0:
	v_mov_b32_e32 v1, s15
	s_add_u32 s2, s0, s15
	s_mul_hi_u32 s3, s15, 3
	s_mul_i32 s15, s15, 3
	s_addc_u32 s4, s1, 0
	global_load_u8 v1, v1, s[0:1] offset:1536
	s_add_u32 s2, s2, s15
	s_addc_u32 s3, s4, s3
	s_mov_b32 s17, 0
	s_load_b32 s10, s[2:3], 0x740
	s_mov_b32 s19, s17
	s_waitcnt lgkmcnt(0)
	s_ashr_i32 s11, s10, 31
	s_delay_alu instid0(SALU_CYCLE_1) | instskip(SKIP_2) | instid1(VALU_DEP_1)
	s_lshl_b64 s[8:9], s[10:11], 16
	s_waitcnt vmcnt(0)
	v_readfirstlane_b32 s5, v1
	s_lshl_b32 s2, s5, 3
	s_clause 0x2
	s_load_b64 s[6:7], s[0:1], s2 offset:0x0
	s_load_b64 s[12:13], s[0:1], s2 offset:0x200
	;; [unrolled: 1-line block ×3, first 2 shown]
	s_waitcnt lgkmcnt(0)
	s_add_u32 s3, s6, s8
	s_addc_u32 s14, s7, s9
	s_and_b32 s2, s12, 7
	s_and_b32 s15, s4, 3
	;; [unrolled: 1-line block ×3, first 2 shown]
	s_or_b32 s18, s15, s2
	s_mov_b32 s2, -1
	s_or_b64 s[16:17], s[16:17], s[18:19]
	s_sub_u32 s4, s4, s8
	s_subb_u32 s5, s5, s9
	s_cmp_eq_u64 s[16:17], 0
	s_cbranch_scc0 .LBB331_37
; %bb.1:
	v_dual_mov_b32 v2, 0 :: v_dual_lshlrev_b32 v1, 2, v0
	s_mov_b32 s15, exec_lo
	s_delay_alu instid0(VALU_DEP_1)
	v_cmpx_gt_i64_e64 s[4:5], v[1:2]
	s_cbranch_execz .LBB331_36
; %bb.2:
	s_load_b32 s2, s[0:1], 0xc5c
	v_lshlrev_b32_e32 v3, 3, v0
	s_lshl_b64 s[18:19], s[10:11], 17
	s_waitcnt lgkmcnt(0)
	s_and_b32 s2, s2, 0xffff
	s_delay_alu instid0(SALU_CYCLE_1) | instskip(SKIP_3) | instid1(VALU_DEP_1)
	s_lshl_b32 s16, s2, 2
	s_add_u32 s17, s12, s18
	s_addc_u32 s18, s13, s19
	v_add_co_u32 v3, s17, s17, v3
	v_add_co_ci_u32_e64 v4, null, s18, 0, s17
	s_mov_b32 s17, 0
	s_lshl_b32 s18, s2, 3
	s_branch .LBB331_4
.LBB331_3:                              ;   in Loop: Header=BB331_4 Depth=1
	s_or_b32 exec_lo, exec_lo, s19
	s_delay_alu instid0(VALU_DEP_1)
	v_bfe_u32 v5, v10, 16, 1
	v_bfe_u32 v11, v7, 16, 1
	;; [unrolled: 1-line block ×3, first 2 shown]
	v_cmp_o_f32_e32 vcc_lo, v10, v10
	v_bfe_u32 v9, v8, 16, 1
	v_add3_u32 v5, v10, v5, 0x7fff
	v_add3_u32 v11, v7, v11, 0x7fff
	;; [unrolled: 1-line block ×3, first 2 shown]
	s_delay_alu instid0(VALU_DEP_4) | instskip(NEXT) | instid1(VALU_DEP_4)
	v_add3_u32 v9, v8, v9, 0x7fff
	v_and_b32_e32 v5, 0xffff0000, v5
	s_delay_alu instid0(VALU_DEP_4) | instskip(NEXT) | instid1(VALU_DEP_4)
	v_and_b32_e32 v11, 0xffff0000, v11
	v_lshrrev_b32_e32 v12, 16, v12
	s_delay_alu instid0(VALU_DEP_4) | instskip(NEXT) | instid1(VALU_DEP_4)
	v_lshrrev_b32_e32 v9, 16, v9
	v_cndmask_b32_e32 v5, 0x7fc00000, v5, vcc_lo
	v_cmp_o_f32_e32 vcc_lo, v7, v7
	v_cndmask_b32_e32 v7, 0x7fc00000, v11, vcc_lo
	v_cmp_o_f32_e32 vcc_lo, v6, v6
	v_cndmask_b32_e32 v6, 0x7fc0, v12, vcc_lo
	v_add_co_u32 v1, vcc_lo, s16, v1
	v_add_co_ci_u32_e32 v2, vcc_lo, 0, v2, vcc_lo
	v_cmp_o_f32_e32 vcc_lo, v8, v8
	s_delay_alu instid0(VALU_DEP_4) | instskip(NEXT) | instid1(VALU_DEP_3)
	v_or_b32_e32 v7, v7, v6
	v_cmp_lt_u64_e64 s2, 0xffff, v[1:2]
	v_cndmask_b32_e32 v8, 0x7fc0, v9, vcc_lo
	v_cmp_le_i64_e32 vcc_lo, s[4:5], v[1:2]
	s_delay_alu instid0(VALU_DEP_2) | instskip(SKIP_2) | instid1(SALU_CYCLE_1)
	v_or3_b32 v6, 0, v8, v5
	v_or3_b32 v5, v7, 0, 0
	s_or_b32 s2, vcc_lo, s2
	s_and_b32 s2, exec_lo, s2
	global_store_b64 v[3:4], v[5:6], off
	v_add_co_u32 v3, vcc_lo, v3, s18
	v_add_co_ci_u32_e32 v4, vcc_lo, 0, v4, vcc_lo
	s_or_b32 s17, s2, s17
	s_delay_alu instid0(SALU_CYCLE_1)
	s_and_not1_b32 exec_lo, exec_lo, s17
	s_cbranch_execz .LBB331_36
.LBB331_4:                              ; =>This Inner Loop Header: Depth=1
	v_add_co_u32 v5, vcc_lo, s3, v1
	v_add_co_ci_u32_e32 v6, vcc_lo, s14, v2, vcc_lo
	s_mov_b32 s2, 0
	s_mov_b32 s20, exec_lo
                                        ; implicit-def: $sgpr19
	global_load_b32 v5, v[5:6], off
	s_waitcnt vmcnt(0)
	v_and_b32_e32 v7, 0xff, v5
	s_delay_alu instid0(VALU_DEP_1)
	v_cmpx_lt_i16_e32 0x7f, v7
	s_xor_b32 s20, exec_lo, s20
	s_cbranch_execnz .LBB331_19
; %bb.5:                                ;   in Loop: Header=BB331_4 Depth=1
	s_or_saveexec_b32 s20, s20
	v_mov_b32_e32 v6, s19
	s_xor_b32 exec_lo, exec_lo, s20
	s_cbranch_execnz .LBB331_22
.LBB331_6:                              ;   in Loop: Header=BB331_4 Depth=1
	s_or_b32 exec_lo, exec_lo, s20
	s_and_saveexec_b32 s19, s2
	s_cbranch_execz .LBB331_8
.LBB331_7:                              ;   in Loop: Header=BB331_4 Depth=1
	v_bfe_u32 v9, v5, 2, 5
	v_lshlrev_b32_e32 v10, 24, v5
	s_delay_alu instid0(VALU_DEP_2) | instskip(SKIP_1) | instid1(VALU_DEP_1)
	v_cmp_eq_u32_e32 vcc_lo, 0, v9
	v_and_b32_e32 v6, 3, v5
	v_clz_i32_u32_e32 v7, v6
	s_delay_alu instid0(VALU_DEP_1) | instskip(NEXT) | instid1(VALU_DEP_1)
	v_min_u32_e32 v7, 32, v7
	v_subrev_nc_u32_e32 v8, 29, v7
	v_sub_nc_u32_e32 v7, 30, v7
	s_delay_alu instid0(VALU_DEP_1) | instskip(NEXT) | instid1(VALU_DEP_1)
	v_dual_cndmask_b32 v7, v9, v7 :: v_dual_lshlrev_b32 v8, v8, v5
	v_and_b32_e32 v8, 3, v8
	s_delay_alu instid0(VALU_DEP_2) | instskip(NEXT) | instid1(VALU_DEP_2)
	v_lshl_add_u32 v7, v7, 23, 0x37800000
	v_cndmask_b32_e32 v6, v6, v8, vcc_lo
	v_and_b32_e32 v8, 0x80000000, v10
	s_delay_alu instid0(VALU_DEP_2) | instskip(NEXT) | instid1(VALU_DEP_1)
	v_lshlrev_b32_e32 v6, 21, v6
	v_or3_b32 v6, v8, v7, v6
.LBB331_8:                              ;   in Loop: Header=BB331_4 Depth=1
	s_or_b32 exec_lo, exec_lo, s19
	v_lshrrev_b32_e32 v8, 8, v5
	s_mov_b32 s2, 0
	s_mov_b32 s20, exec_lo
                                        ; implicit-def: $sgpr19
	s_delay_alu instid0(VALU_DEP_1) | instskip(NEXT) | instid1(VALU_DEP_1)
	v_and_b32_e32 v9, 0xff, v8
	v_cmpx_lt_i16_e32 0x7f, v9
	s_xor_b32 s20, exec_lo, s20
	s_cbranch_execnz .LBB331_23
; %bb.9:                                ;   in Loop: Header=BB331_4 Depth=1
	s_or_saveexec_b32 s20, s20
	v_mov_b32_e32 v7, s19
	s_xor_b32 exec_lo, exec_lo, s20
	s_cbranch_execnz .LBB331_26
.LBB331_10:                             ;   in Loop: Header=BB331_4 Depth=1
	s_or_b32 exec_lo, exec_lo, s20
	s_and_saveexec_b32 s19, s2
	s_cbranch_execz .LBB331_12
.LBB331_11:                             ;   in Loop: Header=BB331_4 Depth=1
	v_bfe_u32 v7, v5, 8, 2
	v_bfe_u32 v11, v5, 10, 5
	s_delay_alu instid0(VALU_DEP_2) | instskip(NEXT) | instid1(VALU_DEP_2)
	v_clz_i32_u32_e32 v9, v7
	v_cmp_eq_u32_e32 vcc_lo, 0, v11
	s_delay_alu instid0(VALU_DEP_2) | instskip(NEXT) | instid1(VALU_DEP_1)
	v_min_u32_e32 v9, 32, v9
	v_subrev_nc_u32_e32 v10, 29, v9
	v_sub_nc_u32_e32 v9, 30, v9
	s_delay_alu instid0(VALU_DEP_1) | instskip(NEXT) | instid1(VALU_DEP_1)
	v_dual_cndmask_b32 v9, v11, v9 :: v_dual_lshlrev_b32 v10, v10, v8
	v_and_b32_e32 v10, 3, v10
	v_lshlrev_b32_e32 v8, 24, v8
	s_delay_alu instid0(VALU_DEP_3) | instskip(NEXT) | instid1(VALU_DEP_2)
	v_lshl_add_u32 v9, v9, 23, 0x37800000
	v_dual_cndmask_b32 v7, v7, v10 :: v_dual_and_b32 v8, 0x80000000, v8
	s_delay_alu instid0(VALU_DEP_1) | instskip(NEXT) | instid1(VALU_DEP_1)
	v_lshlrev_b32_e32 v7, 21, v7
	v_or3_b32 v7, v8, v9, v7
.LBB331_12:                             ;   in Loop: Header=BB331_4 Depth=1
	s_or_b32 exec_lo, exec_lo, s19
	v_lshrrev_b32_e32 v9, 16, v5
	s_mov_b32 s2, 0
	s_mov_b32 s20, exec_lo
                                        ; implicit-def: $sgpr19
	s_delay_alu instid0(VALU_DEP_1) | instskip(NEXT) | instid1(VALU_DEP_1)
	v_and_b32_e32 v10, 0xff, v9
	v_cmpx_lt_i16_e32 0x7f, v10
	s_xor_b32 s20, exec_lo, s20
	s_cbranch_execnz .LBB331_27
; %bb.13:                               ;   in Loop: Header=BB331_4 Depth=1
	s_or_saveexec_b32 s20, s20
	v_mov_b32_e32 v8, s19
	s_xor_b32 exec_lo, exec_lo, s20
	s_cbranch_execnz .LBB331_30
.LBB331_14:                             ;   in Loop: Header=BB331_4 Depth=1
	s_or_b32 exec_lo, exec_lo, s20
	s_and_saveexec_b32 s19, s2
	s_cbranch_execz .LBB331_16
.LBB331_15:                             ;   in Loop: Header=BB331_4 Depth=1
	v_bfe_u32 v8, v5, 16, 2
	v_bfe_u32 v12, v5, 18, 5
	s_delay_alu instid0(VALU_DEP_2) | instskip(NEXT) | instid1(VALU_DEP_2)
	v_clz_i32_u32_e32 v10, v8
	v_cmp_eq_u32_e32 vcc_lo, 0, v12
	s_delay_alu instid0(VALU_DEP_2) | instskip(NEXT) | instid1(VALU_DEP_1)
	v_min_u32_e32 v10, 32, v10
	v_subrev_nc_u32_e32 v11, 29, v10
	v_sub_nc_u32_e32 v10, 30, v10
	s_delay_alu instid0(VALU_DEP_1) | instskip(NEXT) | instid1(VALU_DEP_1)
	v_dual_cndmask_b32 v10, v12, v10 :: v_dual_lshlrev_b32 v11, v11, v9
	v_and_b32_e32 v11, 3, v11
	v_lshlrev_b32_e32 v9, 24, v9
	s_delay_alu instid0(VALU_DEP_3) | instskip(NEXT) | instid1(VALU_DEP_2)
	v_lshl_add_u32 v10, v10, 23, 0x37800000
	v_dual_cndmask_b32 v8, v8, v11 :: v_dual_and_b32 v9, 0x80000000, v9
	s_delay_alu instid0(VALU_DEP_1) | instskip(NEXT) | instid1(VALU_DEP_1)
	v_lshlrev_b32_e32 v8, 21, v8
	v_or3_b32 v8, v9, v10, v8
.LBB331_16:                             ;   in Loop: Header=BB331_4 Depth=1
	s_or_b32 exec_lo, exec_lo, s19
	v_lshrrev_b32_e32 v9, 24, v5
	s_mov_b32 s2, 0
	s_mov_b32 s20, exec_lo
                                        ; implicit-def: $sgpr19
	s_delay_alu instid0(VALU_DEP_1)
	v_cmpx_lt_i16_e32 0x7f, v9
	s_xor_b32 s20, exec_lo, s20
	s_cbranch_execnz .LBB331_31
; %bb.17:                               ;   in Loop: Header=BB331_4 Depth=1
	s_or_saveexec_b32 s20, s20
	v_mov_b32_e32 v10, s19
	s_xor_b32 exec_lo, exec_lo, s20
	s_cbranch_execnz .LBB331_34
.LBB331_18:                             ;   in Loop: Header=BB331_4 Depth=1
	s_or_b32 exec_lo, exec_lo, s20
	s_and_saveexec_b32 s19, s2
	s_cbranch_execz .LBB331_3
	s_branch .LBB331_35
.LBB331_19:                             ;   in Loop: Header=BB331_4 Depth=1
	s_mov_b32 s2, -1
	s_mov_b32 s21, exec_lo
                                        ; implicit-def: $sgpr19
	v_cmpx_eq_u16_e32 0x80, v7
; %bb.20:                               ;   in Loop: Header=BB331_4 Depth=1
	s_mov_b32 s19, 0x7f800001
	s_xor_b32 s2, exec_lo, -1
; %bb.21:                               ;   in Loop: Header=BB331_4 Depth=1
	s_or_b32 exec_lo, exec_lo, s21
	s_delay_alu instid0(SALU_CYCLE_1)
	s_and_b32 s2, s2, exec_lo
                                        ; implicit-def: $vgpr7
	s_or_saveexec_b32 s20, s20
	v_mov_b32_e32 v6, s19
	s_xor_b32 exec_lo, exec_lo, s20
	s_cbranch_execz .LBB331_6
.LBB331_22:                             ;   in Loop: Header=BB331_4 Depth=1
	v_cmp_ne_u16_e32 vcc_lo, 0, v7
	v_mov_b32_e32 v6, 0
	s_and_not1_b32 s2, s2, exec_lo
	s_and_b32 s19, vcc_lo, exec_lo
	s_delay_alu instid0(SALU_CYCLE_1)
	s_or_b32 s2, s2, s19
	s_or_b32 exec_lo, exec_lo, s20
	s_and_saveexec_b32 s19, s2
	s_cbranch_execnz .LBB331_7
	s_branch .LBB331_8
.LBB331_23:                             ;   in Loop: Header=BB331_4 Depth=1
	s_mov_b32 s2, -1
	s_mov_b32 s21, exec_lo
                                        ; implicit-def: $sgpr19
	v_cmpx_eq_u16_e32 0x80, v9
; %bb.24:                               ;   in Loop: Header=BB331_4 Depth=1
	s_mov_b32 s19, 0x7f800001
	s_xor_b32 s2, exec_lo, -1
; %bb.25:                               ;   in Loop: Header=BB331_4 Depth=1
	s_or_b32 exec_lo, exec_lo, s21
	s_delay_alu instid0(SALU_CYCLE_1)
	s_and_b32 s2, s2, exec_lo
                                        ; implicit-def: $vgpr9
	s_or_saveexec_b32 s20, s20
	v_mov_b32_e32 v7, s19
	s_xor_b32 exec_lo, exec_lo, s20
	s_cbranch_execz .LBB331_10
.LBB331_26:                             ;   in Loop: Header=BB331_4 Depth=1
	v_cmp_ne_u16_e32 vcc_lo, 0, v9
	v_mov_b32_e32 v7, 0
	s_and_not1_b32 s2, s2, exec_lo
	s_and_b32 s19, vcc_lo, exec_lo
	s_delay_alu instid0(SALU_CYCLE_1)
	s_or_b32 s2, s2, s19
	s_or_b32 exec_lo, exec_lo, s20
	s_and_saveexec_b32 s19, s2
	s_cbranch_execnz .LBB331_11
	s_branch .LBB331_12
.LBB331_27:                             ;   in Loop: Header=BB331_4 Depth=1
	s_mov_b32 s2, -1
	s_mov_b32 s21, exec_lo
                                        ; implicit-def: $sgpr19
	v_cmpx_eq_u16_e32 0x80, v10
; %bb.28:                               ;   in Loop: Header=BB331_4 Depth=1
	s_mov_b32 s19, 0x7f800001
	s_xor_b32 s2, exec_lo, -1
; %bb.29:                               ;   in Loop: Header=BB331_4 Depth=1
	s_or_b32 exec_lo, exec_lo, s21
	s_delay_alu instid0(SALU_CYCLE_1)
	s_and_b32 s2, s2, exec_lo
                                        ; implicit-def: $vgpr10
	s_or_saveexec_b32 s20, s20
	v_mov_b32_e32 v8, s19
	s_xor_b32 exec_lo, exec_lo, s20
	s_cbranch_execz .LBB331_14
.LBB331_30:                             ;   in Loop: Header=BB331_4 Depth=1
	v_cmp_ne_u16_e32 vcc_lo, 0, v10
	v_mov_b32_e32 v8, 0
	s_and_not1_b32 s2, s2, exec_lo
	s_and_b32 s19, vcc_lo, exec_lo
	s_delay_alu instid0(SALU_CYCLE_1)
	s_or_b32 s2, s2, s19
	s_or_b32 exec_lo, exec_lo, s20
	s_and_saveexec_b32 s19, s2
	s_cbranch_execnz .LBB331_15
	s_branch .LBB331_16
.LBB331_31:                             ;   in Loop: Header=BB331_4 Depth=1
	s_mov_b32 s2, -1
	s_mov_b32 s21, exec_lo
                                        ; implicit-def: $sgpr19
	v_cmpx_eq_u16_e32 0x80, v9
; %bb.32:                               ;   in Loop: Header=BB331_4 Depth=1
	s_mov_b32 s19, 0x7f800001
	s_xor_b32 s2, exec_lo, -1
; %bb.33:                               ;   in Loop: Header=BB331_4 Depth=1
	s_or_b32 exec_lo, exec_lo, s21
	s_delay_alu instid0(SALU_CYCLE_1)
	s_and_b32 s2, s2, exec_lo
	s_or_saveexec_b32 s20, s20
	v_mov_b32_e32 v10, s19
	s_xor_b32 exec_lo, exec_lo, s20
	s_cbranch_execz .LBB331_18
.LBB331_34:                             ;   in Loop: Header=BB331_4 Depth=1
	v_cmp_ne_u16_e32 vcc_lo, 0, v9
	v_mov_b32_e32 v10, 0
	s_and_not1_b32 s2, s2, exec_lo
	s_and_b32 s19, vcc_lo, exec_lo
	s_delay_alu instid0(SALU_CYCLE_1)
	s_or_b32 s2, s2, s19
	s_or_b32 exec_lo, exec_lo, s20
	s_and_saveexec_b32 s19, s2
	s_cbranch_execz .LBB331_3
.LBB331_35:                             ;   in Loop: Header=BB331_4 Depth=1
	v_bfe_u32 v10, v5, 24, 2
	s_delay_alu instid0(VALU_DEP_1) | instskip(NEXT) | instid1(VALU_DEP_1)
	v_clz_i32_u32_e32 v11, v10
	v_min_u32_e32 v11, 32, v11
	s_delay_alu instid0(VALU_DEP_1) | instskip(SKIP_1) | instid1(VALU_DEP_2)
	v_subrev_nc_u32_e32 v12, 29, v11
	v_sub_nc_u32_e32 v11, 30, v11
	v_lshlrev_b32_e32 v9, v12, v9
	v_bfe_u32 v12, v5, 26, 5
	v_and_b32_e32 v5, 0x80000000, v5
	s_delay_alu instid0(VALU_DEP_3) | instskip(NEXT) | instid1(VALU_DEP_3)
	v_and_b32_e32 v9, 3, v9
	v_cmp_eq_u32_e32 vcc_lo, 0, v12
	v_cndmask_b32_e32 v11, v12, v11, vcc_lo
	s_delay_alu instid0(VALU_DEP_3) | instskip(NEXT) | instid1(VALU_DEP_2)
	v_cndmask_b32_e32 v9, v10, v9, vcc_lo
	v_lshl_add_u32 v10, v11, 23, 0x37800000
	s_delay_alu instid0(VALU_DEP_2) | instskip(NEXT) | instid1(VALU_DEP_1)
	v_lshlrev_b32_e32 v9, 21, v9
	v_or3_b32 v10, v5, v10, v9
	s_branch .LBB331_3
.LBB331_36:
	s_or_b32 exec_lo, exec_lo, s15
	s_mov_b32 s2, 0
.LBB331_37:
	s_delay_alu instid0(SALU_CYCLE_1)
	s_and_not1_b32 vcc_lo, exec_lo, s2
	s_cbranch_vccnz .LBB331_89
; %bb.38:
	v_cmp_lt_i64_e64 s2, s[4:5], 1
	s_delay_alu instid0(VALU_DEP_1)
	s_and_b32 vcc_lo, exec_lo, s2
	s_cbranch_vccnz .LBB331_89
; %bb.39:
	s_load_b32 s0, s[0:1], 0xc5c
	v_cmp_gt_u64_e64 s1, 0x10000, s[4:5]
	v_add_co_u32 v3, s2, s8, v0
	v_lshlrev_b32_e32 v1, 1, v0
	v_add_co_ci_u32_e64 v4, null, s9, 0, s2
	s_delay_alu instid0(VALU_DEP_3) | instskip(NEXT) | instid1(VALU_DEP_2)
	v_add_co_u32 v13, vcc_lo, s6, v3
                                        ; implicit-def: $vgpr27
                                        ; implicit-def: $vgpr28
                                        ; implicit-def: $vgpr29
                                        ; implicit-def: $vgpr30
	v_add_co_ci_u32_e32 v14, vcc_lo, s7, v4, vcc_lo
	s_waitcnt lgkmcnt(0)
	s_and_b32 s0, s0, 0xffff
	s_and_b32 s1, s1, exec_lo
	s_cselect_b32 s3, s5, 0
	s_cselect_b32 s2, s4, 0x10000
	s_lshl_b64 s[10:11], s[10:11], 17
	s_lshl_b32 s14, s0, 1
	s_lshl_b32 s1, s0, 2
	s_add_u32 s12, s12, s10
	s_mul_i32 s15, s0, 3
	s_addc_u32 s11, s13, s11
	s_lshl_b32 s10, s0, 3
	v_add_co_u32 v1, s16, s12, v1
	s_add_u32 s13, s8, s15
	v_add_co_ci_u32_e64 v2, null, s11, 0, s16
	s_addc_u32 s16, s9, 0
	s_add_u32 s13, s6, s13
	s_addc_u32 s16, s7, s16
	s_add_u32 s8, s8, s14
	;; [unrolled: 2-line block ×3, first 2 shown]
	s_addc_u32 s9, s7, s9
	v_add_co_u32 v19, s8, s8, v0
	s_delay_alu instid0(VALU_DEP_1) | instskip(SKIP_1) | instid1(VALU_DEP_1)
	v_add_co_ci_u32_e64 v20, null, s9, 0, s8
	v_add_co_u32 v21, s8, s14, v0
	v_add_co_ci_u32_e64 v22, null, 0, 0, s8
	v_add_co_u32 v23, s8, v0, s0
	v_add_co_u32 v15, s13, s13, v0
	s_add_u32 s6, s6, s0
	s_delay_alu instid0(VALU_DEP_2)
	v_lshlrev_b32_e32 v5, 1, v23
	v_add_co_ci_u32_e64 v16, null, s16, 0, s13
	v_add_co_u32 v17, s13, s15, v0
	s_addc_u32 s7, s7, 0
	v_add_co_u32 v25, vcc_lo, s6, v3
	v_add_co_u32 v3, s6, s12, v5
	v_add_co_ci_u32_e64 v18, null, 0, 0, s13
	v_add_co_ci_u32_e64 v24, null, 0, 0, s8
	v_add_co_ci_u32_e32 v26, vcc_lo, s7, v4, vcc_lo
	v_add_co_ci_u32_e64 v4, null, s11, 0, s6
	s_mul_i32 s8, s0, 6
	s_mov_b64 s[6:7], 0
	s_branch .LBB331_41
.LBB331_40:                             ;   in Loop: Header=BB331_41 Depth=1
	s_or_b32 exec_lo, exec_lo, s0
	s_add_u32 s6, s6, s1
	s_addc_u32 s7, s7, 0
	v_add_co_u32 v1, vcc_lo, v1, s10
	v_cmp_ge_i64_e64 s0, s[6:7], s[4:5]
	v_cmp_lt_u64_e64 s9, 0xffff, s[6:7]
	v_add_co_ci_u32_e32 v2, vcc_lo, 0, v2, vcc_lo
	v_add_co_u32 v3, vcc_lo, v3, s10
	v_add_co_ci_u32_e32 v4, vcc_lo, 0, v4, vcc_lo
	s_delay_alu instid0(VALU_DEP_4) | instskip(NEXT) | instid1(SALU_CYCLE_1)
	s_or_b32 s0, s0, s9
	s_and_b32 vcc_lo, exec_lo, s0
	s_cbranch_vccnz .LBB331_89
.LBB331_41:                             ; =>This Inner Loop Header: Depth=1
	v_add_co_u32 v5, s0, v0, s6
	s_delay_alu instid0(VALU_DEP_1) | instskip(NEXT) | instid1(VALU_DEP_1)
	v_add_co_ci_u32_e64 v6, null, 0, s7, s0
	v_cmp_gt_i64_e32 vcc_lo, s[4:5], v[5:6]
	v_cmp_gt_u64_e64 s0, 0x10000, v[5:6]
	s_delay_alu instid0(VALU_DEP_1) | instskip(NEXT) | instid1(SALU_CYCLE_1)
	s_and_b32 s9, vcc_lo, s0
	s_and_saveexec_b32 s0, s9
	s_cbranch_execz .LBB331_43
; %bb.42:                               ;   in Loop: Header=BB331_41 Depth=1
	v_add_co_u32 v7, vcc_lo, v13, s6
	v_add_co_ci_u32_e32 v8, vcc_lo, s7, v14, vcc_lo
	global_load_u8 v30, v[7:8], off
.LBB331_43:                             ;   in Loop: Header=BB331_41 Depth=1
	s_or_b32 exec_lo, exec_lo, s0
	v_add_co_u32 v7, vcc_lo, v23, s6
	v_add_co_ci_u32_e32 v8, vcc_lo, s7, v24, vcc_lo
	s_delay_alu instid0(VALU_DEP_1) | instskip(SKIP_1) | instid1(VALU_DEP_1)
	v_cmp_gt_i64_e32 vcc_lo, s[4:5], v[7:8]
	v_cmp_gt_u64_e64 s0, 0x10000, v[7:8]
	s_and_b32 s9, vcc_lo, s0
	s_delay_alu instid0(SALU_CYCLE_1)
	s_and_saveexec_b32 s0, s9
	s_cbranch_execz .LBB331_45
; %bb.44:                               ;   in Loop: Header=BB331_41 Depth=1
	v_add_co_u32 v9, vcc_lo, v25, s6
	v_add_co_ci_u32_e32 v10, vcc_lo, s7, v26, vcc_lo
	global_load_u8 v29, v[9:10], off
.LBB331_45:                             ;   in Loop: Header=BB331_41 Depth=1
	s_or_b32 exec_lo, exec_lo, s0
	v_add_co_u32 v9, vcc_lo, v21, s6
	v_add_co_ci_u32_e32 v10, vcc_lo, s7, v22, vcc_lo
	s_delay_alu instid0(VALU_DEP_1) | instskip(SKIP_1) | instid1(VALU_DEP_1)
	v_cmp_gt_i64_e32 vcc_lo, s[4:5], v[9:10]
	v_cmp_gt_u64_e64 s0, 0x10000, v[9:10]
	s_and_b32 s9, vcc_lo, s0
	s_delay_alu instid0(SALU_CYCLE_1)
	;; [unrolled: 15-line block ×3, first 2 shown]
	s_and_saveexec_b32 s0, s9
	s_cbranch_execz .LBB331_49
; %bb.48:                               ;   in Loop: Header=BB331_41 Depth=1
	v_add_co_u32 v31, vcc_lo, v15, s6
	v_add_co_ci_u32_e32 v32, vcc_lo, s7, v16, vcc_lo
	global_load_u8 v27, v[31:32], off
.LBB331_49:                             ;   in Loop: Header=BB331_41 Depth=1
	s_or_b32 exec_lo, exec_lo, s0
	s_waitcnt vmcnt(0)
	v_and_b32_e32 v32, 0xff, v30
	s_mov_b32 s0, 0
	s_mov_b32 s11, exec_lo
                                        ; implicit-def: $sgpr9
	s_delay_alu instid0(VALU_DEP_1)
	v_cmpx_lt_i16_e32 0x7f, v32
	s_xor_b32 s11, exec_lo, s11
	s_cbranch_execnz .LBB331_69
; %bb.50:                               ;   in Loop: Header=BB331_41 Depth=1
	s_or_saveexec_b32 s11, s11
	v_mov_b32_e32 v31, s9
	s_xor_b32 exec_lo, exec_lo, s11
	s_cbranch_execnz .LBB331_72
.LBB331_51:                             ;   in Loop: Header=BB331_41 Depth=1
	s_or_b32 exec_lo, exec_lo, s11
	s_and_saveexec_b32 s9, s0
	s_cbranch_execz .LBB331_53
.LBB331_52:                             ;   in Loop: Header=BB331_41 Depth=1
	v_lshrrev_b16 v34, 2, v30
	v_lshlrev_b32_e32 v35, 24, v30
	s_delay_alu instid0(VALU_DEP_2) | instskip(NEXT) | instid1(VALU_DEP_1)
	v_and_b32_e32 v34, 31, v34
	v_cmp_eq_u32_e32 vcc_lo, 0, v34
	v_and_b32_e32 v31, 3, v30
	s_delay_alu instid0(VALU_DEP_1) | instskip(NEXT) | instid1(VALU_DEP_1)
	v_clz_i32_u32_e32 v32, v31
	v_min_u32_e32 v32, 32, v32
	s_delay_alu instid0(VALU_DEP_1) | instskip(SKIP_1) | instid1(VALU_DEP_1)
	v_subrev_nc_u32_e32 v33, 29, v32
	v_sub_nc_u32_e32 v32, 30, v32
	v_dual_cndmask_b32 v32, v34, v32 :: v_dual_lshlrev_b32 v33, v33, v30
	s_delay_alu instid0(VALU_DEP_1) | instskip(NEXT) | instid1(VALU_DEP_2)
	v_and_b32_e32 v33, 3, v33
	v_lshl_add_u32 v32, v32, 23, 0x37800000
	s_delay_alu instid0(VALU_DEP_2) | instskip(SKIP_1) | instid1(VALU_DEP_2)
	v_cndmask_b32_e32 v31, v31, v33, vcc_lo
	v_and_b32_e32 v33, 0x80000000, v35
	v_lshlrev_b32_e32 v31, 21, v31
	s_delay_alu instid0(VALU_DEP_1)
	v_or3_b32 v31, v33, v32, v31
.LBB331_53:                             ;   in Loop: Header=BB331_41 Depth=1
	s_or_b32 exec_lo, exec_lo, s9
	v_and_b32_e32 v33, 0xff, v29
	s_mov_b32 s0, 0
	s_mov_b32 s11, exec_lo
                                        ; implicit-def: $sgpr9
	s_delay_alu instid0(VALU_DEP_1)
	v_cmpx_lt_i16_e32 0x7f, v33
	s_xor_b32 s11, exec_lo, s11
	s_cbranch_execnz .LBB331_73
; %bb.54:                               ;   in Loop: Header=BB331_41 Depth=1
	s_or_saveexec_b32 s11, s11
	v_mov_b32_e32 v32, s9
	s_xor_b32 exec_lo, exec_lo, s11
	s_cbranch_execnz .LBB331_76
.LBB331_55:                             ;   in Loop: Header=BB331_41 Depth=1
	s_or_b32 exec_lo, exec_lo, s11
	s_and_saveexec_b32 s9, s0
	s_cbranch_execz .LBB331_57
.LBB331_56:                             ;   in Loop: Header=BB331_41 Depth=1
	v_and_b32_e32 v32, 3, v29
	v_lshrrev_b16 v35, 2, v29
	v_lshlrev_b32_e32 v36, 24, v29
	s_delay_alu instid0(VALU_DEP_3) | instskip(NEXT) | instid1(VALU_DEP_1)
	v_clz_i32_u32_e32 v33, v32
	v_min_u32_e32 v33, 32, v33
	s_delay_alu instid0(VALU_DEP_1) | instskip(SKIP_1) | instid1(VALU_DEP_2)
	v_subrev_nc_u32_e32 v34, 29, v33
	v_sub_nc_u32_e32 v33, 30, v33
	v_lshlrev_b32_e32 v34, v34, v29
	s_delay_alu instid0(VALU_DEP_1) | instskip(SKIP_1) | instid1(VALU_DEP_1)
	v_and_b32_e32 v34, 3, v34
	v_and_b32_e32 v35, 31, v35
	v_cmp_eq_u32_e32 vcc_lo, 0, v35
	s_delay_alu instid0(VALU_DEP_3) | instskip(SKIP_1) | instid1(VALU_DEP_2)
	v_dual_cndmask_b32 v32, v32, v34 :: v_dual_cndmask_b32 v33, v35, v33
	v_and_b32_e32 v34, 0x80000000, v36
	v_lshlrev_b32_e32 v32, 21, v32
	s_delay_alu instid0(VALU_DEP_3) | instskip(NEXT) | instid1(VALU_DEP_1)
	v_lshl_add_u32 v33, v33, 23, 0x37800000
	v_or3_b32 v32, v34, v33, v32
.LBB331_57:                             ;   in Loop: Header=BB331_41 Depth=1
	s_or_b32 exec_lo, exec_lo, s9
	v_and_b32_e32 v34, 0xff, v28
	s_mov_b32 s0, 0
	s_mov_b32 s11, exec_lo
                                        ; implicit-def: $sgpr9
	s_delay_alu instid0(VALU_DEP_1)
	v_cmpx_lt_i16_e32 0x7f, v34
	s_xor_b32 s11, exec_lo, s11
	s_cbranch_execnz .LBB331_77
; %bb.58:                               ;   in Loop: Header=BB331_41 Depth=1
	s_or_saveexec_b32 s11, s11
	v_mov_b32_e32 v33, s9
	s_xor_b32 exec_lo, exec_lo, s11
	s_cbranch_execnz .LBB331_80
.LBB331_59:                             ;   in Loop: Header=BB331_41 Depth=1
	s_or_b32 exec_lo, exec_lo, s11
	s_and_saveexec_b32 s9, s0
	s_cbranch_execz .LBB331_61
.LBB331_60:                             ;   in Loop: Header=BB331_41 Depth=1
	v_lshrrev_b16 v36, 2, v28
	v_lshlrev_b32_e32 v37, 24, v28
	s_delay_alu instid0(VALU_DEP_2) | instskip(NEXT) | instid1(VALU_DEP_1)
	v_and_b32_e32 v36, 31, v36
	v_cmp_eq_u32_e32 vcc_lo, 0, v36
	v_and_b32_e32 v33, 3, v28
	s_delay_alu instid0(VALU_DEP_1) | instskip(NEXT) | instid1(VALU_DEP_1)
	v_clz_i32_u32_e32 v34, v33
	v_min_u32_e32 v34, 32, v34
	s_delay_alu instid0(VALU_DEP_1) | instskip(SKIP_1) | instid1(VALU_DEP_1)
	v_subrev_nc_u32_e32 v35, 29, v34
	v_sub_nc_u32_e32 v34, 30, v34
	v_dual_cndmask_b32 v34, v36, v34 :: v_dual_lshlrev_b32 v35, v35, v28
	s_delay_alu instid0(VALU_DEP_1) | instskip(NEXT) | instid1(VALU_DEP_2)
	v_and_b32_e32 v35, 3, v35
	v_lshl_add_u32 v34, v34, 23, 0x37800000
	s_delay_alu instid0(VALU_DEP_2) | instskip(SKIP_1) | instid1(VALU_DEP_2)
	v_cndmask_b32_e32 v33, v33, v35, vcc_lo
	v_and_b32_e32 v35, 0x80000000, v37
	v_lshlrev_b32_e32 v33, 21, v33
	s_delay_alu instid0(VALU_DEP_1)
	v_or3_b32 v33, v35, v34, v33
.LBB331_61:                             ;   in Loop: Header=BB331_41 Depth=1
	s_or_b32 exec_lo, exec_lo, s9
	v_and_b32_e32 v35, 0xff, v27
	s_mov_b32 s0, 0
	s_mov_b32 s11, exec_lo
                                        ; implicit-def: $sgpr9
	s_delay_alu instid0(VALU_DEP_1)
	v_cmpx_lt_i16_e32 0x7f, v35
	s_xor_b32 s11, exec_lo, s11
	s_cbranch_execnz .LBB331_81
; %bb.62:                               ;   in Loop: Header=BB331_41 Depth=1
	s_or_saveexec_b32 s11, s11
	v_mov_b32_e32 v34, s9
	s_xor_b32 exec_lo, exec_lo, s11
	s_cbranch_execnz .LBB331_84
.LBB331_63:                             ;   in Loop: Header=BB331_41 Depth=1
	s_or_b32 exec_lo, exec_lo, s11
	s_and_saveexec_b32 s9, s0
	s_cbranch_execz .LBB331_65
.LBB331_64:                             ;   in Loop: Header=BB331_41 Depth=1
	v_and_b32_e32 v34, 3, v27
	v_lshrrev_b16 v37, 2, v27
	v_lshlrev_b32_e32 v38, 24, v27
	s_delay_alu instid0(VALU_DEP_3) | instskip(NEXT) | instid1(VALU_DEP_1)
	v_clz_i32_u32_e32 v35, v34
	v_min_u32_e32 v35, 32, v35
	s_delay_alu instid0(VALU_DEP_1) | instskip(SKIP_1) | instid1(VALU_DEP_2)
	v_subrev_nc_u32_e32 v36, 29, v35
	v_sub_nc_u32_e32 v35, 30, v35
	v_lshlrev_b32_e32 v36, v36, v27
	s_delay_alu instid0(VALU_DEP_1) | instskip(SKIP_1) | instid1(VALU_DEP_1)
	v_and_b32_e32 v36, 3, v36
	v_and_b32_e32 v37, 31, v37
	v_cmp_eq_u32_e32 vcc_lo, 0, v37
	s_delay_alu instid0(VALU_DEP_3) | instskip(SKIP_1) | instid1(VALU_DEP_2)
	v_dual_cndmask_b32 v34, v34, v36 :: v_dual_cndmask_b32 v35, v37, v35
	v_and_b32_e32 v36, 0x80000000, v38
	v_lshlrev_b32_e32 v34, 21, v34
	s_delay_alu instid0(VALU_DEP_3) | instskip(NEXT) | instid1(VALU_DEP_1)
	v_lshl_add_u32 v35, v35, 23, 0x37800000
	v_or3_b32 v34, v36, v35, v34
.LBB331_65:                             ;   in Loop: Header=BB331_41 Depth=1
	s_or_b32 exec_lo, exec_lo, s9
	s_delay_alu instid0(SALU_CYCLE_1)
	s_mov_b32 s0, exec_lo
	v_cmpx_gt_u64_e64 s[2:3], v[5:6]
	s_xor_b32 s0, exec_lo, s0
	s_cbranch_execnz .LBB331_85
; %bb.66:                               ;   in Loop: Header=BB331_41 Depth=1
	s_or_b32 exec_lo, exec_lo, s0
	s_delay_alu instid0(SALU_CYCLE_1)
	s_mov_b32 s0, exec_lo
	v_cmpx_gt_u64_e64 s[2:3], v[7:8]
	s_cbranch_execnz .LBB331_86
.LBB331_67:                             ;   in Loop: Header=BB331_41 Depth=1
	s_or_b32 exec_lo, exec_lo, s0
	s_delay_alu instid0(SALU_CYCLE_1)
	s_mov_b32 s0, exec_lo
	v_cmpx_gt_u64_e64 s[2:3], v[9:10]
	s_cbranch_execnz .LBB331_87
.LBB331_68:                             ;   in Loop: Header=BB331_41 Depth=1
	s_or_b32 exec_lo, exec_lo, s0
	s_delay_alu instid0(SALU_CYCLE_1)
	s_mov_b32 s0, exec_lo
	v_cmpx_gt_u64_e64 s[2:3], v[11:12]
	s_cbranch_execz .LBB331_40
	s_branch .LBB331_88
.LBB331_69:                             ;   in Loop: Header=BB331_41 Depth=1
	s_mov_b32 s0, -1
	s_mov_b32 s12, exec_lo
                                        ; implicit-def: $sgpr9
	v_cmpx_eq_u16_e32 0x80, v32
; %bb.70:                               ;   in Loop: Header=BB331_41 Depth=1
	s_mov_b32 s9, 0x7f800001
	s_xor_b32 s0, exec_lo, -1
; %bb.71:                               ;   in Loop: Header=BB331_41 Depth=1
	s_or_b32 exec_lo, exec_lo, s12
	s_delay_alu instid0(SALU_CYCLE_1)
	s_and_b32 s0, s0, exec_lo
                                        ; implicit-def: $vgpr32
	s_or_saveexec_b32 s11, s11
	v_mov_b32_e32 v31, s9
	s_xor_b32 exec_lo, exec_lo, s11
	s_cbranch_execz .LBB331_51
.LBB331_72:                             ;   in Loop: Header=BB331_41 Depth=1
	v_cmp_ne_u16_e32 vcc_lo, 0, v32
	v_mov_b32_e32 v31, 0
	s_and_not1_b32 s0, s0, exec_lo
	s_and_b32 s9, vcc_lo, exec_lo
	s_delay_alu instid0(SALU_CYCLE_1)
	s_or_b32 s0, s0, s9
	s_or_b32 exec_lo, exec_lo, s11
	s_and_saveexec_b32 s9, s0
	s_cbranch_execnz .LBB331_52
	s_branch .LBB331_53
.LBB331_73:                             ;   in Loop: Header=BB331_41 Depth=1
	s_mov_b32 s0, -1
	s_mov_b32 s12, exec_lo
                                        ; implicit-def: $sgpr9
	v_cmpx_eq_u16_e32 0x80, v33
; %bb.74:                               ;   in Loop: Header=BB331_41 Depth=1
	s_mov_b32 s9, 0x7f800001
	s_xor_b32 s0, exec_lo, -1
; %bb.75:                               ;   in Loop: Header=BB331_41 Depth=1
	s_or_b32 exec_lo, exec_lo, s12
	s_delay_alu instid0(SALU_CYCLE_1)
	s_and_b32 s0, s0, exec_lo
                                        ; implicit-def: $vgpr33
	s_or_saveexec_b32 s11, s11
	v_mov_b32_e32 v32, s9
	s_xor_b32 exec_lo, exec_lo, s11
	s_cbranch_execz .LBB331_55
.LBB331_76:                             ;   in Loop: Header=BB331_41 Depth=1
	v_cmp_ne_u16_e32 vcc_lo, 0, v33
	v_mov_b32_e32 v32, 0
	s_and_not1_b32 s0, s0, exec_lo
	s_and_b32 s9, vcc_lo, exec_lo
	s_delay_alu instid0(SALU_CYCLE_1)
	s_or_b32 s0, s0, s9
	s_or_b32 exec_lo, exec_lo, s11
	s_and_saveexec_b32 s9, s0
	s_cbranch_execnz .LBB331_56
	s_branch .LBB331_57
.LBB331_77:                             ;   in Loop: Header=BB331_41 Depth=1
	s_mov_b32 s0, -1
	s_mov_b32 s12, exec_lo
                                        ; implicit-def: $sgpr9
	v_cmpx_eq_u16_e32 0x80, v34
; %bb.78:                               ;   in Loop: Header=BB331_41 Depth=1
	s_mov_b32 s9, 0x7f800001
	s_xor_b32 s0, exec_lo, -1
; %bb.79:                               ;   in Loop: Header=BB331_41 Depth=1
	s_or_b32 exec_lo, exec_lo, s12
	s_delay_alu instid0(SALU_CYCLE_1)
	s_and_b32 s0, s0, exec_lo
                                        ; implicit-def: $vgpr34
	s_or_saveexec_b32 s11, s11
	v_mov_b32_e32 v33, s9
	s_xor_b32 exec_lo, exec_lo, s11
	s_cbranch_execz .LBB331_59
.LBB331_80:                             ;   in Loop: Header=BB331_41 Depth=1
	v_cmp_ne_u16_e32 vcc_lo, 0, v34
	v_mov_b32_e32 v33, 0
	s_and_not1_b32 s0, s0, exec_lo
	s_and_b32 s9, vcc_lo, exec_lo
	s_delay_alu instid0(SALU_CYCLE_1)
	s_or_b32 s0, s0, s9
	s_or_b32 exec_lo, exec_lo, s11
	s_and_saveexec_b32 s9, s0
	s_cbranch_execnz .LBB331_60
	s_branch .LBB331_61
.LBB331_81:                             ;   in Loop: Header=BB331_41 Depth=1
	s_mov_b32 s0, -1
	s_mov_b32 s12, exec_lo
                                        ; implicit-def: $sgpr9
	v_cmpx_eq_u16_e32 0x80, v35
; %bb.82:                               ;   in Loop: Header=BB331_41 Depth=1
	s_mov_b32 s9, 0x7f800001
	s_xor_b32 s0, exec_lo, -1
; %bb.83:                               ;   in Loop: Header=BB331_41 Depth=1
	s_or_b32 exec_lo, exec_lo, s12
	s_delay_alu instid0(SALU_CYCLE_1)
	s_and_b32 s0, s0, exec_lo
                                        ; implicit-def: $vgpr35
	s_or_saveexec_b32 s11, s11
	v_mov_b32_e32 v34, s9
	s_xor_b32 exec_lo, exec_lo, s11
	s_cbranch_execz .LBB331_63
.LBB331_84:                             ;   in Loop: Header=BB331_41 Depth=1
	v_cmp_ne_u16_e32 vcc_lo, 0, v35
	v_mov_b32_e32 v34, 0
	s_and_not1_b32 s0, s0, exec_lo
	s_and_b32 s9, vcc_lo, exec_lo
	s_delay_alu instid0(SALU_CYCLE_1)
	s_or_b32 s0, s0, s9
	s_or_b32 exec_lo, exec_lo, s11
	s_and_saveexec_b32 s9, s0
	s_cbranch_execnz .LBB331_64
	s_branch .LBB331_65
.LBB331_85:                             ;   in Loop: Header=BB331_41 Depth=1
	v_bfe_u32 v5, v31, 16, 1
	v_cmp_o_f32_e32 vcc_lo, v31, v31
	s_delay_alu instid0(VALU_DEP_2) | instskip(NEXT) | instid1(VALU_DEP_1)
	v_add3_u32 v5, v31, v5, 0x7fff
	v_lshrrev_b32_e32 v5, 16, v5
	s_delay_alu instid0(VALU_DEP_1) | instskip(SKIP_2) | instid1(SALU_CYCLE_1)
	v_cndmask_b32_e32 v5, 0x7fc0, v5, vcc_lo
	global_store_b16 v[1:2], v5, off
	s_or_b32 exec_lo, exec_lo, s0
	s_mov_b32 s0, exec_lo
	v_cmpx_gt_u64_e64 s[2:3], v[7:8]
	s_cbranch_execz .LBB331_67
.LBB331_86:                             ;   in Loop: Header=BB331_41 Depth=1
	v_bfe_u32 v5, v32, 16, 1
	v_cmp_o_f32_e32 vcc_lo, v32, v32
	s_delay_alu instid0(VALU_DEP_2) | instskip(NEXT) | instid1(VALU_DEP_1)
	v_add3_u32 v5, v32, v5, 0x7fff
	v_lshrrev_b32_e32 v5, 16, v5
	s_delay_alu instid0(VALU_DEP_1) | instskip(SKIP_2) | instid1(SALU_CYCLE_1)
	v_cndmask_b32_e32 v5, 0x7fc0, v5, vcc_lo
	global_store_b16 v[3:4], v5, off
	s_or_b32 exec_lo, exec_lo, s0
	s_mov_b32 s0, exec_lo
	v_cmpx_gt_u64_e64 s[2:3], v[9:10]
	s_cbranch_execz .LBB331_68
.LBB331_87:                             ;   in Loop: Header=BB331_41 Depth=1
	v_bfe_u32 v5, v33, 16, 1
	v_cmp_o_f32_e32 vcc_lo, v33, v33
	s_delay_alu instid0(VALU_DEP_2) | instskip(NEXT) | instid1(VALU_DEP_1)
	v_add3_u32 v5, v33, v5, 0x7fff
	v_lshrrev_b32_e32 v5, 16, v5
	s_delay_alu instid0(VALU_DEP_1) | instskip(SKIP_4) | instid1(SALU_CYCLE_1)
	v_cndmask_b32_e32 v7, 0x7fc0, v5, vcc_lo
	v_add_co_u32 v5, vcc_lo, v1, s1
	v_add_co_ci_u32_e32 v6, vcc_lo, 0, v2, vcc_lo
	global_store_b16 v[5:6], v7, off
	s_or_b32 exec_lo, exec_lo, s0
	s_mov_b32 s0, exec_lo
	v_cmpx_gt_u64_e64 s[2:3], v[11:12]
	s_cbranch_execz .LBB331_40
.LBB331_88:                             ;   in Loop: Header=BB331_41 Depth=1
	v_bfe_u32 v5, v34, 16, 1
	v_cmp_o_f32_e32 vcc_lo, v34, v34
	s_delay_alu instid0(VALU_DEP_2) | instskip(NEXT) | instid1(VALU_DEP_1)
	v_add3_u32 v5, v34, v5, 0x7fff
	v_lshrrev_b32_e32 v5, 16, v5
	s_delay_alu instid0(VALU_DEP_1)
	v_cndmask_b32_e32 v7, 0x7fc0, v5, vcc_lo
	v_add_co_u32 v5, vcc_lo, v1, s8
	v_add_co_ci_u32_e32 v6, vcc_lo, 0, v2, vcc_lo
	global_store_b16 v[5:6], v7, off
	s_branch .LBB331_40
.LBB331_89:
	s_nop 0
	s_sendmsg sendmsg(MSG_DEALLOC_VGPRS)
	s_endpgm
	.section	.rodata,"a",@progbits
	.p2align	6, 0x0
	.amdhsa_kernel _ZN2at6native12_GLOBAL__N_125multi_tensor_apply_kernelINS1_18TensorListMetadataILi2EEENS1_11CopyFunctorIN3c108BFloat16ENS6_15Float8_e5m2fnuzELi2ELi1ELi1EEEJNS0_4CopyIS7_S8_EEEEEvT_T0_DpT1_
		.amdhsa_group_segment_fixed_size 0
		.amdhsa_private_segment_fixed_size 0
		.amdhsa_kernarg_size 3408
		.amdhsa_user_sgpr_count 15
		.amdhsa_user_sgpr_dispatch_ptr 0
		.amdhsa_user_sgpr_queue_ptr 0
		.amdhsa_user_sgpr_kernarg_segment_ptr 1
		.amdhsa_user_sgpr_dispatch_id 0
		.amdhsa_user_sgpr_private_segment_size 0
		.amdhsa_wavefront_size32 1
		.amdhsa_uses_dynamic_stack 0
		.amdhsa_enable_private_segment 0
		.amdhsa_system_sgpr_workgroup_id_x 1
		.amdhsa_system_sgpr_workgroup_id_y 0
		.amdhsa_system_sgpr_workgroup_id_z 0
		.amdhsa_system_sgpr_workgroup_info 0
		.amdhsa_system_vgpr_workitem_id 0
		.amdhsa_next_free_vgpr 39
		.amdhsa_next_free_sgpr 22
		.amdhsa_reserve_vcc 1
		.amdhsa_float_round_mode_32 0
		.amdhsa_float_round_mode_16_64 0
		.amdhsa_float_denorm_mode_32 3
		.amdhsa_float_denorm_mode_16_64 3
		.amdhsa_dx10_clamp 1
		.amdhsa_ieee_mode 1
		.amdhsa_fp16_overflow 0
		.amdhsa_workgroup_processor_mode 1
		.amdhsa_memory_ordered 1
		.amdhsa_forward_progress 0
		.amdhsa_shared_vgpr_count 0
		.amdhsa_exception_fp_ieee_invalid_op 0
		.amdhsa_exception_fp_denorm_src 0
		.amdhsa_exception_fp_ieee_div_zero 0
		.amdhsa_exception_fp_ieee_overflow 0
		.amdhsa_exception_fp_ieee_underflow 0
		.amdhsa_exception_fp_ieee_inexact 0
		.amdhsa_exception_int_div_zero 0
	.end_amdhsa_kernel
	.section	.text._ZN2at6native12_GLOBAL__N_125multi_tensor_apply_kernelINS1_18TensorListMetadataILi2EEENS1_11CopyFunctorIN3c108BFloat16ENS6_15Float8_e5m2fnuzELi2ELi1ELi1EEEJNS0_4CopyIS7_S8_EEEEEvT_T0_DpT1_,"axG",@progbits,_ZN2at6native12_GLOBAL__N_125multi_tensor_apply_kernelINS1_18TensorListMetadataILi2EEENS1_11CopyFunctorIN3c108BFloat16ENS6_15Float8_e5m2fnuzELi2ELi1ELi1EEEJNS0_4CopyIS7_S8_EEEEEvT_T0_DpT1_,comdat
.Lfunc_end331:
	.size	_ZN2at6native12_GLOBAL__N_125multi_tensor_apply_kernelINS1_18TensorListMetadataILi2EEENS1_11CopyFunctorIN3c108BFloat16ENS6_15Float8_e5m2fnuzELi2ELi1ELi1EEEJNS0_4CopyIS7_S8_EEEEEvT_T0_DpT1_, .Lfunc_end331-_ZN2at6native12_GLOBAL__N_125multi_tensor_apply_kernelINS1_18TensorListMetadataILi2EEENS1_11CopyFunctorIN3c108BFloat16ENS6_15Float8_e5m2fnuzELi2ELi1ELi1EEEJNS0_4CopyIS7_S8_EEEEEvT_T0_DpT1_
                                        ; -- End function
	.section	.AMDGPU.csdata,"",@progbits
; Kernel info:
; codeLenInByte = 3852
; NumSgprs: 24
; NumVgprs: 39
; ScratchSize: 0
; MemoryBound: 0
; FloatMode: 240
; IeeeMode: 1
; LDSByteSize: 0 bytes/workgroup (compile time only)
; SGPRBlocks: 2
; VGPRBlocks: 4
; NumSGPRsForWavesPerEU: 24
; NumVGPRsForWavesPerEU: 39
; Occupancy: 16
; WaveLimiterHint : 0
; COMPUTE_PGM_RSRC2:SCRATCH_EN: 0
; COMPUTE_PGM_RSRC2:USER_SGPR: 15
; COMPUTE_PGM_RSRC2:TRAP_HANDLER: 0
; COMPUTE_PGM_RSRC2:TGID_X_EN: 1
; COMPUTE_PGM_RSRC2:TGID_Y_EN: 0
; COMPUTE_PGM_RSRC2:TGID_Z_EN: 0
; COMPUTE_PGM_RSRC2:TIDIG_COMP_CNT: 0
	.section	.text._ZN2at6native12_GLOBAL__N_125multi_tensor_apply_kernelINS1_18TensorListMetadataILi2EEENS1_11CopyFunctorIbhLi2ELi1ELi1EEEJNS0_4CopyIbhEEEEEvT_T0_DpT1_,"axG",@progbits,_ZN2at6native12_GLOBAL__N_125multi_tensor_apply_kernelINS1_18TensorListMetadataILi2EEENS1_11CopyFunctorIbhLi2ELi1ELi1EEEJNS0_4CopyIbhEEEEEvT_T0_DpT1_,comdat
	.globl	_ZN2at6native12_GLOBAL__N_125multi_tensor_apply_kernelINS1_18TensorListMetadataILi2EEENS1_11CopyFunctorIbhLi2ELi1ELi1EEEJNS0_4CopyIbhEEEEEvT_T0_DpT1_ ; -- Begin function _ZN2at6native12_GLOBAL__N_125multi_tensor_apply_kernelINS1_18TensorListMetadataILi2EEENS1_11CopyFunctorIbhLi2ELi1ELi1EEEJNS0_4CopyIbhEEEEEvT_T0_DpT1_
	.p2align	8
	.type	_ZN2at6native12_GLOBAL__N_125multi_tensor_apply_kernelINS1_18TensorListMetadataILi2EEENS1_11CopyFunctorIbhLi2ELi1ELi1EEEJNS0_4CopyIbhEEEEEvT_T0_DpT1_,@function
_ZN2at6native12_GLOBAL__N_125multi_tensor_apply_kernelINS1_18TensorListMetadataILi2EEENS1_11CopyFunctorIbhLi2ELi1ELi1EEEJNS0_4CopyIbhEEEEEvT_T0_DpT1_: ; @_ZN2at6native12_GLOBAL__N_125multi_tensor_apply_kernelINS1_18TensorListMetadataILi2EEENS1_11CopyFunctorIbhLi2ELi1ELi1EEEJNS0_4CopyIbhEEEEEvT_T0_DpT1_
; %bb.0:
	v_mov_b32_e32 v1, s15
	s_add_u32 s2, s0, s15
	s_mul_i32 s4, s15, 3
	s_addc_u32 s3, s1, 0
	s_mul_hi_u32 s5, s15, 3
	global_load_u8 v1, v1, s[0:1] offset:1536
	s_add_u32 s2, s2, s4
	s_addc_u32 s3, s3, s5
	s_load_b32 s2, s[2:3], 0x740
	s_waitcnt vmcnt(0)
	v_readfirstlane_b32 s4, v1
	s_delay_alu instid0(VALU_DEP_1)
	s_lshl_b32 s3, s4, 3
	s_clause 0x2
	s_load_b64 s[6:7], s[0:1], s3 offset:0x0
	s_load_b64 s[8:9], s[0:1], s3 offset:0x200
	;; [unrolled: 1-line block ×3, first 2 shown]
	s_waitcnt lgkmcnt(0)
	s_ashr_i32 s3, s2, 31
	s_delay_alu instid0(SALU_CYCLE_1) | instskip(NEXT) | instid1(SALU_CYCLE_1)
	s_lshl_b64 s[10:11], s[2:3], 16
	s_add_u32 s3, s6, s10
	s_addc_u32 s18, s7, s11
	s_add_u32 s12, s8, s10
	s_addc_u32 s13, s9, s11
	s_delay_alu instid0(SALU_CYCLE_1) | instskip(NEXT) | instid1(SALU_CYCLE_1)
	s_or_b64 s[14:15], s[4:5], s[12:13]
	s_or_b32 s2, s3, s14
	s_delay_alu instid0(SALU_CYCLE_1)
	s_and_b32 s2, s2, 3
	s_sub_u32 s4, s4, s10
	s_subb_u32 s5, s5, s11
	s_cmp_eq_u32 s2, 0
	s_mov_b32 s2, -1
	s_cbranch_scc0 .LBB332_5
; %bb.1:
	v_dual_mov_b32 v2, 0 :: v_dual_lshlrev_b32 v1, 2, v0
	s_mov_b32 s19, exec_lo
	s_delay_alu instid0(VALU_DEP_1)
	v_cmpx_gt_i64_e64 s[4:5], v[1:2]
	s_cbranch_execz .LBB332_4
; %bb.2:
	s_load_b32 s2, s[0:1], 0xc5c
	s_mov_b32 s15, 0
	s_waitcnt lgkmcnt(0)
	s_and_b32 s2, s2, 0xffff
	s_delay_alu instid0(SALU_CYCLE_1) | instskip(NEXT) | instid1(SALU_CYCLE_1)
	s_lshl_b32 s14, s2, 2
	s_mov_b64 s[16:17], s[14:15]
.LBB332_3:                              ; =>This Inner Loop Header: Depth=1
	v_add_co_u32 v2, s2, s3, v1
	s_delay_alu instid0(VALU_DEP_1) | instskip(SKIP_2) | instid1(VALU_DEP_1)
	v_add_co_ci_u32_e64 v3, null, s18, 0, s2
	global_load_b32 v6, v[2:3], off
	v_add_co_u32 v2, s2, v1, s16
	v_add_co_ci_u32_e64 v3, null, 0, s17, s2
	v_add_co_u32 v4, s2, s12, v1
	s_delay_alu instid0(VALU_DEP_1) | instskip(NEXT) | instid1(VALU_DEP_3)
	v_add_co_ci_u32_e64 v5, null, s13, 0, s2
	v_cmp_le_i64_e32 vcc_lo, s[4:5], v[2:3]
	s_waitcnt vmcnt(0)
	v_and_b32_e32 v9, 0xff, v6
	v_lshrrev_b32_e32 v7, 8, v6
	v_lshrrev_b32_e32 v8, 16, v6
	;; [unrolled: 1-line block ×3, first 2 shown]
	s_delay_alu instid0(VALU_DEP_4) | instskip(NEXT) | instid1(VALU_DEP_4)
	v_cmp_ne_u16_e64 s2, 0, v9
	v_and_b32_e32 v7, 0xff, v7
	s_delay_alu instid0(VALU_DEP_4) | instskip(NEXT) | instid1(VALU_DEP_3)
	v_and_b32_e32 v8, 0xff, v8
	v_cndmask_b32_e64 v9, 0, 1, s2
	v_cmp_ne_u16_e64 s2, 0, v6
	s_delay_alu instid0(VALU_DEP_1) | instskip(SKIP_1) | instid1(VALU_DEP_2)
	v_cndmask_b32_e64 v6, 0, 1, s2
	v_cmp_ne_u16_e64 s2, 0, v7
	v_lshlrev_b16 v6, 8, v6
	s_delay_alu instid0(VALU_DEP_2) | instskip(SKIP_1) | instid1(VALU_DEP_2)
	v_cndmask_b32_e64 v7, 0, 1, s2
	v_cmp_ne_u16_e64 s2, 0, v8
	v_lshlrev_b16 v7, 8, v7
	s_delay_alu instid0(VALU_DEP_2) | instskip(SKIP_1) | instid1(VALU_DEP_3)
	v_cndmask_b32_e64 v8, 0, 1, s2
	v_cmp_lt_u64_e64 s2, 0xffff, v[2:3]
	v_or_b32_e32 v3, v9, v7
	s_delay_alu instid0(VALU_DEP_3) | instskip(NEXT) | instid1(VALU_DEP_3)
	v_or_b32_e32 v2, v8, v6
	s_or_b32 s2, vcc_lo, s2
	s_add_u32 s16, s16, s14
	s_delay_alu instid0(VALU_DEP_2) | instskip(NEXT) | instid1(VALU_DEP_2)
	v_and_b32_e32 v3, 0xffff, v3
	v_lshlrev_b32_e32 v2, 16, v2
	s_addc_u32 s17, s17, 0
	s_add_u32 s3, s3, s14
	s_addc_u32 s18, s18, 0
	s_add_u32 s12, s12, s14
	s_addc_u32 s13, s13, 0
	v_or_b32_e32 v2, v3, v2
	s_and_b32 s2, exec_lo, s2
	s_delay_alu instid0(SALU_CYCLE_1)
	s_or_b32 s15, s2, s15
	global_store_b32 v[4:5], v2, off
	s_and_not1_b32 exec_lo, exec_lo, s15
	s_cbranch_execnz .LBB332_3
.LBB332_4:
	s_or_b32 exec_lo, exec_lo, s19
	s_mov_b32 s2, 0
.LBB332_5:
	s_delay_alu instid0(SALU_CYCLE_1)
	s_and_not1_b32 vcc_lo, exec_lo, s2
	s_cbranch_vccnz .LBB332_25
; %bb.6:
	v_cmp_lt_i64_e64 s2, s[4:5], 1
	s_delay_alu instid0(VALU_DEP_1)
	s_and_b32 vcc_lo, exec_lo, s2
	s_cbranch_vccnz .LBB332_25
; %bb.7:
	s_load_b32 s0, s[0:1], 0xc5c
	v_add_co_u32 v1, s1, s10, v0
	s_delay_alu instid0(VALU_DEP_1) | instskip(SKIP_1) | instid1(VALU_DEP_3)
	v_add_co_ci_u32_e64 v2, null, s11, 0, s1
	v_cmp_gt_u64_e64 s1, 0x10000, s[4:5]
	v_add_co_u32 v9, vcc_lo, s6, v1
	s_delay_alu instid0(VALU_DEP_3)
	v_add_co_ci_u32_e32 v10, vcc_lo, s7, v2, vcc_lo
	v_add_co_u32 v11, vcc_lo, s8, v1
	v_add_co_ci_u32_e32 v12, vcc_lo, s9, v2, vcc_lo
                                        ; implicit-def: $vgpr31
                                        ; implicit-def: $vgpr32
                                        ; implicit-def: $vgpr33
                                        ; implicit-def: $vgpr34
	s_waitcnt lgkmcnt(0)
	s_and_b32 s0, s0, 0xffff
	s_and_b32 s1, s1, exec_lo
	s_mul_i32 s13, s0, 3
	s_cselect_b32 s3, s5, 0
	s_cselect_b32 s2, s4, 0x10000
	s_lshl_b32 s12, s0, 1
	s_lshl_b32 s1, s0, 2
	s_add_u32 s14, s10, s13
	s_addc_u32 s15, s11, 0
	v_add_co_u32 v3, s14, s14, v0
	s_delay_alu instid0(VALU_DEP_1) | instskip(SKIP_1) | instid1(VALU_DEP_2)
	v_add_co_ci_u32_e64 v4, null, s15, 0, s14
	s_add_u32 s10, s10, s12
	v_add_co_u32 v13, vcc_lo, s6, v3
	s_delay_alu instid0(VALU_DEP_2)
	v_add_co_ci_u32_e32 v14, vcc_lo, s7, v4, vcc_lo
	v_add_co_u32 v15, vcc_lo, s8, v3
	s_addc_u32 s11, s11, 0
	v_add_co_u32 v3, s10, s10, v0
	v_add_co_ci_u32_e32 v16, vcc_lo, s9, v4, vcc_lo
	v_add_co_ci_u32_e64 v4, null, s11, 0, s10
	s_delay_alu instid0(VALU_DEP_3) | instskip(SKIP_1) | instid1(VALU_DEP_3)
	v_add_co_u32 v19, vcc_lo, s6, v3
	v_add_co_u32 v17, s10, s13, v0
	v_add_co_ci_u32_e32 v20, vcc_lo, s7, v4, vcc_lo
	v_add_co_u32 v21, vcc_lo, s8, v3
	v_add_co_ci_u32_e32 v22, vcc_lo, s9, v4, vcc_lo
	v_add_co_u32 v1, vcc_lo, v1, s0
	v_add_co_ci_u32_e32 v2, vcc_lo, 0, v2, vcc_lo
	v_add_co_ci_u32_e64 v18, null, 0, 0, s10
	s_delay_alu instid0(VALU_DEP_3) | instskip(NEXT) | instid1(VALU_DEP_3)
	v_add_co_u32 v25, vcc_lo, s6, v1
	v_add_co_ci_u32_e32 v26, vcc_lo, s7, v2, vcc_lo
	v_add_co_u32 v23, s10, s12, v0
	v_add_co_u32 v27, vcc_lo, s8, v1
	v_add_co_u32 v29, s0, v0, s0
	v_add_co_ci_u32_e64 v24, null, 0, 0, s10
	v_add_co_ci_u32_e32 v28, vcc_lo, s9, v2, vcc_lo
	v_add_co_ci_u32_e64 v30, null, 0, 0, s0
	s_mov_b64 s[6:7], 0
	s_branch .LBB332_9
.LBB332_8:                              ;   in Loop: Header=BB332_9 Depth=1
	s_or_b32 exec_lo, exec_lo, s0
	s_add_u32 s6, s6, s1
	s_addc_u32 s7, s7, 0
	s_delay_alu instid0(SALU_CYCLE_1) | instskip(SKIP_1) | instid1(VALU_DEP_1)
	v_cmp_ge_i64_e64 s0, s[6:7], s[4:5]
	v_cmp_lt_u64_e64 s8, 0xffff, s[6:7]
	s_or_b32 s0, s0, s8
	s_delay_alu instid0(SALU_CYCLE_1)
	s_and_b32 vcc_lo, exec_lo, s0
	s_cbranch_vccnz .LBB332_25
.LBB332_9:                              ; =>This Inner Loop Header: Depth=1
	v_add_co_u32 v1, s0, v0, s6
	s_delay_alu instid0(VALU_DEP_1) | instskip(NEXT) | instid1(VALU_DEP_1)
	v_add_co_ci_u32_e64 v2, null, 0, s7, s0
	v_cmp_gt_i64_e32 vcc_lo, s[4:5], v[1:2]
	v_cmp_gt_u64_e64 s0, 0x10000, v[1:2]
	s_delay_alu instid0(VALU_DEP_1) | instskip(NEXT) | instid1(SALU_CYCLE_1)
	s_and_b32 s8, vcc_lo, s0
	s_and_saveexec_b32 s0, s8
	s_cbranch_execz .LBB332_11
; %bb.10:                               ;   in Loop: Header=BB332_9 Depth=1
	v_add_co_u32 v3, vcc_lo, v9, s6
	v_add_co_ci_u32_e32 v4, vcc_lo, s7, v10, vcc_lo
	global_load_u8 v31, v[3:4], off
.LBB332_11:                             ;   in Loop: Header=BB332_9 Depth=1
	s_or_b32 exec_lo, exec_lo, s0
	v_add_co_u32 v3, vcc_lo, v29, s6
	v_add_co_ci_u32_e32 v4, vcc_lo, s7, v30, vcc_lo
	s_delay_alu instid0(VALU_DEP_1) | instskip(SKIP_1) | instid1(VALU_DEP_1)
	v_cmp_gt_i64_e32 vcc_lo, s[4:5], v[3:4]
	v_cmp_gt_u64_e64 s0, 0x10000, v[3:4]
	s_and_b32 s8, vcc_lo, s0
	s_delay_alu instid0(SALU_CYCLE_1)
	s_and_saveexec_b32 s0, s8
	s_cbranch_execz .LBB332_13
; %bb.12:                               ;   in Loop: Header=BB332_9 Depth=1
	v_add_co_u32 v5, vcc_lo, v25, s6
	v_add_co_ci_u32_e32 v6, vcc_lo, s7, v26, vcc_lo
	global_load_u8 v32, v[5:6], off
.LBB332_13:                             ;   in Loop: Header=BB332_9 Depth=1
	s_or_b32 exec_lo, exec_lo, s0
	v_add_co_u32 v5, vcc_lo, v23, s6
	v_add_co_ci_u32_e32 v6, vcc_lo, s7, v24, vcc_lo
	s_delay_alu instid0(VALU_DEP_1) | instskip(SKIP_1) | instid1(VALU_DEP_1)
	v_cmp_gt_i64_e32 vcc_lo, s[4:5], v[5:6]
	v_cmp_gt_u64_e64 s0, 0x10000, v[5:6]
	s_and_b32 s8, vcc_lo, s0
	s_delay_alu instid0(SALU_CYCLE_1)
	;; [unrolled: 15-line block ×3, first 2 shown]
	s_and_saveexec_b32 s0, s8
	s_cbranch_execnz .LBB332_20
; %bb.16:                               ;   in Loop: Header=BB332_9 Depth=1
	s_or_b32 exec_lo, exec_lo, s0
	s_delay_alu instid0(SALU_CYCLE_1)
	s_mov_b32 s0, exec_lo
	v_cmpx_gt_u64_e64 s[2:3], v[1:2]
	s_cbranch_execnz .LBB332_21
.LBB332_17:                             ;   in Loop: Header=BB332_9 Depth=1
	s_or_b32 exec_lo, exec_lo, s0
	s_delay_alu instid0(SALU_CYCLE_1)
	s_mov_b32 s0, exec_lo
	v_cmpx_gt_u64_e64 s[2:3], v[3:4]
	s_cbranch_execnz .LBB332_22
.LBB332_18:                             ;   in Loop: Header=BB332_9 Depth=1
	s_or_b32 exec_lo, exec_lo, s0
	s_delay_alu instid0(SALU_CYCLE_1)
	s_mov_b32 s0, exec_lo
	v_cmpx_gt_u64_e64 s[2:3], v[5:6]
	s_cbranch_execnz .LBB332_23
.LBB332_19:                             ;   in Loop: Header=BB332_9 Depth=1
	s_or_b32 exec_lo, exec_lo, s0
	s_delay_alu instid0(SALU_CYCLE_1)
	s_mov_b32 s0, exec_lo
	v_cmpx_gt_u64_e64 s[2:3], v[7:8]
	s_cbranch_execz .LBB332_8
	s_branch .LBB332_24
.LBB332_20:                             ;   in Loop: Header=BB332_9 Depth=1
	s_waitcnt vmcnt(0)
	v_add_co_u32 v34, vcc_lo, v13, s6
	v_add_co_ci_u32_e32 v35, vcc_lo, s7, v14, vcc_lo
	global_load_u8 v34, v[34:35], off
	s_or_b32 exec_lo, exec_lo, s0
	s_delay_alu instid0(SALU_CYCLE_1)
	s_mov_b32 s0, exec_lo
	v_cmpx_gt_u64_e64 s[2:3], v[1:2]
	s_cbranch_execz .LBB332_17
.LBB332_21:                             ;   in Loop: Header=BB332_9 Depth=1
	s_waitcnt vmcnt(0)
	v_and_b32_e32 v35, 0xff, v31
	v_add_co_u32 v1, vcc_lo, v11, s6
	v_add_co_ci_u32_e32 v2, vcc_lo, s7, v12, vcc_lo
	s_delay_alu instid0(VALU_DEP_3) | instskip(SKIP_3) | instid1(SALU_CYCLE_1)
	v_cmp_ne_u16_e32 vcc_lo, 0, v35
	v_cndmask_b32_e64 v35, 0, 1, vcc_lo
	global_store_b8 v[1:2], v35, off
	s_or_b32 exec_lo, exec_lo, s0
	s_mov_b32 s0, exec_lo
	v_cmpx_gt_u64_e64 s[2:3], v[3:4]
	s_cbranch_execz .LBB332_18
.LBB332_22:                             ;   in Loop: Header=BB332_9 Depth=1
	s_waitcnt vmcnt(0)
	v_and_b32_e32 v1, 0xff, v32
	s_delay_alu instid0(VALU_DEP_1)
	v_cmp_ne_u16_e32 vcc_lo, 0, v1
	v_cndmask_b32_e64 v3, 0, 1, vcc_lo
	v_add_co_u32 v1, vcc_lo, v27, s6
	v_add_co_ci_u32_e32 v2, vcc_lo, s7, v28, vcc_lo
	global_store_b8 v[1:2], v3, off
	s_or_b32 exec_lo, exec_lo, s0
	s_delay_alu instid0(SALU_CYCLE_1)
	s_mov_b32 s0, exec_lo
	v_cmpx_gt_u64_e64 s[2:3], v[5:6]
	s_cbranch_execz .LBB332_19
.LBB332_23:                             ;   in Loop: Header=BB332_9 Depth=1
	s_waitcnt vmcnt(0)
	v_and_b32_e32 v1, 0xff, v33
	s_delay_alu instid0(VALU_DEP_1)
	v_cmp_ne_u16_e32 vcc_lo, 0, v1
	v_cndmask_b32_e64 v3, 0, 1, vcc_lo
	v_add_co_u32 v1, vcc_lo, v21, s6
	v_add_co_ci_u32_e32 v2, vcc_lo, s7, v22, vcc_lo
	global_store_b8 v[1:2], v3, off
	s_or_b32 exec_lo, exec_lo, s0
	s_delay_alu instid0(SALU_CYCLE_1)
	s_mov_b32 s0, exec_lo
	v_cmpx_gt_u64_e64 s[2:3], v[7:8]
	s_cbranch_execz .LBB332_8
.LBB332_24:                             ;   in Loop: Header=BB332_9 Depth=1
	s_waitcnt vmcnt(0)
	v_and_b32_e32 v1, 0xff, v34
	s_delay_alu instid0(VALU_DEP_1)
	v_cmp_ne_u16_e32 vcc_lo, 0, v1
	v_cndmask_b32_e64 v3, 0, 1, vcc_lo
	v_add_co_u32 v1, vcc_lo, v15, s6
	v_add_co_ci_u32_e32 v2, vcc_lo, s7, v16, vcc_lo
	global_store_b8 v[1:2], v3, off
	s_branch .LBB332_8
.LBB332_25:
	s_nop 0
	s_sendmsg sendmsg(MSG_DEALLOC_VGPRS)
	s_endpgm
	.section	.rodata,"a",@progbits
	.p2align	6, 0x0
	.amdhsa_kernel _ZN2at6native12_GLOBAL__N_125multi_tensor_apply_kernelINS1_18TensorListMetadataILi2EEENS1_11CopyFunctorIbhLi2ELi1ELi1EEEJNS0_4CopyIbhEEEEEvT_T0_DpT1_
		.amdhsa_group_segment_fixed_size 0
		.amdhsa_private_segment_fixed_size 0
		.amdhsa_kernarg_size 3408
		.amdhsa_user_sgpr_count 15
		.amdhsa_user_sgpr_dispatch_ptr 0
		.amdhsa_user_sgpr_queue_ptr 0
		.amdhsa_user_sgpr_kernarg_segment_ptr 1
		.amdhsa_user_sgpr_dispatch_id 0
		.amdhsa_user_sgpr_private_segment_size 0
		.amdhsa_wavefront_size32 1
		.amdhsa_uses_dynamic_stack 0
		.amdhsa_enable_private_segment 0
		.amdhsa_system_sgpr_workgroup_id_x 1
		.amdhsa_system_sgpr_workgroup_id_y 0
		.amdhsa_system_sgpr_workgroup_id_z 0
		.amdhsa_system_sgpr_workgroup_info 0
		.amdhsa_system_vgpr_workitem_id 0
		.amdhsa_next_free_vgpr 36
		.amdhsa_next_free_sgpr 20
		.amdhsa_reserve_vcc 1
		.amdhsa_float_round_mode_32 0
		.amdhsa_float_round_mode_16_64 0
		.amdhsa_float_denorm_mode_32 3
		.amdhsa_float_denorm_mode_16_64 3
		.amdhsa_dx10_clamp 1
		.amdhsa_ieee_mode 1
		.amdhsa_fp16_overflow 0
		.amdhsa_workgroup_processor_mode 1
		.amdhsa_memory_ordered 1
		.amdhsa_forward_progress 0
		.amdhsa_shared_vgpr_count 0
		.amdhsa_exception_fp_ieee_invalid_op 0
		.amdhsa_exception_fp_denorm_src 0
		.amdhsa_exception_fp_ieee_div_zero 0
		.amdhsa_exception_fp_ieee_overflow 0
		.amdhsa_exception_fp_ieee_underflow 0
		.amdhsa_exception_fp_ieee_inexact 0
		.amdhsa_exception_int_div_zero 0
	.end_amdhsa_kernel
	.section	.text._ZN2at6native12_GLOBAL__N_125multi_tensor_apply_kernelINS1_18TensorListMetadataILi2EEENS1_11CopyFunctorIbhLi2ELi1ELi1EEEJNS0_4CopyIbhEEEEEvT_T0_DpT1_,"axG",@progbits,_ZN2at6native12_GLOBAL__N_125multi_tensor_apply_kernelINS1_18TensorListMetadataILi2EEENS1_11CopyFunctorIbhLi2ELi1ELi1EEEJNS0_4CopyIbhEEEEEvT_T0_DpT1_,comdat
.Lfunc_end332:
	.size	_ZN2at6native12_GLOBAL__N_125multi_tensor_apply_kernelINS1_18TensorListMetadataILi2EEENS1_11CopyFunctorIbhLi2ELi1ELi1EEEJNS0_4CopyIbhEEEEEvT_T0_DpT1_, .Lfunc_end332-_ZN2at6native12_GLOBAL__N_125multi_tensor_apply_kernelINS1_18TensorListMetadataILi2EEENS1_11CopyFunctorIbhLi2ELi1ELi1EEEJNS0_4CopyIbhEEEEEvT_T0_DpT1_
                                        ; -- End function
	.section	.AMDGPU.csdata,"",@progbits
; Kernel info:
; codeLenInByte = 1628
; NumSgprs: 22
; NumVgprs: 36
; ScratchSize: 0
; MemoryBound: 0
; FloatMode: 240
; IeeeMode: 1
; LDSByteSize: 0 bytes/workgroup (compile time only)
; SGPRBlocks: 2
; VGPRBlocks: 4
; NumSGPRsForWavesPerEU: 22
; NumVGPRsForWavesPerEU: 36
; Occupancy: 16
; WaveLimiterHint : 0
; COMPUTE_PGM_RSRC2:SCRATCH_EN: 0
; COMPUTE_PGM_RSRC2:USER_SGPR: 15
; COMPUTE_PGM_RSRC2:TRAP_HANDLER: 0
; COMPUTE_PGM_RSRC2:TGID_X_EN: 1
; COMPUTE_PGM_RSRC2:TGID_Y_EN: 0
; COMPUTE_PGM_RSRC2:TGID_Z_EN: 0
; COMPUTE_PGM_RSRC2:TIDIG_COMP_CNT: 0
	.section	.text._ZN2at6native12_GLOBAL__N_125multi_tensor_apply_kernelINS1_18TensorListMetadataILi2EEENS1_11CopyFunctorIbaLi2ELi1ELi1EEEJNS0_4CopyIbaEEEEEvT_T0_DpT1_,"axG",@progbits,_ZN2at6native12_GLOBAL__N_125multi_tensor_apply_kernelINS1_18TensorListMetadataILi2EEENS1_11CopyFunctorIbaLi2ELi1ELi1EEEJNS0_4CopyIbaEEEEEvT_T0_DpT1_,comdat
	.globl	_ZN2at6native12_GLOBAL__N_125multi_tensor_apply_kernelINS1_18TensorListMetadataILi2EEENS1_11CopyFunctorIbaLi2ELi1ELi1EEEJNS0_4CopyIbaEEEEEvT_T0_DpT1_ ; -- Begin function _ZN2at6native12_GLOBAL__N_125multi_tensor_apply_kernelINS1_18TensorListMetadataILi2EEENS1_11CopyFunctorIbaLi2ELi1ELi1EEEJNS0_4CopyIbaEEEEEvT_T0_DpT1_
	.p2align	8
	.type	_ZN2at6native12_GLOBAL__N_125multi_tensor_apply_kernelINS1_18TensorListMetadataILi2EEENS1_11CopyFunctorIbaLi2ELi1ELi1EEEJNS0_4CopyIbaEEEEEvT_T0_DpT1_,@function
_ZN2at6native12_GLOBAL__N_125multi_tensor_apply_kernelINS1_18TensorListMetadataILi2EEENS1_11CopyFunctorIbaLi2ELi1ELi1EEEJNS0_4CopyIbaEEEEEvT_T0_DpT1_: ; @_ZN2at6native12_GLOBAL__N_125multi_tensor_apply_kernelINS1_18TensorListMetadataILi2EEENS1_11CopyFunctorIbaLi2ELi1ELi1EEEJNS0_4CopyIbaEEEEEvT_T0_DpT1_
; %bb.0:
	v_mov_b32_e32 v1, s15
	s_add_u32 s2, s0, s15
	s_mul_i32 s4, s15, 3
	s_addc_u32 s3, s1, 0
	s_mul_hi_u32 s5, s15, 3
	global_load_u8 v1, v1, s[0:1] offset:1536
	s_add_u32 s2, s2, s4
	s_addc_u32 s3, s3, s5
	s_load_b32 s2, s[2:3], 0x740
	s_waitcnt vmcnt(0)
	v_readfirstlane_b32 s4, v1
	s_delay_alu instid0(VALU_DEP_1)
	s_lshl_b32 s3, s4, 3
	s_clause 0x2
	s_load_b64 s[6:7], s[0:1], s3 offset:0x0
	s_load_b64 s[8:9], s[0:1], s3 offset:0x200
	;; [unrolled: 1-line block ×3, first 2 shown]
	s_waitcnt lgkmcnt(0)
	s_ashr_i32 s3, s2, 31
	s_delay_alu instid0(SALU_CYCLE_1) | instskip(NEXT) | instid1(SALU_CYCLE_1)
	s_lshl_b64 s[10:11], s[2:3], 16
	s_add_u32 s3, s6, s10
	s_addc_u32 s18, s7, s11
	s_add_u32 s12, s8, s10
	s_addc_u32 s13, s9, s11
	s_delay_alu instid0(SALU_CYCLE_1) | instskip(NEXT) | instid1(SALU_CYCLE_1)
	s_or_b64 s[14:15], s[4:5], s[12:13]
	s_or_b32 s2, s3, s14
	s_delay_alu instid0(SALU_CYCLE_1)
	s_and_b32 s2, s2, 3
	s_sub_u32 s4, s4, s10
	s_subb_u32 s5, s5, s11
	s_cmp_eq_u32 s2, 0
	s_mov_b32 s2, -1
	s_cbranch_scc0 .LBB333_5
; %bb.1:
	v_dual_mov_b32 v2, 0 :: v_dual_lshlrev_b32 v1, 2, v0
	s_mov_b32 s19, exec_lo
	s_delay_alu instid0(VALU_DEP_1)
	v_cmpx_gt_i64_e64 s[4:5], v[1:2]
	s_cbranch_execz .LBB333_4
; %bb.2:
	s_load_b32 s2, s[0:1], 0xc5c
	s_mov_b32 s15, 0
	s_waitcnt lgkmcnt(0)
	s_and_b32 s2, s2, 0xffff
	s_delay_alu instid0(SALU_CYCLE_1) | instskip(NEXT) | instid1(SALU_CYCLE_1)
	s_lshl_b32 s14, s2, 2
	s_mov_b64 s[16:17], s[14:15]
.LBB333_3:                              ; =>This Inner Loop Header: Depth=1
	v_add_co_u32 v2, s2, s3, v1
	s_delay_alu instid0(VALU_DEP_1) | instskip(SKIP_2) | instid1(VALU_DEP_1)
	v_add_co_ci_u32_e64 v3, null, s18, 0, s2
	global_load_b32 v6, v[2:3], off
	v_add_co_u32 v2, s2, v1, s16
	v_add_co_ci_u32_e64 v3, null, 0, s17, s2
	v_add_co_u32 v4, s2, s12, v1
	s_delay_alu instid0(VALU_DEP_1) | instskip(NEXT) | instid1(VALU_DEP_3)
	v_add_co_ci_u32_e64 v5, null, s13, 0, s2
	v_cmp_le_i64_e32 vcc_lo, s[4:5], v[2:3]
	s_waitcnt vmcnt(0)
	v_and_b32_e32 v9, 0xff, v6
	v_lshrrev_b32_e32 v7, 8, v6
	v_lshrrev_b32_e32 v8, 16, v6
	;; [unrolled: 1-line block ×3, first 2 shown]
	s_delay_alu instid0(VALU_DEP_4) | instskip(NEXT) | instid1(VALU_DEP_4)
	v_cmp_ne_u16_e64 s2, 0, v9
	v_and_b32_e32 v7, 0xff, v7
	s_delay_alu instid0(VALU_DEP_4) | instskip(NEXT) | instid1(VALU_DEP_3)
	v_and_b32_e32 v8, 0xff, v8
	v_cndmask_b32_e64 v9, 0, 1, s2
	v_cmp_ne_u16_e64 s2, 0, v6
	s_delay_alu instid0(VALU_DEP_1) | instskip(SKIP_1) | instid1(VALU_DEP_2)
	v_cndmask_b32_e64 v6, 0, 1, s2
	v_cmp_ne_u16_e64 s2, 0, v7
	v_lshlrev_b16 v6, 8, v6
	s_delay_alu instid0(VALU_DEP_2) | instskip(SKIP_1) | instid1(VALU_DEP_2)
	v_cndmask_b32_e64 v7, 0, 1, s2
	v_cmp_ne_u16_e64 s2, 0, v8
	v_lshlrev_b16 v7, 8, v7
	s_delay_alu instid0(VALU_DEP_2) | instskip(SKIP_1) | instid1(VALU_DEP_3)
	v_cndmask_b32_e64 v8, 0, 1, s2
	v_cmp_lt_u64_e64 s2, 0xffff, v[2:3]
	v_or_b32_e32 v3, v9, v7
	s_delay_alu instid0(VALU_DEP_3) | instskip(NEXT) | instid1(VALU_DEP_3)
	v_or_b32_e32 v2, v8, v6
	s_or_b32 s2, vcc_lo, s2
	s_add_u32 s16, s16, s14
	s_delay_alu instid0(VALU_DEP_2) | instskip(NEXT) | instid1(VALU_DEP_2)
	v_and_b32_e32 v3, 0xffff, v3
	v_lshlrev_b32_e32 v2, 16, v2
	s_addc_u32 s17, s17, 0
	s_add_u32 s3, s3, s14
	s_addc_u32 s18, s18, 0
	s_add_u32 s12, s12, s14
	s_addc_u32 s13, s13, 0
	v_or_b32_e32 v2, v3, v2
	s_and_b32 s2, exec_lo, s2
	s_delay_alu instid0(SALU_CYCLE_1)
	s_or_b32 s15, s2, s15
	global_store_b32 v[4:5], v2, off
	s_and_not1_b32 exec_lo, exec_lo, s15
	s_cbranch_execnz .LBB333_3
.LBB333_4:
	s_or_b32 exec_lo, exec_lo, s19
	s_mov_b32 s2, 0
.LBB333_5:
	s_delay_alu instid0(SALU_CYCLE_1)
	s_and_not1_b32 vcc_lo, exec_lo, s2
	s_cbranch_vccnz .LBB333_25
; %bb.6:
	v_cmp_lt_i64_e64 s2, s[4:5], 1
	s_delay_alu instid0(VALU_DEP_1)
	s_and_b32 vcc_lo, exec_lo, s2
	s_cbranch_vccnz .LBB333_25
; %bb.7:
	s_load_b32 s0, s[0:1], 0xc5c
	v_add_co_u32 v1, s1, s10, v0
	s_delay_alu instid0(VALU_DEP_1) | instskip(SKIP_1) | instid1(VALU_DEP_3)
	v_add_co_ci_u32_e64 v2, null, s11, 0, s1
	v_cmp_gt_u64_e64 s1, 0x10000, s[4:5]
	v_add_co_u32 v9, vcc_lo, s6, v1
	s_delay_alu instid0(VALU_DEP_3)
	v_add_co_ci_u32_e32 v10, vcc_lo, s7, v2, vcc_lo
	v_add_co_u32 v11, vcc_lo, s8, v1
	v_add_co_ci_u32_e32 v12, vcc_lo, s9, v2, vcc_lo
                                        ; implicit-def: $vgpr31
                                        ; implicit-def: $vgpr32
                                        ; implicit-def: $vgpr33
                                        ; implicit-def: $vgpr34
	s_waitcnt lgkmcnt(0)
	s_and_b32 s0, s0, 0xffff
	s_and_b32 s1, s1, exec_lo
	s_mul_i32 s13, s0, 3
	s_cselect_b32 s3, s5, 0
	s_cselect_b32 s2, s4, 0x10000
	s_lshl_b32 s12, s0, 1
	s_lshl_b32 s1, s0, 2
	s_add_u32 s14, s10, s13
	s_addc_u32 s15, s11, 0
	v_add_co_u32 v3, s14, s14, v0
	s_delay_alu instid0(VALU_DEP_1) | instskip(SKIP_1) | instid1(VALU_DEP_2)
	v_add_co_ci_u32_e64 v4, null, s15, 0, s14
	s_add_u32 s10, s10, s12
	v_add_co_u32 v13, vcc_lo, s6, v3
	s_delay_alu instid0(VALU_DEP_2)
	v_add_co_ci_u32_e32 v14, vcc_lo, s7, v4, vcc_lo
	v_add_co_u32 v15, vcc_lo, s8, v3
	s_addc_u32 s11, s11, 0
	v_add_co_u32 v3, s10, s10, v0
	v_add_co_ci_u32_e32 v16, vcc_lo, s9, v4, vcc_lo
	v_add_co_ci_u32_e64 v4, null, s11, 0, s10
	s_delay_alu instid0(VALU_DEP_3) | instskip(SKIP_1) | instid1(VALU_DEP_3)
	v_add_co_u32 v19, vcc_lo, s6, v3
	v_add_co_u32 v17, s10, s13, v0
	v_add_co_ci_u32_e32 v20, vcc_lo, s7, v4, vcc_lo
	v_add_co_u32 v21, vcc_lo, s8, v3
	v_add_co_ci_u32_e32 v22, vcc_lo, s9, v4, vcc_lo
	v_add_co_u32 v1, vcc_lo, v1, s0
	v_add_co_ci_u32_e32 v2, vcc_lo, 0, v2, vcc_lo
	v_add_co_ci_u32_e64 v18, null, 0, 0, s10
	s_delay_alu instid0(VALU_DEP_3) | instskip(NEXT) | instid1(VALU_DEP_3)
	v_add_co_u32 v25, vcc_lo, s6, v1
	v_add_co_ci_u32_e32 v26, vcc_lo, s7, v2, vcc_lo
	v_add_co_u32 v23, s10, s12, v0
	v_add_co_u32 v27, vcc_lo, s8, v1
	v_add_co_u32 v29, s0, v0, s0
	v_add_co_ci_u32_e64 v24, null, 0, 0, s10
	v_add_co_ci_u32_e32 v28, vcc_lo, s9, v2, vcc_lo
	v_add_co_ci_u32_e64 v30, null, 0, 0, s0
	s_mov_b64 s[6:7], 0
	s_branch .LBB333_9
.LBB333_8:                              ;   in Loop: Header=BB333_9 Depth=1
	s_or_b32 exec_lo, exec_lo, s0
	s_add_u32 s6, s6, s1
	s_addc_u32 s7, s7, 0
	s_delay_alu instid0(SALU_CYCLE_1) | instskip(SKIP_1) | instid1(VALU_DEP_1)
	v_cmp_ge_i64_e64 s0, s[6:7], s[4:5]
	v_cmp_lt_u64_e64 s8, 0xffff, s[6:7]
	s_or_b32 s0, s0, s8
	s_delay_alu instid0(SALU_CYCLE_1)
	s_and_b32 vcc_lo, exec_lo, s0
	s_cbranch_vccnz .LBB333_25
.LBB333_9:                              ; =>This Inner Loop Header: Depth=1
	v_add_co_u32 v1, s0, v0, s6
	s_delay_alu instid0(VALU_DEP_1) | instskip(NEXT) | instid1(VALU_DEP_1)
	v_add_co_ci_u32_e64 v2, null, 0, s7, s0
	v_cmp_gt_i64_e32 vcc_lo, s[4:5], v[1:2]
	v_cmp_gt_u64_e64 s0, 0x10000, v[1:2]
	s_delay_alu instid0(VALU_DEP_1) | instskip(NEXT) | instid1(SALU_CYCLE_1)
	s_and_b32 s8, vcc_lo, s0
	s_and_saveexec_b32 s0, s8
	s_cbranch_execz .LBB333_11
; %bb.10:                               ;   in Loop: Header=BB333_9 Depth=1
	v_add_co_u32 v3, vcc_lo, v9, s6
	v_add_co_ci_u32_e32 v4, vcc_lo, s7, v10, vcc_lo
	global_load_u8 v31, v[3:4], off
.LBB333_11:                             ;   in Loop: Header=BB333_9 Depth=1
	s_or_b32 exec_lo, exec_lo, s0
	v_add_co_u32 v3, vcc_lo, v29, s6
	v_add_co_ci_u32_e32 v4, vcc_lo, s7, v30, vcc_lo
	s_delay_alu instid0(VALU_DEP_1) | instskip(SKIP_1) | instid1(VALU_DEP_1)
	v_cmp_gt_i64_e32 vcc_lo, s[4:5], v[3:4]
	v_cmp_gt_u64_e64 s0, 0x10000, v[3:4]
	s_and_b32 s8, vcc_lo, s0
	s_delay_alu instid0(SALU_CYCLE_1)
	s_and_saveexec_b32 s0, s8
	s_cbranch_execz .LBB333_13
; %bb.12:                               ;   in Loop: Header=BB333_9 Depth=1
	v_add_co_u32 v5, vcc_lo, v25, s6
	v_add_co_ci_u32_e32 v6, vcc_lo, s7, v26, vcc_lo
	global_load_u8 v32, v[5:6], off
.LBB333_13:                             ;   in Loop: Header=BB333_9 Depth=1
	s_or_b32 exec_lo, exec_lo, s0
	v_add_co_u32 v5, vcc_lo, v23, s6
	v_add_co_ci_u32_e32 v6, vcc_lo, s7, v24, vcc_lo
	s_delay_alu instid0(VALU_DEP_1) | instskip(SKIP_1) | instid1(VALU_DEP_1)
	v_cmp_gt_i64_e32 vcc_lo, s[4:5], v[5:6]
	v_cmp_gt_u64_e64 s0, 0x10000, v[5:6]
	s_and_b32 s8, vcc_lo, s0
	s_delay_alu instid0(SALU_CYCLE_1)
	s_and_saveexec_b32 s0, s8
	s_cbranch_execz .LBB333_15
; %bb.14:                               ;   in Loop: Header=BB333_9 Depth=1
	v_add_co_u32 v7, vcc_lo, v19, s6
	v_add_co_ci_u32_e32 v8, vcc_lo, s7, v20, vcc_lo
	global_load_u8 v33, v[7:8], off
.LBB333_15:                             ;   in Loop: Header=BB333_9 Depth=1
	s_or_b32 exec_lo, exec_lo, s0
	v_add_co_u32 v7, vcc_lo, v17, s6
	v_add_co_ci_u32_e32 v8, vcc_lo, s7, v18, vcc_lo
	s_delay_alu instid0(VALU_DEP_1) | instskip(SKIP_1) | instid1(VALU_DEP_1)
	v_cmp_gt_i64_e32 vcc_lo, s[4:5], v[7:8]
	v_cmp_gt_u64_e64 s0, 0x10000, v[7:8]
	s_and_b32 s8, vcc_lo, s0
	s_delay_alu instid0(SALU_CYCLE_1)
	s_and_saveexec_b32 s0, s8
	s_cbranch_execnz .LBB333_20
; %bb.16:                               ;   in Loop: Header=BB333_9 Depth=1
	s_or_b32 exec_lo, exec_lo, s0
	s_delay_alu instid0(SALU_CYCLE_1)
	s_mov_b32 s0, exec_lo
	v_cmpx_gt_u64_e64 s[2:3], v[1:2]
	s_cbranch_execnz .LBB333_21
.LBB333_17:                             ;   in Loop: Header=BB333_9 Depth=1
	s_or_b32 exec_lo, exec_lo, s0
	s_delay_alu instid0(SALU_CYCLE_1)
	s_mov_b32 s0, exec_lo
	v_cmpx_gt_u64_e64 s[2:3], v[3:4]
	s_cbranch_execnz .LBB333_22
.LBB333_18:                             ;   in Loop: Header=BB333_9 Depth=1
	s_or_b32 exec_lo, exec_lo, s0
	s_delay_alu instid0(SALU_CYCLE_1)
	s_mov_b32 s0, exec_lo
	v_cmpx_gt_u64_e64 s[2:3], v[5:6]
	s_cbranch_execnz .LBB333_23
.LBB333_19:                             ;   in Loop: Header=BB333_9 Depth=1
	s_or_b32 exec_lo, exec_lo, s0
	s_delay_alu instid0(SALU_CYCLE_1)
	s_mov_b32 s0, exec_lo
	v_cmpx_gt_u64_e64 s[2:3], v[7:8]
	s_cbranch_execz .LBB333_8
	s_branch .LBB333_24
.LBB333_20:                             ;   in Loop: Header=BB333_9 Depth=1
	s_waitcnt vmcnt(0)
	v_add_co_u32 v34, vcc_lo, v13, s6
	v_add_co_ci_u32_e32 v35, vcc_lo, s7, v14, vcc_lo
	global_load_u8 v34, v[34:35], off
	s_or_b32 exec_lo, exec_lo, s0
	s_delay_alu instid0(SALU_CYCLE_1)
	s_mov_b32 s0, exec_lo
	v_cmpx_gt_u64_e64 s[2:3], v[1:2]
	s_cbranch_execz .LBB333_17
.LBB333_21:                             ;   in Loop: Header=BB333_9 Depth=1
	s_waitcnt vmcnt(0)
	v_and_b32_e32 v35, 0xff, v31
	v_add_co_u32 v1, vcc_lo, v11, s6
	v_add_co_ci_u32_e32 v2, vcc_lo, s7, v12, vcc_lo
	s_delay_alu instid0(VALU_DEP_3) | instskip(SKIP_3) | instid1(SALU_CYCLE_1)
	v_cmp_ne_u16_e32 vcc_lo, 0, v35
	v_cndmask_b32_e64 v35, 0, 1, vcc_lo
	global_store_b8 v[1:2], v35, off
	s_or_b32 exec_lo, exec_lo, s0
	s_mov_b32 s0, exec_lo
	v_cmpx_gt_u64_e64 s[2:3], v[3:4]
	s_cbranch_execz .LBB333_18
.LBB333_22:                             ;   in Loop: Header=BB333_9 Depth=1
	s_waitcnt vmcnt(0)
	v_and_b32_e32 v1, 0xff, v32
	s_delay_alu instid0(VALU_DEP_1)
	v_cmp_ne_u16_e32 vcc_lo, 0, v1
	v_cndmask_b32_e64 v3, 0, 1, vcc_lo
	v_add_co_u32 v1, vcc_lo, v27, s6
	v_add_co_ci_u32_e32 v2, vcc_lo, s7, v28, vcc_lo
	global_store_b8 v[1:2], v3, off
	s_or_b32 exec_lo, exec_lo, s0
	s_delay_alu instid0(SALU_CYCLE_1)
	s_mov_b32 s0, exec_lo
	v_cmpx_gt_u64_e64 s[2:3], v[5:6]
	s_cbranch_execz .LBB333_19
.LBB333_23:                             ;   in Loop: Header=BB333_9 Depth=1
	s_waitcnt vmcnt(0)
	v_and_b32_e32 v1, 0xff, v33
	s_delay_alu instid0(VALU_DEP_1)
	v_cmp_ne_u16_e32 vcc_lo, 0, v1
	v_cndmask_b32_e64 v3, 0, 1, vcc_lo
	v_add_co_u32 v1, vcc_lo, v21, s6
	v_add_co_ci_u32_e32 v2, vcc_lo, s7, v22, vcc_lo
	global_store_b8 v[1:2], v3, off
	s_or_b32 exec_lo, exec_lo, s0
	s_delay_alu instid0(SALU_CYCLE_1)
	s_mov_b32 s0, exec_lo
	v_cmpx_gt_u64_e64 s[2:3], v[7:8]
	s_cbranch_execz .LBB333_8
.LBB333_24:                             ;   in Loop: Header=BB333_9 Depth=1
	s_waitcnt vmcnt(0)
	v_and_b32_e32 v1, 0xff, v34
	s_delay_alu instid0(VALU_DEP_1)
	v_cmp_ne_u16_e32 vcc_lo, 0, v1
	v_cndmask_b32_e64 v3, 0, 1, vcc_lo
	v_add_co_u32 v1, vcc_lo, v15, s6
	v_add_co_ci_u32_e32 v2, vcc_lo, s7, v16, vcc_lo
	global_store_b8 v[1:2], v3, off
	s_branch .LBB333_8
.LBB333_25:
	s_nop 0
	s_sendmsg sendmsg(MSG_DEALLOC_VGPRS)
	s_endpgm
	.section	.rodata,"a",@progbits
	.p2align	6, 0x0
	.amdhsa_kernel _ZN2at6native12_GLOBAL__N_125multi_tensor_apply_kernelINS1_18TensorListMetadataILi2EEENS1_11CopyFunctorIbaLi2ELi1ELi1EEEJNS0_4CopyIbaEEEEEvT_T0_DpT1_
		.amdhsa_group_segment_fixed_size 0
		.amdhsa_private_segment_fixed_size 0
		.amdhsa_kernarg_size 3408
		.amdhsa_user_sgpr_count 15
		.amdhsa_user_sgpr_dispatch_ptr 0
		.amdhsa_user_sgpr_queue_ptr 0
		.amdhsa_user_sgpr_kernarg_segment_ptr 1
		.amdhsa_user_sgpr_dispatch_id 0
		.amdhsa_user_sgpr_private_segment_size 0
		.amdhsa_wavefront_size32 1
		.amdhsa_uses_dynamic_stack 0
		.amdhsa_enable_private_segment 0
		.amdhsa_system_sgpr_workgroup_id_x 1
		.amdhsa_system_sgpr_workgroup_id_y 0
		.amdhsa_system_sgpr_workgroup_id_z 0
		.amdhsa_system_sgpr_workgroup_info 0
		.amdhsa_system_vgpr_workitem_id 0
		.amdhsa_next_free_vgpr 36
		.amdhsa_next_free_sgpr 20
		.amdhsa_reserve_vcc 1
		.amdhsa_float_round_mode_32 0
		.amdhsa_float_round_mode_16_64 0
		.amdhsa_float_denorm_mode_32 3
		.amdhsa_float_denorm_mode_16_64 3
		.amdhsa_dx10_clamp 1
		.amdhsa_ieee_mode 1
		.amdhsa_fp16_overflow 0
		.amdhsa_workgroup_processor_mode 1
		.amdhsa_memory_ordered 1
		.amdhsa_forward_progress 0
		.amdhsa_shared_vgpr_count 0
		.amdhsa_exception_fp_ieee_invalid_op 0
		.amdhsa_exception_fp_denorm_src 0
		.amdhsa_exception_fp_ieee_div_zero 0
		.amdhsa_exception_fp_ieee_overflow 0
		.amdhsa_exception_fp_ieee_underflow 0
		.amdhsa_exception_fp_ieee_inexact 0
		.amdhsa_exception_int_div_zero 0
	.end_amdhsa_kernel
	.section	.text._ZN2at6native12_GLOBAL__N_125multi_tensor_apply_kernelINS1_18TensorListMetadataILi2EEENS1_11CopyFunctorIbaLi2ELi1ELi1EEEJNS0_4CopyIbaEEEEEvT_T0_DpT1_,"axG",@progbits,_ZN2at6native12_GLOBAL__N_125multi_tensor_apply_kernelINS1_18TensorListMetadataILi2EEENS1_11CopyFunctorIbaLi2ELi1ELi1EEEJNS0_4CopyIbaEEEEEvT_T0_DpT1_,comdat
.Lfunc_end333:
	.size	_ZN2at6native12_GLOBAL__N_125multi_tensor_apply_kernelINS1_18TensorListMetadataILi2EEENS1_11CopyFunctorIbaLi2ELi1ELi1EEEJNS0_4CopyIbaEEEEEvT_T0_DpT1_, .Lfunc_end333-_ZN2at6native12_GLOBAL__N_125multi_tensor_apply_kernelINS1_18TensorListMetadataILi2EEENS1_11CopyFunctorIbaLi2ELi1ELi1EEEJNS0_4CopyIbaEEEEEvT_T0_DpT1_
                                        ; -- End function
	.section	.AMDGPU.csdata,"",@progbits
; Kernel info:
; codeLenInByte = 1628
; NumSgprs: 22
; NumVgprs: 36
; ScratchSize: 0
; MemoryBound: 0
; FloatMode: 240
; IeeeMode: 1
; LDSByteSize: 0 bytes/workgroup (compile time only)
; SGPRBlocks: 2
; VGPRBlocks: 4
; NumSGPRsForWavesPerEU: 22
; NumVGPRsForWavesPerEU: 36
; Occupancy: 16
; WaveLimiterHint : 0
; COMPUTE_PGM_RSRC2:SCRATCH_EN: 0
; COMPUTE_PGM_RSRC2:USER_SGPR: 15
; COMPUTE_PGM_RSRC2:TRAP_HANDLER: 0
; COMPUTE_PGM_RSRC2:TGID_X_EN: 1
; COMPUTE_PGM_RSRC2:TGID_Y_EN: 0
; COMPUTE_PGM_RSRC2:TGID_Z_EN: 0
; COMPUTE_PGM_RSRC2:TIDIG_COMP_CNT: 0
	.section	.text._ZN2at6native12_GLOBAL__N_125multi_tensor_apply_kernelINS1_18TensorListMetadataILi2EEENS1_11CopyFunctorIblLi2ELi1ELi1EEEJNS0_4CopyIblEEEEEvT_T0_DpT1_,"axG",@progbits,_ZN2at6native12_GLOBAL__N_125multi_tensor_apply_kernelINS1_18TensorListMetadataILi2EEENS1_11CopyFunctorIblLi2ELi1ELi1EEEJNS0_4CopyIblEEEEEvT_T0_DpT1_,comdat
	.globl	_ZN2at6native12_GLOBAL__N_125multi_tensor_apply_kernelINS1_18TensorListMetadataILi2EEENS1_11CopyFunctorIblLi2ELi1ELi1EEEJNS0_4CopyIblEEEEEvT_T0_DpT1_ ; -- Begin function _ZN2at6native12_GLOBAL__N_125multi_tensor_apply_kernelINS1_18TensorListMetadataILi2EEENS1_11CopyFunctorIblLi2ELi1ELi1EEEJNS0_4CopyIblEEEEEvT_T0_DpT1_
	.p2align	8
	.type	_ZN2at6native12_GLOBAL__N_125multi_tensor_apply_kernelINS1_18TensorListMetadataILi2EEENS1_11CopyFunctorIblLi2ELi1ELi1EEEJNS0_4CopyIblEEEEEvT_T0_DpT1_,@function
_ZN2at6native12_GLOBAL__N_125multi_tensor_apply_kernelINS1_18TensorListMetadataILi2EEENS1_11CopyFunctorIblLi2ELi1ELi1EEEJNS0_4CopyIblEEEEEvT_T0_DpT1_: ; @_ZN2at6native12_GLOBAL__N_125multi_tensor_apply_kernelINS1_18TensorListMetadataILi2EEENS1_11CopyFunctorIblLi2ELi1ELi1EEEJNS0_4CopyIblEEEEEvT_T0_DpT1_
; %bb.0:
	v_mov_b32_e32 v1, s15
	s_add_u32 s2, s0, s15
	s_mul_i32 s4, s15, 3
	s_addc_u32 s3, s1, 0
	s_mul_hi_u32 s5, s15, 3
	global_load_u8 v1, v1, s[0:1] offset:1536
	s_add_u32 s2, s2, s4
	s_addc_u32 s3, s3, s5
	s_mov_b32 s17, 0
	s_load_b32 s10, s[2:3], 0x740
	s_waitcnt lgkmcnt(0)
	s_ashr_i32 s11, s10, 31
	s_delay_alu instid0(SALU_CYCLE_1) | instskip(SKIP_2) | instid1(VALU_DEP_1)
	s_lshl_b64 s[8:9], s[10:11], 16
	s_waitcnt vmcnt(0)
	v_readfirstlane_b32 s4, v1
	s_lshl_b32 s4, s4, 3
	s_clause 0x2
	s_load_b64 s[6:7], s[0:1], s4 offset:0x200
	s_load_b64 s[2:3], s[0:1], s4 offset:0x400
	;; [unrolled: 1-line block ×3, first 2 shown]
	s_waitcnt lgkmcnt(0)
	s_add_u32 s14, s6, s8
	s_addc_u32 s15, s7, s9
	s_delay_alu instid0(SALU_CYCLE_1) | instskip(SKIP_2) | instid1(SALU_CYCLE_1)
	s_or_b64 s[4:5], s[2:3], s[14:15]
	s_and_b32 s5, s12, 31
	s_and_b32 s4, s4, 3
	s_or_b32 s16, s4, s5
	s_sub_u32 s4, s2, s8
	s_subb_u32 s5, s3, s9
	s_cmp_eq_u64 s[16:17], 0
	s_mov_b32 s2, -1
	s_cbranch_scc0 .LBB334_5
; %bb.1:
	v_dual_mov_b32 v2, 0 :: v_dual_lshlrev_b32 v1, 2, v0
	s_mov_b32 s16, exec_lo
	s_delay_alu instid0(VALU_DEP_1)
	v_cmpx_gt_i64_e64 s[4:5], v[1:2]
	s_cbranch_execz .LBB334_4
; %bb.2:
	s_load_b32 s17, s[0:1], 0xc5c
	v_lshlrev_b32_e32 v3, 5, v0
	s_lshl_b64 s[2:3], s[10:11], 19
	s_mov_b32 s18, 0
	s_waitcnt lgkmcnt(0)
	s_and_b32 s19, s17, 0xffff
	s_delay_alu instid0(SALU_CYCLE_1) | instskip(SKIP_3) | instid1(VALU_DEP_1)
	s_lshl_b32 s17, s19, 2
	s_add_u32 s2, s12, s2
	s_addc_u32 s3, s13, s3
	v_add_co_u32 v3, s2, s2, v3
	v_add_co_ci_u32_e64 v4, null, s3, 0, s2
	s_lshl_b32 s19, s19, 5
.LBB334_3:                              ; =>This Inner Loop Header: Depth=1
	s_clause 0x1
	global_load_b128 v[5:8], v[3:4], off
	global_load_b128 v[9:12], v[3:4], off offset:16
	v_add_co_u32 v13, vcc_lo, s14, v1
	v_add_co_ci_u32_e32 v14, vcc_lo, s15, v2, vcc_lo
	v_add_co_u32 v1, vcc_lo, s17, v1
	v_add_co_ci_u32_e32 v2, vcc_lo, 0, v2, vcc_lo
	v_add_co_u32 v3, s3, v3, s19
	s_delay_alu instid0(VALU_DEP_1) | instskip(NEXT) | instid1(VALU_DEP_3)
	v_add_co_ci_u32_e64 v4, s3, 0, v4, s3
	v_cmp_le_i64_e32 vcc_lo, s[4:5], v[1:2]
	s_waitcnt vmcnt(1)
	v_cmp_ne_u64_e64 s2, 0, v[7:8]
	s_delay_alu instid0(VALU_DEP_1) | instskip(SKIP_2) | instid1(VALU_DEP_2)
	v_cndmask_b32_e64 v7, 0, 1, s2
	s_waitcnt vmcnt(0)
	v_cmp_ne_u64_e64 s2, 0, v[11:12]
	v_lshlrev_b16 v7, 8, v7
	s_delay_alu instid0(VALU_DEP_2) | instskip(SKIP_1) | instid1(VALU_DEP_2)
	v_cndmask_b32_e64 v8, 0, 1, s2
	v_cmp_ne_u64_e64 s2, 0, v[5:6]
	v_lshlrev_b16 v8, 8, v8
	s_delay_alu instid0(VALU_DEP_2) | instskip(SKIP_1) | instid1(VALU_DEP_2)
	v_cndmask_b32_e64 v5, 0, 1, s2
	v_cmp_ne_u64_e64 s2, 0, v[9:10]
	v_or_b32_e32 v5, v5, v7
	s_delay_alu instid0(VALU_DEP_2) | instskip(SKIP_1) | instid1(VALU_DEP_3)
	v_cndmask_b32_e64 v6, 0, 1, s2
	v_cmp_lt_u64_e64 s2, 0xffff, v[1:2]
	v_and_b32_e32 v5, 0xffff, v5
	s_delay_alu instid0(VALU_DEP_3) | instskip(NEXT) | instid1(VALU_DEP_3)
	v_or_b32_e32 v6, v6, v8
	s_or_b32 s2, vcc_lo, s2
	s_delay_alu instid0(SALU_CYCLE_1) | instskip(NEXT) | instid1(VALU_DEP_1)
	s_and_b32 s2, exec_lo, s2
	v_lshlrev_b32_e32 v6, 16, v6
	s_or_b32 s18, s2, s18
	s_delay_alu instid0(VALU_DEP_1)
	v_or_b32_e32 v5, v5, v6
	global_store_b32 v[13:14], v5, off
	s_and_not1_b32 exec_lo, exec_lo, s18
	s_cbranch_execnz .LBB334_3
.LBB334_4:
	s_or_b32 exec_lo, exec_lo, s16
	s_mov_b32 s2, 0
.LBB334_5:
	s_delay_alu instid0(SALU_CYCLE_1)
	s_and_not1_b32 vcc_lo, exec_lo, s2
	s_cbranch_vccnz .LBB334_25
; %bb.6:
	v_cmp_lt_i64_e64 s2, s[4:5], 1
	s_delay_alu instid0(VALU_DEP_1)
	s_and_b32 vcc_lo, exec_lo, s2
	s_cbranch_vccnz .LBB334_25
; %bb.7:
	s_load_b32 s0, s[0:1], 0xc5c
	v_cmp_gt_u64_e64 s1, 0x10000, s[4:5]
	v_add_co_u32 v5, s2, s8, v0
	v_lshlrev_b32_e32 v1, 3, v0
	v_add_co_ci_u32_e64 v6, null, s9, 0, s2
	s_delay_alu instid0(VALU_DEP_3) | instskip(NEXT) | instid1(VALU_DEP_2)
	v_add_co_u32 v21, vcc_lo, s6, v5
                                        ; implicit-def: $vgpr9_vgpr10
                                        ; implicit-def: $vgpr11_vgpr12
                                        ; implicit-def: $vgpr7_vgpr8
	v_add_co_ci_u32_e32 v22, vcc_lo, s7, v6, vcc_lo
	s_waitcnt lgkmcnt(0)
	s_and_b32 s0, s0, 0xffff
	s_and_b32 s1, s1, exec_lo
	s_cselect_b32 s3, s5, 0
	s_cselect_b32 s2, s4, 0x10000
	s_lshl_b64 s[10:11], s[10:11], 19
	s_lshl_b32 s14, s0, 1
	s_lshl_b32 s1, s0, 2
	s_add_u32 s12, s12, s10
	s_mul_i32 s15, s0, 3
	s_addc_u32 s13, s13, s11
	s_lshl_b32 s10, s0, 5
	v_add_co_u32 v1, s16, s12, v1
	s_add_u32 s11, s8, s15
	v_add_co_ci_u32_e64 v2, null, s13, 0, s16
	s_addc_u32 s16, s9, 0
	s_add_u32 s11, s6, s11
	s_addc_u32 s16, s7, s16
	v_add_co_u32 v23, s11, s11, v0
	s_delay_alu instid0(VALU_DEP_1)
	v_add_co_ci_u32_e64 v24, null, s16, 0, s11
	v_add_co_u32 v25, s11, s15, v0
	v_add_co_u32 v27, s15, v0, s0
	v_add_co_ci_u32_e64 v26, null, 0, 0, s11
	s_lshl_b32 s11, s0, 4
	s_add_u32 s8, s8, s14
	s_addc_u32 s9, s9, 0
	s_add_u32 s8, s6, s8
	v_lshlrev_b32_e32 v3, 3, v27
	s_addc_u32 s9, s7, s9
	v_add_co_u32 v28, s8, s8, v0
	s_delay_alu instid0(VALU_DEP_1)
	v_add_co_ci_u32_e64 v29, null, s9, 0, s8
	v_add_co_u32 v31, s8, s14, v0
	s_add_u32 s6, s6, s0
	v_add_co_ci_u32_e64 v32, null, 0, 0, s8
	v_add_co_u32 v3, s8, s12, v3
	s_addc_u32 s7, s7, 0
	v_add_co_u32 v33, vcc_lo, s6, v5
	v_add_co_ci_u32_e64 v30, null, 0, 0, s15
	v_add_co_ci_u32_e64 v4, null, s13, 0, s8
	v_add_co_ci_u32_e32 v34, vcc_lo, s7, v6, vcc_lo
	s_mul_i32 s8, s0, 24
	s_mov_b64 s[6:7], 0
                                        ; implicit-def: $vgpr5_vgpr6
	s_branch .LBB334_9
.LBB334_8:                              ;   in Loop: Header=BB334_9 Depth=1
	s_or_b32 exec_lo, exec_lo, s0
	s_add_u32 s6, s6, s1
	s_addc_u32 s7, s7, 0
	v_add_co_u32 v1, vcc_lo, v1, s10
	v_cmp_ge_i64_e64 s0, s[6:7], s[4:5]
	v_cmp_lt_u64_e64 s9, 0xffff, s[6:7]
	v_add_co_ci_u32_e32 v2, vcc_lo, 0, v2, vcc_lo
	v_add_co_u32 v3, vcc_lo, v3, s10
	v_add_co_ci_u32_e32 v4, vcc_lo, 0, v4, vcc_lo
	s_delay_alu instid0(VALU_DEP_4) | instskip(NEXT) | instid1(SALU_CYCLE_1)
	s_or_b32 s0, s0, s9
	s_and_b32 vcc_lo, exec_lo, s0
	s_cbranch_vccnz .LBB334_25
.LBB334_9:                              ; =>This Inner Loop Header: Depth=1
	v_add_co_u32 v13, s0, v0, s6
	s_delay_alu instid0(VALU_DEP_1) | instskip(NEXT) | instid1(VALU_DEP_1)
	v_add_co_ci_u32_e64 v14, null, 0, s7, s0
	v_cmp_gt_i64_e32 vcc_lo, s[4:5], v[13:14]
	v_cmp_gt_u64_e64 s0, 0x10000, v[13:14]
	s_delay_alu instid0(VALU_DEP_1) | instskip(NEXT) | instid1(SALU_CYCLE_1)
	s_and_b32 s9, vcc_lo, s0
	s_and_saveexec_b32 s0, s9
	s_cbranch_execz .LBB334_11
; %bb.10:                               ;   in Loop: Header=BB334_9 Depth=1
	global_load_b64 v[7:8], v[1:2], off
.LBB334_11:                             ;   in Loop: Header=BB334_9 Depth=1
	s_or_b32 exec_lo, exec_lo, s0
	v_add_co_u32 v15, vcc_lo, v27, s6
	v_add_co_ci_u32_e32 v16, vcc_lo, s7, v30, vcc_lo
	s_delay_alu instid0(VALU_DEP_1) | instskip(SKIP_1) | instid1(VALU_DEP_1)
	v_cmp_gt_i64_e32 vcc_lo, s[4:5], v[15:16]
	v_cmp_gt_u64_e64 s0, 0x10000, v[15:16]
	s_and_b32 s9, vcc_lo, s0
	s_delay_alu instid0(SALU_CYCLE_1)
	s_and_saveexec_b32 s0, s9
	s_cbranch_execz .LBB334_13
; %bb.12:                               ;   in Loop: Header=BB334_9 Depth=1
	global_load_b64 v[5:6], v[3:4], off
.LBB334_13:                             ;   in Loop: Header=BB334_9 Depth=1
	s_or_b32 exec_lo, exec_lo, s0
	v_add_co_u32 v17, vcc_lo, v31, s6
	v_add_co_ci_u32_e32 v18, vcc_lo, s7, v32, vcc_lo
	s_delay_alu instid0(VALU_DEP_1) | instskip(SKIP_1) | instid1(VALU_DEP_1)
	v_cmp_gt_i64_e32 vcc_lo, s[4:5], v[17:18]
	v_cmp_gt_u64_e64 s0, 0x10000, v[17:18]
	s_and_b32 s9, vcc_lo, s0
	s_delay_alu instid0(SALU_CYCLE_1)
	s_and_saveexec_b32 s0, s9
	s_cbranch_execz .LBB334_15
; %bb.14:                               ;   in Loop: Header=BB334_9 Depth=1
	s_waitcnt vmcnt(0)
	v_add_co_u32 v11, vcc_lo, v1, s11
	v_add_co_ci_u32_e32 v12, vcc_lo, 0, v2, vcc_lo
	global_load_b64 v[11:12], v[11:12], off
.LBB334_15:                             ;   in Loop: Header=BB334_9 Depth=1
	s_or_b32 exec_lo, exec_lo, s0
	v_add_co_u32 v19, vcc_lo, v25, s6
	v_add_co_ci_u32_e32 v20, vcc_lo, s7, v26, vcc_lo
	s_delay_alu instid0(VALU_DEP_1) | instskip(SKIP_1) | instid1(VALU_DEP_1)
	v_cmp_gt_i64_e32 vcc_lo, s[4:5], v[19:20]
	v_cmp_gt_u64_e64 s0, 0x10000, v[19:20]
	s_and_b32 s9, vcc_lo, s0
	s_delay_alu instid0(SALU_CYCLE_1)
	s_and_saveexec_b32 s0, s9
	s_cbranch_execnz .LBB334_20
; %bb.16:                               ;   in Loop: Header=BB334_9 Depth=1
	s_or_b32 exec_lo, exec_lo, s0
	s_delay_alu instid0(SALU_CYCLE_1)
	s_mov_b32 s0, exec_lo
	v_cmpx_gt_u64_e64 s[2:3], v[13:14]
	s_cbranch_execnz .LBB334_21
.LBB334_17:                             ;   in Loop: Header=BB334_9 Depth=1
	s_or_b32 exec_lo, exec_lo, s0
	s_delay_alu instid0(SALU_CYCLE_1)
	s_mov_b32 s0, exec_lo
	v_cmpx_gt_u64_e64 s[2:3], v[15:16]
	s_cbranch_execnz .LBB334_22
.LBB334_18:                             ;   in Loop: Header=BB334_9 Depth=1
	s_or_b32 exec_lo, exec_lo, s0
	s_delay_alu instid0(SALU_CYCLE_1)
	s_mov_b32 s0, exec_lo
	v_cmpx_gt_u64_e64 s[2:3], v[17:18]
	s_cbranch_execnz .LBB334_23
.LBB334_19:                             ;   in Loop: Header=BB334_9 Depth=1
	s_or_b32 exec_lo, exec_lo, s0
	s_delay_alu instid0(SALU_CYCLE_1)
	s_mov_b32 s0, exec_lo
	v_cmpx_gt_u64_e64 s[2:3], v[19:20]
	s_cbranch_execz .LBB334_8
	s_branch .LBB334_24
.LBB334_20:                             ;   in Loop: Header=BB334_9 Depth=1
	s_waitcnt vmcnt(0)
	v_add_co_u32 v9, vcc_lo, v1, s8
	v_add_co_ci_u32_e32 v10, vcc_lo, 0, v2, vcc_lo
	global_load_b64 v[9:10], v[9:10], off
	s_or_b32 exec_lo, exec_lo, s0
	s_delay_alu instid0(SALU_CYCLE_1)
	s_mov_b32 s0, exec_lo
	v_cmpx_gt_u64_e64 s[2:3], v[13:14]
	s_cbranch_execz .LBB334_17
.LBB334_21:                             ;   in Loop: Header=BB334_9 Depth=1
	v_add_co_u32 v13, vcc_lo, v21, s6
	v_add_co_ci_u32_e32 v14, vcc_lo, s7, v22, vcc_lo
	s_waitcnt vmcnt(0)
	v_cmp_ne_u64_e32 vcc_lo, 0, v[7:8]
	v_cndmask_b32_e64 v35, 0, 1, vcc_lo
	global_store_b8 v[13:14], v35, off
	s_or_b32 exec_lo, exec_lo, s0
	s_delay_alu instid0(SALU_CYCLE_1)
	s_mov_b32 s0, exec_lo
	v_cmpx_gt_u64_e64 s[2:3], v[15:16]
	s_cbranch_execz .LBB334_18
.LBB334_22:                             ;   in Loop: Header=BB334_9 Depth=1
	s_waitcnt vmcnt(0)
	v_cmp_ne_u64_e32 vcc_lo, 0, v[5:6]
	v_cndmask_b32_e64 v15, 0, 1, vcc_lo
	v_add_co_u32 v13, vcc_lo, v33, s6
	v_add_co_ci_u32_e32 v14, vcc_lo, s7, v34, vcc_lo
	global_store_b8 v[13:14], v15, off
	s_or_b32 exec_lo, exec_lo, s0
	s_delay_alu instid0(SALU_CYCLE_1)
	s_mov_b32 s0, exec_lo
	v_cmpx_gt_u64_e64 s[2:3], v[17:18]
	s_cbranch_execz .LBB334_19
.LBB334_23:                             ;   in Loop: Header=BB334_9 Depth=1
	s_waitcnt vmcnt(0)
	v_cmp_ne_u64_e32 vcc_lo, 0, v[11:12]
	v_cndmask_b32_e64 v15, 0, 1, vcc_lo
	v_add_co_u32 v13, vcc_lo, v28, s6
	v_add_co_ci_u32_e32 v14, vcc_lo, s7, v29, vcc_lo
	global_store_b8 v[13:14], v15, off
	s_or_b32 exec_lo, exec_lo, s0
	s_delay_alu instid0(SALU_CYCLE_1)
	s_mov_b32 s0, exec_lo
	v_cmpx_gt_u64_e64 s[2:3], v[19:20]
	s_cbranch_execz .LBB334_8
.LBB334_24:                             ;   in Loop: Header=BB334_9 Depth=1
	s_waitcnt vmcnt(0)
	v_cmp_ne_u64_e32 vcc_lo, 0, v[9:10]
	v_cndmask_b32_e64 v15, 0, 1, vcc_lo
	v_add_co_u32 v13, vcc_lo, v23, s6
	v_add_co_ci_u32_e32 v14, vcc_lo, s7, v24, vcc_lo
	global_store_b8 v[13:14], v15, off
	s_branch .LBB334_8
.LBB334_25:
	s_nop 0
	s_sendmsg sendmsg(MSG_DEALLOC_VGPRS)
	s_endpgm
	.section	.rodata,"a",@progbits
	.p2align	6, 0x0
	.amdhsa_kernel _ZN2at6native12_GLOBAL__N_125multi_tensor_apply_kernelINS1_18TensorListMetadataILi2EEENS1_11CopyFunctorIblLi2ELi1ELi1EEEJNS0_4CopyIblEEEEEvT_T0_DpT1_
		.amdhsa_group_segment_fixed_size 0
		.amdhsa_private_segment_fixed_size 0
		.amdhsa_kernarg_size 3408
		.amdhsa_user_sgpr_count 15
		.amdhsa_user_sgpr_dispatch_ptr 0
		.amdhsa_user_sgpr_queue_ptr 0
		.amdhsa_user_sgpr_kernarg_segment_ptr 1
		.amdhsa_user_sgpr_dispatch_id 0
		.amdhsa_user_sgpr_private_segment_size 0
		.amdhsa_wavefront_size32 1
		.amdhsa_uses_dynamic_stack 0
		.amdhsa_enable_private_segment 0
		.amdhsa_system_sgpr_workgroup_id_x 1
		.amdhsa_system_sgpr_workgroup_id_y 0
		.amdhsa_system_sgpr_workgroup_id_z 0
		.amdhsa_system_sgpr_workgroup_info 0
		.amdhsa_system_vgpr_workitem_id 0
		.amdhsa_next_free_vgpr 36
		.amdhsa_next_free_sgpr 20
		.amdhsa_reserve_vcc 1
		.amdhsa_float_round_mode_32 0
		.amdhsa_float_round_mode_16_64 0
		.amdhsa_float_denorm_mode_32 3
		.amdhsa_float_denorm_mode_16_64 3
		.amdhsa_dx10_clamp 1
		.amdhsa_ieee_mode 1
		.amdhsa_fp16_overflow 0
		.amdhsa_workgroup_processor_mode 1
		.amdhsa_memory_ordered 1
		.amdhsa_forward_progress 0
		.amdhsa_shared_vgpr_count 0
		.amdhsa_exception_fp_ieee_invalid_op 0
		.amdhsa_exception_fp_denorm_src 0
		.amdhsa_exception_fp_ieee_div_zero 0
		.amdhsa_exception_fp_ieee_overflow 0
		.amdhsa_exception_fp_ieee_underflow 0
		.amdhsa_exception_fp_ieee_inexact 0
		.amdhsa_exception_int_div_zero 0
	.end_amdhsa_kernel
	.section	.text._ZN2at6native12_GLOBAL__N_125multi_tensor_apply_kernelINS1_18TensorListMetadataILi2EEENS1_11CopyFunctorIblLi2ELi1ELi1EEEJNS0_4CopyIblEEEEEvT_T0_DpT1_,"axG",@progbits,_ZN2at6native12_GLOBAL__N_125multi_tensor_apply_kernelINS1_18TensorListMetadataILi2EEENS1_11CopyFunctorIblLi2ELi1ELi1EEEJNS0_4CopyIblEEEEEvT_T0_DpT1_,comdat
.Lfunc_end334:
	.size	_ZN2at6native12_GLOBAL__N_125multi_tensor_apply_kernelINS1_18TensorListMetadataILi2EEENS1_11CopyFunctorIblLi2ELi1ELi1EEEJNS0_4CopyIblEEEEEvT_T0_DpT1_, .Lfunc_end334-_ZN2at6native12_GLOBAL__N_125multi_tensor_apply_kernelINS1_18TensorListMetadataILi2EEENS1_11CopyFunctorIblLi2ELi1ELi1EEEJNS0_4CopyIblEEEEEvT_T0_DpT1_
                                        ; -- End function
	.section	.AMDGPU.csdata,"",@progbits
; Kernel info:
; codeLenInByte = 1544
; NumSgprs: 22
; NumVgprs: 36
; ScratchSize: 0
; MemoryBound: 0
; FloatMode: 240
; IeeeMode: 1
; LDSByteSize: 0 bytes/workgroup (compile time only)
; SGPRBlocks: 2
; VGPRBlocks: 4
; NumSGPRsForWavesPerEU: 22
; NumVGPRsForWavesPerEU: 36
; Occupancy: 16
; WaveLimiterHint : 0
; COMPUTE_PGM_RSRC2:SCRATCH_EN: 0
; COMPUTE_PGM_RSRC2:USER_SGPR: 15
; COMPUTE_PGM_RSRC2:TRAP_HANDLER: 0
; COMPUTE_PGM_RSRC2:TGID_X_EN: 1
; COMPUTE_PGM_RSRC2:TGID_Y_EN: 0
; COMPUTE_PGM_RSRC2:TGID_Z_EN: 0
; COMPUTE_PGM_RSRC2:TIDIG_COMP_CNT: 0
	.section	.text._ZN2at6native12_GLOBAL__N_125multi_tensor_apply_kernelINS1_18TensorListMetadataILi2EEENS1_11CopyFunctorIbsLi2ELi1ELi1EEEJNS0_4CopyIbsEEEEEvT_T0_DpT1_,"axG",@progbits,_ZN2at6native12_GLOBAL__N_125multi_tensor_apply_kernelINS1_18TensorListMetadataILi2EEENS1_11CopyFunctorIbsLi2ELi1ELi1EEEJNS0_4CopyIbsEEEEEvT_T0_DpT1_,comdat
	.globl	_ZN2at6native12_GLOBAL__N_125multi_tensor_apply_kernelINS1_18TensorListMetadataILi2EEENS1_11CopyFunctorIbsLi2ELi1ELi1EEEJNS0_4CopyIbsEEEEEvT_T0_DpT1_ ; -- Begin function _ZN2at6native12_GLOBAL__N_125multi_tensor_apply_kernelINS1_18TensorListMetadataILi2EEENS1_11CopyFunctorIbsLi2ELi1ELi1EEEJNS0_4CopyIbsEEEEEvT_T0_DpT1_
	.p2align	8
	.type	_ZN2at6native12_GLOBAL__N_125multi_tensor_apply_kernelINS1_18TensorListMetadataILi2EEENS1_11CopyFunctorIbsLi2ELi1ELi1EEEJNS0_4CopyIbsEEEEEvT_T0_DpT1_,@function
_ZN2at6native12_GLOBAL__N_125multi_tensor_apply_kernelINS1_18TensorListMetadataILi2EEENS1_11CopyFunctorIbsLi2ELi1ELi1EEEJNS0_4CopyIbsEEEEEvT_T0_DpT1_: ; @_ZN2at6native12_GLOBAL__N_125multi_tensor_apply_kernelINS1_18TensorListMetadataILi2EEENS1_11CopyFunctorIbsLi2ELi1ELi1EEEJNS0_4CopyIbsEEEEEvT_T0_DpT1_
; %bb.0:
	v_mov_b32_e32 v1, s15
	s_add_u32 s2, s0, s15
	s_mul_i32 s4, s15, 3
	s_addc_u32 s3, s1, 0
	s_mul_hi_u32 s5, s15, 3
	global_load_u8 v1, v1, s[0:1] offset:1536
	s_add_u32 s2, s2, s4
	s_addc_u32 s3, s3, s5
	s_mov_b32 s17, 0
	s_load_b32 s10, s[2:3], 0x740
	s_waitcnt lgkmcnt(0)
	s_ashr_i32 s11, s10, 31
	s_delay_alu instid0(SALU_CYCLE_1) | instskip(SKIP_2) | instid1(VALU_DEP_1)
	s_lshl_b64 s[8:9], s[10:11], 16
	s_waitcnt vmcnt(0)
	v_readfirstlane_b32 s4, v1
	s_lshl_b32 s4, s4, 3
	s_clause 0x2
	s_load_b64 s[6:7], s[0:1], s4 offset:0x200
	s_load_b64 s[2:3], s[0:1], s4 offset:0x400
	;; [unrolled: 1-line block ×3, first 2 shown]
	s_waitcnt lgkmcnt(0)
	s_add_u32 s14, s6, s8
	s_addc_u32 s15, s7, s9
	s_delay_alu instid0(SALU_CYCLE_1) | instskip(SKIP_2) | instid1(SALU_CYCLE_1)
	s_or_b64 s[4:5], s[2:3], s[14:15]
	s_and_b32 s5, s12, 7
	s_and_b32 s4, s4, 3
	s_or_b32 s16, s4, s5
	s_sub_u32 s4, s2, s8
	s_subb_u32 s5, s3, s9
	s_cmp_eq_u64 s[16:17], 0
	s_mov_b32 s2, -1
	s_cbranch_scc0 .LBB335_5
; %bb.1:
	v_dual_mov_b32 v2, 0 :: v_dual_lshlrev_b32 v1, 2, v0
	s_mov_b32 s16, exec_lo
	s_delay_alu instid0(VALU_DEP_1)
	v_cmpx_gt_i64_e64 s[4:5], v[1:2]
	s_cbranch_execz .LBB335_4
; %bb.2:
	s_load_b32 s17, s[0:1], 0xc5c
	v_lshlrev_b32_e32 v3, 3, v0
	s_lshl_b64 s[2:3], s[10:11], 17
	s_waitcnt lgkmcnt(0)
	s_and_b32 s19, s17, 0xffff
	s_add_u32 s2, s12, s2
	s_addc_u32 s3, s13, s3
	v_add_co_u32 v3, s2, s2, v3
	s_delay_alu instid0(VALU_DEP_1)
	v_add_co_ci_u32_e64 v4, null, s3, 0, s2
	s_mov_b32 s17, 0
	s_lshl_b32 s18, s19, 3
	s_lshl_b32 s19, s19, 2
.LBB335_3:                              ; =>This Inner Loop Header: Depth=1
	global_load_b64 v[5:6], v[3:4], off
	v_add_co_u32 v7, vcc_lo, s14, v1
	v_add_co_ci_u32_e32 v8, vcc_lo, s15, v2, vcc_lo
	v_add_co_u32 v1, vcc_lo, s19, v1
	v_add_co_ci_u32_e32 v2, vcc_lo, 0, v2, vcc_lo
	v_add_co_u32 v3, s3, v3, s18
	s_delay_alu instid0(VALU_DEP_1) | instskip(NEXT) | instid1(VALU_DEP_3)
	v_add_co_ci_u32_e64 v4, s3, 0, v4, s3
	v_cmp_le_i64_e32 vcc_lo, s[4:5], v[1:2]
	s_waitcnt vmcnt(0)
	v_lshrrev_b32_e32 v9, 16, v5
	v_cmp_ne_u16_e64 s2, 0, v5
	v_lshrrev_b32_e32 v10, 16, v6
	s_delay_alu instid0(VALU_DEP_2) | instskip(NEXT) | instid1(VALU_DEP_4)
	v_cndmask_b32_e64 v5, 0, 1, s2
	v_cmp_ne_u16_e64 s2, 0, v9
	s_delay_alu instid0(VALU_DEP_1) | instskip(NEXT) | instid1(VALU_DEP_4)
	v_cndmask_b32_e64 v9, 0, 1, s2
	v_cmp_ne_u16_e64 s2, 0, v10
	s_delay_alu instid0(VALU_DEP_2) | instskip(NEXT) | instid1(VALU_DEP_2)
	v_lshlrev_b16 v9, 8, v9
	v_cndmask_b32_e64 v10, 0, 1, s2
	v_cmp_ne_u16_e64 s2, 0, v6
	s_delay_alu instid0(VALU_DEP_3) | instskip(NEXT) | instid1(VALU_DEP_3)
	v_or_b32_e32 v5, v5, v9
	v_lshlrev_b16 v10, 8, v10
	s_delay_alu instid0(VALU_DEP_3) | instskip(SKIP_1) | instid1(VALU_DEP_4)
	v_cndmask_b32_e64 v6, 0, 1, s2
	v_cmp_lt_u64_e64 s2, 0xffff, v[1:2]
	v_and_b32_e32 v5, 0xffff, v5
	s_delay_alu instid0(VALU_DEP_3) | instskip(NEXT) | instid1(VALU_DEP_3)
	v_or_b32_e32 v6, v6, v10
	s_or_b32 s2, vcc_lo, s2
	s_delay_alu instid0(SALU_CYCLE_1) | instskip(NEXT) | instid1(VALU_DEP_1)
	s_and_b32 s2, exec_lo, s2
	v_lshlrev_b32_e32 v6, 16, v6
	s_or_b32 s17, s2, s17
	s_delay_alu instid0(VALU_DEP_1)
	v_or_b32_e32 v5, v5, v6
	global_store_b32 v[7:8], v5, off
	s_and_not1_b32 exec_lo, exec_lo, s17
	s_cbranch_execnz .LBB335_3
.LBB335_4:
	s_or_b32 exec_lo, exec_lo, s16
	s_mov_b32 s2, 0
.LBB335_5:
	s_delay_alu instid0(SALU_CYCLE_1)
	s_and_not1_b32 vcc_lo, exec_lo, s2
	s_cbranch_vccnz .LBB335_25
; %bb.6:
	v_cmp_lt_i64_e64 s2, s[4:5], 1
	s_delay_alu instid0(VALU_DEP_1)
	s_and_b32 vcc_lo, exec_lo, s2
	s_cbranch_vccnz .LBB335_25
; %bb.7:
	s_load_b32 s0, s[0:1], 0xc5c
	v_cmp_gt_u64_e64 s1, 0x10000, s[4:5]
	v_add_co_u32 v5, s2, s8, v0
	v_lshlrev_b32_e32 v1, 1, v0
	v_add_co_ci_u32_e64 v6, null, s9, 0, s2
	s_delay_alu instid0(VALU_DEP_3) | instskip(NEXT) | instid1(VALU_DEP_2)
	v_add_co_u32 v15, vcc_lo, s6, v5
	v_add_co_ci_u32_e32 v16, vcc_lo, s7, v6, vcc_lo
	s_waitcnt lgkmcnt(0)
	s_and_b32 s0, s0, 0xffff
	s_and_b32 s1, s1, exec_lo
	s_cselect_b32 s3, s5, 0
	s_cselect_b32 s2, s4, 0x10000
	s_lshl_b64 s[10:11], s[10:11], 17
	s_lshl_b32 s14, s0, 1
	s_lshl_b32 s1, s0, 2
	s_add_u32 s12, s12, s10
	s_mul_i32 s15, s0, 3
	s_addc_u32 s11, s13, s11
	s_lshl_b32 s10, s0, 3
	v_add_co_u32 v1, s16, s12, v1
	s_add_u32 s13, s8, s15
	v_add_co_ci_u32_e64 v2, null, s11, 0, s16
	s_addc_u32 s16, s9, 0
	s_add_u32 s13, s6, s13
	s_addc_u32 s16, s7, s16
	v_add_co_u32 v17, s13, s13, v0
	s_delay_alu instid0(VALU_DEP_1) | instskip(SKIP_1) | instid1(VALU_DEP_1)
	v_add_co_ci_u32_e64 v18, null, s16, 0, s13
	v_add_co_u32 v19, s13, s15, v0
	v_add_co_ci_u32_e64 v20, null, 0, 0, s13
	v_add_co_u32 v21, s13, v0, s0
	s_add_u32 s8, s8, s14
	s_addc_u32 s9, s9, 0
	s_add_u32 s8, s6, s8
	s_delay_alu instid0(VALU_DEP_1) | instskip(SKIP_2) | instid1(VALU_DEP_1)
	v_lshlrev_b32_e32 v3, 1, v21
	s_addc_u32 s9, s7, s9
	v_add_co_u32 v22, s8, s8, v0
	v_add_co_ci_u32_e64 v23, null, s9, 0, s8
	v_add_co_u32 v25, s8, s14, v0
	s_add_u32 s6, s6, s0
	v_add_co_ci_u32_e64 v26, null, 0, 0, s8
	v_add_co_u32 v3, s8, s12, v3
	s_addc_u32 s7, s7, 0
	v_add_co_u32 v27, vcc_lo, s6, v5
	v_add_co_ci_u32_e64 v24, null, 0, 0, s13
	v_add_co_ci_u32_e64 v4, null, s11, 0, s8
	v_add_co_ci_u32_e32 v28, vcc_lo, s7, v6, vcc_lo
	s_mul_i32 s8, s0, 6
	s_mov_b64 s[6:7], 0
                                        ; implicit-def: $vgpr5_vgpr6
	s_branch .LBB335_9
.LBB335_8:                              ;   in Loop: Header=BB335_9 Depth=1
	s_or_b32 exec_lo, exec_lo, s0
	s_add_u32 s6, s6, s1
	s_addc_u32 s7, s7, 0
	v_add_co_u32 v1, vcc_lo, v1, s10
	v_cmp_ge_i64_e64 s0, s[6:7], s[4:5]
	v_cmp_lt_u64_e64 s9, 0xffff, s[6:7]
	v_add_co_ci_u32_e32 v2, vcc_lo, 0, v2, vcc_lo
	v_add_co_u32 v3, vcc_lo, v3, s10
	v_add_co_ci_u32_e32 v4, vcc_lo, 0, v4, vcc_lo
	s_delay_alu instid0(VALU_DEP_4) | instskip(NEXT) | instid1(SALU_CYCLE_1)
	s_or_b32 s0, s0, s9
	s_and_b32 vcc_lo, exec_lo, s0
	s_cbranch_vccnz .LBB335_25
.LBB335_9:                              ; =>This Inner Loop Header: Depth=1
	v_add_co_u32 v7, s0, v0, s6
	s_delay_alu instid0(VALU_DEP_1) | instskip(NEXT) | instid1(VALU_DEP_1)
	v_add_co_ci_u32_e64 v8, null, 0, s7, s0
	v_cmp_gt_i64_e32 vcc_lo, s[4:5], v[7:8]
	v_cmp_gt_u64_e64 s0, 0x10000, v[7:8]
	s_delay_alu instid0(VALU_DEP_1) | instskip(NEXT) | instid1(SALU_CYCLE_1)
	s_and_b32 s9, vcc_lo, s0
	s_and_saveexec_b32 s0, s9
	s_cbranch_execz .LBB335_11
; %bb.10:                               ;   in Loop: Header=BB335_9 Depth=1
	global_load_d16_b16 v5, v[1:2], off
.LBB335_11:                             ;   in Loop: Header=BB335_9 Depth=1
	s_or_b32 exec_lo, exec_lo, s0
	v_add_co_u32 v9, vcc_lo, v21, s6
	v_add_co_ci_u32_e32 v10, vcc_lo, s7, v24, vcc_lo
	s_delay_alu instid0(VALU_DEP_1) | instskip(SKIP_1) | instid1(VALU_DEP_1)
	v_cmp_gt_i64_e32 vcc_lo, s[4:5], v[9:10]
	v_cmp_gt_u64_e64 s0, 0x10000, v[9:10]
	s_and_b32 s9, vcc_lo, s0
	s_delay_alu instid0(SALU_CYCLE_1)
	s_and_saveexec_b32 s0, s9
	s_cbranch_execz .LBB335_13
; %bb.12:                               ;   in Loop: Header=BB335_9 Depth=1
	global_load_d16_hi_b16 v5, v[3:4], off
.LBB335_13:                             ;   in Loop: Header=BB335_9 Depth=1
	s_or_b32 exec_lo, exec_lo, s0
	v_add_co_u32 v11, vcc_lo, v25, s6
	v_add_co_ci_u32_e32 v12, vcc_lo, s7, v26, vcc_lo
	s_delay_alu instid0(VALU_DEP_1) | instskip(SKIP_1) | instid1(VALU_DEP_1)
	v_cmp_gt_i64_e32 vcc_lo, s[4:5], v[11:12]
	v_cmp_gt_u64_e64 s0, 0x10000, v[11:12]
	s_and_b32 s9, vcc_lo, s0
	s_delay_alu instid0(SALU_CYCLE_1)
	s_and_saveexec_b32 s0, s9
	s_cbranch_execz .LBB335_15
; %bb.14:                               ;   in Loop: Header=BB335_9 Depth=1
	v_add_co_u32 v13, vcc_lo, v1, s1
	v_add_co_ci_u32_e32 v14, vcc_lo, 0, v2, vcc_lo
	global_load_d16_b16 v6, v[13:14], off
.LBB335_15:                             ;   in Loop: Header=BB335_9 Depth=1
	s_or_b32 exec_lo, exec_lo, s0
	v_add_co_u32 v13, vcc_lo, v19, s6
	v_add_co_ci_u32_e32 v14, vcc_lo, s7, v20, vcc_lo
	s_delay_alu instid0(VALU_DEP_1) | instskip(SKIP_1) | instid1(VALU_DEP_1)
	v_cmp_gt_i64_e32 vcc_lo, s[4:5], v[13:14]
	v_cmp_gt_u64_e64 s0, 0x10000, v[13:14]
	s_and_b32 s9, vcc_lo, s0
	s_delay_alu instid0(SALU_CYCLE_1)
	s_and_saveexec_b32 s0, s9
	s_cbranch_execnz .LBB335_20
; %bb.16:                               ;   in Loop: Header=BB335_9 Depth=1
	s_or_b32 exec_lo, exec_lo, s0
	s_delay_alu instid0(SALU_CYCLE_1)
	s_mov_b32 s0, exec_lo
	v_cmpx_gt_u64_e64 s[2:3], v[7:8]
	s_cbranch_execnz .LBB335_21
.LBB335_17:                             ;   in Loop: Header=BB335_9 Depth=1
	s_or_b32 exec_lo, exec_lo, s0
	s_delay_alu instid0(SALU_CYCLE_1)
	s_mov_b32 s0, exec_lo
	v_cmpx_gt_u64_e64 s[2:3], v[9:10]
	s_cbranch_execnz .LBB335_22
.LBB335_18:                             ;   in Loop: Header=BB335_9 Depth=1
	s_or_b32 exec_lo, exec_lo, s0
	s_delay_alu instid0(SALU_CYCLE_1)
	s_mov_b32 s0, exec_lo
	v_cmpx_gt_u64_e64 s[2:3], v[11:12]
	s_cbranch_execnz .LBB335_23
.LBB335_19:                             ;   in Loop: Header=BB335_9 Depth=1
	s_or_b32 exec_lo, exec_lo, s0
	s_delay_alu instid0(SALU_CYCLE_1)
	s_mov_b32 s0, exec_lo
	v_cmpx_gt_u64_e64 s[2:3], v[13:14]
	s_cbranch_execz .LBB335_8
	s_branch .LBB335_24
.LBB335_20:                             ;   in Loop: Header=BB335_9 Depth=1
	v_add_co_u32 v29, vcc_lo, v1, s8
	v_add_co_ci_u32_e32 v30, vcc_lo, 0, v2, vcc_lo
	global_load_d16_hi_b16 v6, v[29:30], off
	s_or_b32 exec_lo, exec_lo, s0
	s_delay_alu instid0(SALU_CYCLE_1)
	s_mov_b32 s0, exec_lo
	v_cmpx_gt_u64_e64 s[2:3], v[7:8]
	s_cbranch_execz .LBB335_17
.LBB335_21:                             ;   in Loop: Header=BB335_9 Depth=1
	v_add_co_u32 v7, vcc_lo, v15, s6
	v_add_co_ci_u32_e32 v8, vcc_lo, s7, v16, vcc_lo
	s_waitcnt vmcnt(0)
	v_cmp_ne_u16_e32 vcc_lo, 0, v5
	v_cndmask_b32_e64 v29, 0, 1, vcc_lo
	global_store_b8 v[7:8], v29, off
	s_or_b32 exec_lo, exec_lo, s0
	s_delay_alu instid0(SALU_CYCLE_1)
	s_mov_b32 s0, exec_lo
	v_cmpx_gt_u64_e64 s[2:3], v[9:10]
	s_cbranch_execz .LBB335_18
.LBB335_22:                             ;   in Loop: Header=BB335_9 Depth=1
	s_waitcnt vmcnt(0)
	v_lshrrev_b32_e32 v7, 16, v5
	s_delay_alu instid0(VALU_DEP_1)
	v_cmp_ne_u16_e32 vcc_lo, 0, v7
	v_cndmask_b32_e64 v9, 0, 1, vcc_lo
	v_add_co_u32 v7, vcc_lo, v27, s6
	v_add_co_ci_u32_e32 v8, vcc_lo, s7, v28, vcc_lo
	global_store_b8 v[7:8], v9, off
	s_or_b32 exec_lo, exec_lo, s0
	s_delay_alu instid0(SALU_CYCLE_1)
	s_mov_b32 s0, exec_lo
	v_cmpx_gt_u64_e64 s[2:3], v[11:12]
	s_cbranch_execz .LBB335_19
.LBB335_23:                             ;   in Loop: Header=BB335_9 Depth=1
	s_waitcnt vmcnt(0)
	v_cmp_ne_u16_e32 vcc_lo, 0, v6
	v_cndmask_b32_e64 v9, 0, 1, vcc_lo
	v_add_co_u32 v7, vcc_lo, v22, s6
	v_add_co_ci_u32_e32 v8, vcc_lo, s7, v23, vcc_lo
	global_store_b8 v[7:8], v9, off
	s_or_b32 exec_lo, exec_lo, s0
	s_delay_alu instid0(SALU_CYCLE_1)
	s_mov_b32 s0, exec_lo
	v_cmpx_gt_u64_e64 s[2:3], v[13:14]
	s_cbranch_execz .LBB335_8
.LBB335_24:                             ;   in Loop: Header=BB335_9 Depth=1
	s_waitcnt vmcnt(0)
	v_lshrrev_b32_e32 v7, 16, v6
	s_delay_alu instid0(VALU_DEP_1)
	v_cmp_ne_u16_e32 vcc_lo, 0, v7
	v_cndmask_b32_e64 v9, 0, 1, vcc_lo
	v_add_co_u32 v7, vcc_lo, v17, s6
	v_add_co_ci_u32_e32 v8, vcc_lo, s7, v18, vcc_lo
	global_store_b8 v[7:8], v9, off
	s_branch .LBB335_8
.LBB335_25:
	s_nop 0
	s_sendmsg sendmsg(MSG_DEALLOC_VGPRS)
	s_endpgm
	.section	.rodata,"a",@progbits
	.p2align	6, 0x0
	.amdhsa_kernel _ZN2at6native12_GLOBAL__N_125multi_tensor_apply_kernelINS1_18TensorListMetadataILi2EEENS1_11CopyFunctorIbsLi2ELi1ELi1EEEJNS0_4CopyIbsEEEEEvT_T0_DpT1_
		.amdhsa_group_segment_fixed_size 0
		.amdhsa_private_segment_fixed_size 0
		.amdhsa_kernarg_size 3408
		.amdhsa_user_sgpr_count 15
		.amdhsa_user_sgpr_dispatch_ptr 0
		.amdhsa_user_sgpr_queue_ptr 0
		.amdhsa_user_sgpr_kernarg_segment_ptr 1
		.amdhsa_user_sgpr_dispatch_id 0
		.amdhsa_user_sgpr_private_segment_size 0
		.amdhsa_wavefront_size32 1
		.amdhsa_uses_dynamic_stack 0
		.amdhsa_enable_private_segment 0
		.amdhsa_system_sgpr_workgroup_id_x 1
		.amdhsa_system_sgpr_workgroup_id_y 0
		.amdhsa_system_sgpr_workgroup_id_z 0
		.amdhsa_system_sgpr_workgroup_info 0
		.amdhsa_system_vgpr_workitem_id 0
		.amdhsa_next_free_vgpr 31
		.amdhsa_next_free_sgpr 20
		.amdhsa_reserve_vcc 1
		.amdhsa_float_round_mode_32 0
		.amdhsa_float_round_mode_16_64 0
		.amdhsa_float_denorm_mode_32 3
		.amdhsa_float_denorm_mode_16_64 3
		.amdhsa_dx10_clamp 1
		.amdhsa_ieee_mode 1
		.amdhsa_fp16_overflow 0
		.amdhsa_workgroup_processor_mode 1
		.amdhsa_memory_ordered 1
		.amdhsa_forward_progress 0
		.amdhsa_shared_vgpr_count 0
		.amdhsa_exception_fp_ieee_invalid_op 0
		.amdhsa_exception_fp_denorm_src 0
		.amdhsa_exception_fp_ieee_div_zero 0
		.amdhsa_exception_fp_ieee_overflow 0
		.amdhsa_exception_fp_ieee_underflow 0
		.amdhsa_exception_fp_ieee_inexact 0
		.amdhsa_exception_int_div_zero 0
	.end_amdhsa_kernel
	.section	.text._ZN2at6native12_GLOBAL__N_125multi_tensor_apply_kernelINS1_18TensorListMetadataILi2EEENS1_11CopyFunctorIbsLi2ELi1ELi1EEEJNS0_4CopyIbsEEEEEvT_T0_DpT1_,"axG",@progbits,_ZN2at6native12_GLOBAL__N_125multi_tensor_apply_kernelINS1_18TensorListMetadataILi2EEENS1_11CopyFunctorIbsLi2ELi1ELi1EEEJNS0_4CopyIbsEEEEEvT_T0_DpT1_,comdat
.Lfunc_end335:
	.size	_ZN2at6native12_GLOBAL__N_125multi_tensor_apply_kernelINS1_18TensorListMetadataILi2EEENS1_11CopyFunctorIbsLi2ELi1ELi1EEEJNS0_4CopyIbsEEEEEvT_T0_DpT1_, .Lfunc_end335-_ZN2at6native12_GLOBAL__N_125multi_tensor_apply_kernelINS1_18TensorListMetadataILi2EEENS1_11CopyFunctorIbsLi2ELi1ELi1EEEJNS0_4CopyIbsEEEEEvT_T0_DpT1_
                                        ; -- End function
	.section	.AMDGPU.csdata,"",@progbits
; Kernel info:
; codeLenInByte = 1544
; NumSgprs: 22
; NumVgprs: 31
; ScratchSize: 0
; MemoryBound: 0
; FloatMode: 240
; IeeeMode: 1
; LDSByteSize: 0 bytes/workgroup (compile time only)
; SGPRBlocks: 2
; VGPRBlocks: 3
; NumSGPRsForWavesPerEU: 22
; NumVGPRsForWavesPerEU: 31
; Occupancy: 16
; WaveLimiterHint : 0
; COMPUTE_PGM_RSRC2:SCRATCH_EN: 0
; COMPUTE_PGM_RSRC2:USER_SGPR: 15
; COMPUTE_PGM_RSRC2:TRAP_HANDLER: 0
; COMPUTE_PGM_RSRC2:TGID_X_EN: 1
; COMPUTE_PGM_RSRC2:TGID_Y_EN: 0
; COMPUTE_PGM_RSRC2:TGID_Z_EN: 0
; COMPUTE_PGM_RSRC2:TIDIG_COMP_CNT: 0
	.section	.text._ZN2at6native12_GLOBAL__N_125multi_tensor_apply_kernelINS1_18TensorListMetadataILi2EEENS1_11CopyFunctorIbiLi2ELi1ELi1EEEJNS0_4CopyIbiEEEEEvT_T0_DpT1_,"axG",@progbits,_ZN2at6native12_GLOBAL__N_125multi_tensor_apply_kernelINS1_18TensorListMetadataILi2EEENS1_11CopyFunctorIbiLi2ELi1ELi1EEEJNS0_4CopyIbiEEEEEvT_T0_DpT1_,comdat
	.globl	_ZN2at6native12_GLOBAL__N_125multi_tensor_apply_kernelINS1_18TensorListMetadataILi2EEENS1_11CopyFunctorIbiLi2ELi1ELi1EEEJNS0_4CopyIbiEEEEEvT_T0_DpT1_ ; -- Begin function _ZN2at6native12_GLOBAL__N_125multi_tensor_apply_kernelINS1_18TensorListMetadataILi2EEENS1_11CopyFunctorIbiLi2ELi1ELi1EEEJNS0_4CopyIbiEEEEEvT_T0_DpT1_
	.p2align	8
	.type	_ZN2at6native12_GLOBAL__N_125multi_tensor_apply_kernelINS1_18TensorListMetadataILi2EEENS1_11CopyFunctorIbiLi2ELi1ELi1EEEJNS0_4CopyIbiEEEEEvT_T0_DpT1_,@function
_ZN2at6native12_GLOBAL__N_125multi_tensor_apply_kernelINS1_18TensorListMetadataILi2EEENS1_11CopyFunctorIbiLi2ELi1ELi1EEEJNS0_4CopyIbiEEEEEvT_T0_DpT1_: ; @_ZN2at6native12_GLOBAL__N_125multi_tensor_apply_kernelINS1_18TensorListMetadataILi2EEENS1_11CopyFunctorIbiLi2ELi1ELi1EEEJNS0_4CopyIbiEEEEEvT_T0_DpT1_
; %bb.0:
	v_mov_b32_e32 v1, s15
	s_add_u32 s2, s0, s15
	s_mul_i32 s4, s15, 3
	s_addc_u32 s3, s1, 0
	s_mul_hi_u32 s5, s15, 3
	global_load_u8 v1, v1, s[0:1] offset:1536
	s_add_u32 s2, s2, s4
	s_addc_u32 s3, s3, s5
	s_mov_b32 s17, 0
	s_load_b32 s10, s[2:3], 0x740
	s_waitcnt lgkmcnt(0)
	s_ashr_i32 s11, s10, 31
	s_delay_alu instid0(SALU_CYCLE_1) | instskip(SKIP_2) | instid1(VALU_DEP_1)
	s_lshl_b64 s[8:9], s[10:11], 16
	s_waitcnt vmcnt(0)
	v_readfirstlane_b32 s4, v1
	s_lshl_b32 s4, s4, 3
	s_clause 0x2
	s_load_b64 s[6:7], s[0:1], s4 offset:0x200
	s_load_b64 s[2:3], s[0:1], s4 offset:0x400
	;; [unrolled: 1-line block ×3, first 2 shown]
	s_waitcnt lgkmcnt(0)
	s_add_u32 s14, s6, s8
	s_addc_u32 s15, s7, s9
	s_delay_alu instid0(SALU_CYCLE_1) | instskip(SKIP_2) | instid1(SALU_CYCLE_1)
	s_or_b64 s[4:5], s[2:3], s[14:15]
	s_and_b32 s5, s12, 15
	s_and_b32 s4, s4, 3
	s_or_b32 s16, s4, s5
	s_sub_u32 s4, s2, s8
	s_subb_u32 s5, s3, s9
	s_cmp_eq_u64 s[16:17], 0
	s_mov_b32 s2, -1
	s_cbranch_scc0 .LBB336_5
; %bb.1:
	v_dual_mov_b32 v2, 0 :: v_dual_lshlrev_b32 v1, 2, v0
	s_mov_b32 s16, exec_lo
	s_delay_alu instid0(VALU_DEP_1)
	v_cmpx_gt_i64_e64 s[4:5], v[1:2]
	s_cbranch_execz .LBB336_4
; %bb.2:
	s_load_b32 s17, s[0:1], 0xc5c
	v_lshlrev_b32_e32 v3, 4, v0
	s_lshl_b64 s[2:3], s[10:11], 18
	s_mov_b32 s18, 0
	s_waitcnt lgkmcnt(0)
	s_and_b32 s19, s17, 0xffff
	s_delay_alu instid0(SALU_CYCLE_1) | instskip(SKIP_3) | instid1(VALU_DEP_1)
	s_lshl_b32 s17, s19, 2
	s_add_u32 s2, s12, s2
	s_addc_u32 s3, s13, s3
	v_add_co_u32 v3, s2, s2, v3
	v_add_co_ci_u32_e64 v4, null, s3, 0, s2
	s_lshl_b32 s19, s19, 4
.LBB336_3:                              ; =>This Inner Loop Header: Depth=1
	global_load_b128 v[5:8], v[3:4], off
	v_add_co_u32 v9, vcc_lo, s14, v1
	v_add_co_ci_u32_e32 v10, vcc_lo, s15, v2, vcc_lo
	v_add_co_u32 v1, vcc_lo, s17, v1
	v_add_co_ci_u32_e32 v2, vcc_lo, 0, v2, vcc_lo
	v_add_co_u32 v3, s3, v3, s19
	s_delay_alu instid0(VALU_DEP_1) | instskip(NEXT) | instid1(VALU_DEP_3)
	v_add_co_ci_u32_e64 v4, s3, 0, v4, s3
	v_cmp_le_i64_e32 vcc_lo, s[4:5], v[1:2]
	s_waitcnt vmcnt(0)
	v_cmp_ne_u32_e64 s2, 0, v6
	s_delay_alu instid0(VALU_DEP_1) | instskip(SKIP_1) | instid1(VALU_DEP_2)
	v_cndmask_b32_e64 v6, 0, 1, s2
	v_cmp_ne_u32_e64 s2, 0, v8
	v_lshlrev_b16 v6, 8, v6
	s_delay_alu instid0(VALU_DEP_2) | instskip(SKIP_1) | instid1(VALU_DEP_2)
	v_cndmask_b32_e64 v8, 0, 1, s2
	v_cmp_ne_u32_e64 s2, 0, v5
	v_lshlrev_b16 v8, 8, v8
	s_delay_alu instid0(VALU_DEP_2) | instskip(SKIP_1) | instid1(VALU_DEP_2)
	v_cndmask_b32_e64 v5, 0, 1, s2
	v_cmp_ne_u32_e64 s2, 0, v7
	v_or_b32_e32 v5, v5, v6
	s_delay_alu instid0(VALU_DEP_2) | instskip(SKIP_1) | instid1(VALU_DEP_3)
	v_cndmask_b32_e64 v7, 0, 1, s2
	v_cmp_lt_u64_e64 s2, 0xffff, v[1:2]
	v_and_b32_e32 v5, 0xffff, v5
	s_delay_alu instid0(VALU_DEP_3) | instskip(NEXT) | instid1(VALU_DEP_3)
	v_or_b32_e32 v6, v7, v8
	s_or_b32 s2, vcc_lo, s2
	s_delay_alu instid0(SALU_CYCLE_1) | instskip(NEXT) | instid1(VALU_DEP_1)
	s_and_b32 s2, exec_lo, s2
	v_lshlrev_b32_e32 v6, 16, v6
	s_or_b32 s18, s2, s18
	s_delay_alu instid0(VALU_DEP_1)
	v_or_b32_e32 v5, v5, v6
	global_store_b32 v[9:10], v5, off
	s_and_not1_b32 exec_lo, exec_lo, s18
	s_cbranch_execnz .LBB336_3
.LBB336_4:
	s_or_b32 exec_lo, exec_lo, s16
	s_mov_b32 s2, 0
.LBB336_5:
	s_delay_alu instid0(SALU_CYCLE_1)
	s_and_not1_b32 vcc_lo, exec_lo, s2
	s_cbranch_vccnz .LBB336_25
; %bb.6:
	v_cmp_lt_i64_e64 s2, s[4:5], 1
	s_delay_alu instid0(VALU_DEP_1)
	s_and_b32 vcc_lo, exec_lo, s2
	s_cbranch_vccnz .LBB336_25
; %bb.7:
	s_load_b32 s0, s[0:1], 0xc5c
	v_cmp_gt_u64_e64 s1, 0x10000, s[4:5]
	v_add_co_u32 v5, s2, s8, v0
	v_lshlrev_b32_e32 v1, 2, v0
	v_add_co_ci_u32_e64 v6, null, s9, 0, s2
	s_delay_alu instid0(VALU_DEP_3) | instskip(NEXT) | instid1(VALU_DEP_2)
	v_add_co_u32 v13, vcc_lo, s6, v5
                                        ; implicit-def: $vgpr29
                                        ; implicit-def: $vgpr30
                                        ; implicit-def: $vgpr27
                                        ; implicit-def: $vgpr28
	v_add_co_ci_u32_e32 v14, vcc_lo, s7, v6, vcc_lo
	s_waitcnt lgkmcnt(0)
	s_and_b32 s0, s0, 0xffff
	s_and_b32 s1, s1, exec_lo
	s_cselect_b32 s3, s5, 0
	s_cselect_b32 s2, s4, 0x10000
	s_lshl_b64 s[10:11], s[10:11], 18
	s_lshl_b32 s14, s0, 1
	s_lshl_b32 s1, s0, 2
	s_add_u32 s12, s12, s10
	s_mul_i32 s15, s0, 3
	s_addc_u32 s13, s13, s11
	s_lshl_b32 s10, s0, 4
	v_add_co_u32 v1, s16, s12, v1
	s_add_u32 s11, s8, s15
	v_add_co_ci_u32_e64 v2, null, s13, 0, s16
	s_addc_u32 s16, s9, 0
	s_add_u32 s11, s6, s11
	s_addc_u32 s16, s7, s16
	v_add_co_u32 v15, s11, s11, v0
	s_delay_alu instid0(VALU_DEP_1)
	v_add_co_ci_u32_e64 v16, null, s16, 0, s11
	v_add_co_u32 v17, s11, s15, v0
	v_add_co_u32 v19, s15, v0, s0
	v_add_co_ci_u32_e64 v18, null, 0, 0, s11
	s_lshl_b32 s11, s0, 3
	s_add_u32 s8, s8, s14
	s_addc_u32 s9, s9, 0
	s_add_u32 s8, s6, s8
	v_lshlrev_b32_e32 v3, 2, v19
	s_addc_u32 s9, s7, s9
	v_add_co_u32 v20, s8, s8, v0
	s_delay_alu instid0(VALU_DEP_1)
	v_add_co_ci_u32_e64 v21, null, s9, 0, s8
	v_add_co_u32 v23, s8, s14, v0
	s_add_u32 s6, s6, s0
	v_add_co_ci_u32_e64 v24, null, 0, 0, s8
	v_add_co_u32 v3, s8, s12, v3
	s_addc_u32 s7, s7, 0
	v_add_co_u32 v25, vcc_lo, s6, v5
	v_add_co_ci_u32_e64 v22, null, 0, 0, s15
	v_add_co_ci_u32_e64 v4, null, s13, 0, s8
	v_add_co_ci_u32_e32 v26, vcc_lo, s7, v6, vcc_lo
	s_mul_i32 s8, s0, 12
	s_mov_b64 s[6:7], 0
	s_branch .LBB336_9
.LBB336_8:                              ;   in Loop: Header=BB336_9 Depth=1
	s_or_b32 exec_lo, exec_lo, s0
	s_add_u32 s6, s6, s1
	s_addc_u32 s7, s7, 0
	v_add_co_u32 v1, vcc_lo, v1, s10
	v_cmp_ge_i64_e64 s0, s[6:7], s[4:5]
	v_cmp_lt_u64_e64 s9, 0xffff, s[6:7]
	v_add_co_ci_u32_e32 v2, vcc_lo, 0, v2, vcc_lo
	v_add_co_u32 v3, vcc_lo, v3, s10
	v_add_co_ci_u32_e32 v4, vcc_lo, 0, v4, vcc_lo
	s_delay_alu instid0(VALU_DEP_4) | instskip(NEXT) | instid1(SALU_CYCLE_1)
	s_or_b32 s0, s0, s9
	s_and_b32 vcc_lo, exec_lo, s0
	s_cbranch_vccnz .LBB336_25
.LBB336_9:                              ; =>This Inner Loop Header: Depth=1
	v_add_co_u32 v5, s0, v0, s6
	s_delay_alu instid0(VALU_DEP_1) | instskip(NEXT) | instid1(VALU_DEP_1)
	v_add_co_ci_u32_e64 v6, null, 0, s7, s0
	v_cmp_gt_i64_e32 vcc_lo, s[4:5], v[5:6]
	v_cmp_gt_u64_e64 s0, 0x10000, v[5:6]
	s_delay_alu instid0(VALU_DEP_1) | instskip(NEXT) | instid1(SALU_CYCLE_1)
	s_and_b32 s9, vcc_lo, s0
	s_and_saveexec_b32 s0, s9
	s_cbranch_execz .LBB336_11
; %bb.10:                               ;   in Loop: Header=BB336_9 Depth=1
	global_load_b32 v28, v[1:2], off
.LBB336_11:                             ;   in Loop: Header=BB336_9 Depth=1
	s_or_b32 exec_lo, exec_lo, s0
	v_add_co_u32 v7, vcc_lo, v19, s6
	v_add_co_ci_u32_e32 v8, vcc_lo, s7, v22, vcc_lo
	s_delay_alu instid0(VALU_DEP_1) | instskip(SKIP_1) | instid1(VALU_DEP_1)
	v_cmp_gt_i64_e32 vcc_lo, s[4:5], v[7:8]
	v_cmp_gt_u64_e64 s0, 0x10000, v[7:8]
	s_and_b32 s9, vcc_lo, s0
	s_delay_alu instid0(SALU_CYCLE_1)
	s_and_saveexec_b32 s0, s9
	s_cbranch_execz .LBB336_13
; %bb.12:                               ;   in Loop: Header=BB336_9 Depth=1
	global_load_b32 v27, v[3:4], off
.LBB336_13:                             ;   in Loop: Header=BB336_9 Depth=1
	s_or_b32 exec_lo, exec_lo, s0
	v_add_co_u32 v9, vcc_lo, v23, s6
	v_add_co_ci_u32_e32 v10, vcc_lo, s7, v24, vcc_lo
	s_delay_alu instid0(VALU_DEP_1) | instskip(SKIP_1) | instid1(VALU_DEP_1)
	v_cmp_gt_i64_e32 vcc_lo, s[4:5], v[9:10]
	v_cmp_gt_u64_e64 s0, 0x10000, v[9:10]
	s_and_b32 s9, vcc_lo, s0
	s_delay_alu instid0(SALU_CYCLE_1)
	s_and_saveexec_b32 s0, s9
	s_cbranch_execz .LBB336_15
; %bb.14:                               ;   in Loop: Header=BB336_9 Depth=1
	v_add_co_u32 v11, vcc_lo, v1, s11
	v_add_co_ci_u32_e32 v12, vcc_lo, 0, v2, vcc_lo
	global_load_b32 v30, v[11:12], off
.LBB336_15:                             ;   in Loop: Header=BB336_9 Depth=1
	s_or_b32 exec_lo, exec_lo, s0
	v_add_co_u32 v11, vcc_lo, v17, s6
	v_add_co_ci_u32_e32 v12, vcc_lo, s7, v18, vcc_lo
	s_delay_alu instid0(VALU_DEP_1) | instskip(SKIP_1) | instid1(VALU_DEP_1)
	v_cmp_gt_i64_e32 vcc_lo, s[4:5], v[11:12]
	v_cmp_gt_u64_e64 s0, 0x10000, v[11:12]
	s_and_b32 s9, vcc_lo, s0
	s_delay_alu instid0(SALU_CYCLE_1)
	s_and_saveexec_b32 s0, s9
	s_cbranch_execnz .LBB336_20
; %bb.16:                               ;   in Loop: Header=BB336_9 Depth=1
	s_or_b32 exec_lo, exec_lo, s0
	s_delay_alu instid0(SALU_CYCLE_1)
	s_mov_b32 s0, exec_lo
	v_cmpx_gt_u64_e64 s[2:3], v[5:6]
	s_cbranch_execnz .LBB336_21
.LBB336_17:                             ;   in Loop: Header=BB336_9 Depth=1
	s_or_b32 exec_lo, exec_lo, s0
	s_delay_alu instid0(SALU_CYCLE_1)
	s_mov_b32 s0, exec_lo
	v_cmpx_gt_u64_e64 s[2:3], v[7:8]
	s_cbranch_execnz .LBB336_22
.LBB336_18:                             ;   in Loop: Header=BB336_9 Depth=1
	s_or_b32 exec_lo, exec_lo, s0
	s_delay_alu instid0(SALU_CYCLE_1)
	s_mov_b32 s0, exec_lo
	v_cmpx_gt_u64_e64 s[2:3], v[9:10]
	s_cbranch_execnz .LBB336_23
.LBB336_19:                             ;   in Loop: Header=BB336_9 Depth=1
	s_or_b32 exec_lo, exec_lo, s0
	s_delay_alu instid0(SALU_CYCLE_1)
	s_mov_b32 s0, exec_lo
	v_cmpx_gt_u64_e64 s[2:3], v[11:12]
	s_cbranch_execz .LBB336_8
	s_branch .LBB336_24
.LBB336_20:                             ;   in Loop: Header=BB336_9 Depth=1
	v_add_co_u32 v31, vcc_lo, v1, s8
	v_add_co_ci_u32_e32 v32, vcc_lo, 0, v2, vcc_lo
	global_load_b32 v29, v[31:32], off
	s_or_b32 exec_lo, exec_lo, s0
	s_delay_alu instid0(SALU_CYCLE_1)
	s_mov_b32 s0, exec_lo
	v_cmpx_gt_u64_e64 s[2:3], v[5:6]
	s_cbranch_execz .LBB336_17
.LBB336_21:                             ;   in Loop: Header=BB336_9 Depth=1
	v_add_co_u32 v5, vcc_lo, v13, s6
	v_add_co_ci_u32_e32 v6, vcc_lo, s7, v14, vcc_lo
	s_waitcnt vmcnt(0)
	v_cmp_ne_u32_e32 vcc_lo, 0, v28
	v_cndmask_b32_e64 v31, 0, 1, vcc_lo
	global_store_b8 v[5:6], v31, off
	s_or_b32 exec_lo, exec_lo, s0
	s_delay_alu instid0(SALU_CYCLE_1)
	s_mov_b32 s0, exec_lo
	v_cmpx_gt_u64_e64 s[2:3], v[7:8]
	s_cbranch_execz .LBB336_18
.LBB336_22:                             ;   in Loop: Header=BB336_9 Depth=1
	s_waitcnt vmcnt(0)
	v_cmp_ne_u32_e32 vcc_lo, 0, v27
	v_cndmask_b32_e64 v7, 0, 1, vcc_lo
	v_add_co_u32 v5, vcc_lo, v25, s6
	v_add_co_ci_u32_e32 v6, vcc_lo, s7, v26, vcc_lo
	global_store_b8 v[5:6], v7, off
	s_or_b32 exec_lo, exec_lo, s0
	s_delay_alu instid0(SALU_CYCLE_1)
	s_mov_b32 s0, exec_lo
	v_cmpx_gt_u64_e64 s[2:3], v[9:10]
	s_cbranch_execz .LBB336_19
.LBB336_23:                             ;   in Loop: Header=BB336_9 Depth=1
	s_waitcnt vmcnt(0)
	v_cmp_ne_u32_e32 vcc_lo, 0, v30
	v_cndmask_b32_e64 v7, 0, 1, vcc_lo
	v_add_co_u32 v5, vcc_lo, v20, s6
	v_add_co_ci_u32_e32 v6, vcc_lo, s7, v21, vcc_lo
	global_store_b8 v[5:6], v7, off
	s_or_b32 exec_lo, exec_lo, s0
	s_delay_alu instid0(SALU_CYCLE_1)
	s_mov_b32 s0, exec_lo
	v_cmpx_gt_u64_e64 s[2:3], v[11:12]
	s_cbranch_execz .LBB336_8
.LBB336_24:                             ;   in Loop: Header=BB336_9 Depth=1
	s_waitcnt vmcnt(0)
	v_cmp_ne_u32_e32 vcc_lo, 0, v29
	v_cndmask_b32_e64 v7, 0, 1, vcc_lo
	v_add_co_u32 v5, vcc_lo, v15, s6
	v_add_co_ci_u32_e32 v6, vcc_lo, s7, v16, vcc_lo
	global_store_b8 v[5:6], v7, off
	s_branch .LBB336_8
.LBB336_25:
	s_nop 0
	s_sendmsg sendmsg(MSG_DEALLOC_VGPRS)
	s_endpgm
	.section	.rodata,"a",@progbits
	.p2align	6, 0x0
	.amdhsa_kernel _ZN2at6native12_GLOBAL__N_125multi_tensor_apply_kernelINS1_18TensorListMetadataILi2EEENS1_11CopyFunctorIbiLi2ELi1ELi1EEEJNS0_4CopyIbiEEEEEvT_T0_DpT1_
		.amdhsa_group_segment_fixed_size 0
		.amdhsa_private_segment_fixed_size 0
		.amdhsa_kernarg_size 3408
		.amdhsa_user_sgpr_count 15
		.amdhsa_user_sgpr_dispatch_ptr 0
		.amdhsa_user_sgpr_queue_ptr 0
		.amdhsa_user_sgpr_kernarg_segment_ptr 1
		.amdhsa_user_sgpr_dispatch_id 0
		.amdhsa_user_sgpr_private_segment_size 0
		.amdhsa_wavefront_size32 1
		.amdhsa_uses_dynamic_stack 0
		.amdhsa_enable_private_segment 0
		.amdhsa_system_sgpr_workgroup_id_x 1
		.amdhsa_system_sgpr_workgroup_id_y 0
		.amdhsa_system_sgpr_workgroup_id_z 0
		.amdhsa_system_sgpr_workgroup_info 0
		.amdhsa_system_vgpr_workitem_id 0
		.amdhsa_next_free_vgpr 33
		.amdhsa_next_free_sgpr 20
		.amdhsa_reserve_vcc 1
		.amdhsa_float_round_mode_32 0
		.amdhsa_float_round_mode_16_64 0
		.amdhsa_float_denorm_mode_32 3
		.amdhsa_float_denorm_mode_16_64 3
		.amdhsa_dx10_clamp 1
		.amdhsa_ieee_mode 1
		.amdhsa_fp16_overflow 0
		.amdhsa_workgroup_processor_mode 1
		.amdhsa_memory_ordered 1
		.amdhsa_forward_progress 0
		.amdhsa_shared_vgpr_count 0
		.amdhsa_exception_fp_ieee_invalid_op 0
		.amdhsa_exception_fp_denorm_src 0
		.amdhsa_exception_fp_ieee_div_zero 0
		.amdhsa_exception_fp_ieee_overflow 0
		.amdhsa_exception_fp_ieee_underflow 0
		.amdhsa_exception_fp_ieee_inexact 0
		.amdhsa_exception_int_div_zero 0
	.end_amdhsa_kernel
	.section	.text._ZN2at6native12_GLOBAL__N_125multi_tensor_apply_kernelINS1_18TensorListMetadataILi2EEENS1_11CopyFunctorIbiLi2ELi1ELi1EEEJNS0_4CopyIbiEEEEEvT_T0_DpT1_,"axG",@progbits,_ZN2at6native12_GLOBAL__N_125multi_tensor_apply_kernelINS1_18TensorListMetadataILi2EEENS1_11CopyFunctorIbiLi2ELi1ELi1EEEJNS0_4CopyIbiEEEEEvT_T0_DpT1_,comdat
.Lfunc_end336:
	.size	_ZN2at6native12_GLOBAL__N_125multi_tensor_apply_kernelINS1_18TensorListMetadataILi2EEENS1_11CopyFunctorIbiLi2ELi1ELi1EEEJNS0_4CopyIbiEEEEEvT_T0_DpT1_, .Lfunc_end336-_ZN2at6native12_GLOBAL__N_125multi_tensor_apply_kernelINS1_18TensorListMetadataILi2EEENS1_11CopyFunctorIbiLi2ELi1ELi1EEEJNS0_4CopyIbiEEEEEvT_T0_DpT1_
                                        ; -- End function
	.section	.AMDGPU.csdata,"",@progbits
; Kernel info:
; codeLenInByte = 1520
; NumSgprs: 22
; NumVgprs: 33
; ScratchSize: 0
; MemoryBound: 0
; FloatMode: 240
; IeeeMode: 1
; LDSByteSize: 0 bytes/workgroup (compile time only)
; SGPRBlocks: 2
; VGPRBlocks: 4
; NumSGPRsForWavesPerEU: 22
; NumVGPRsForWavesPerEU: 33
; Occupancy: 16
; WaveLimiterHint : 0
; COMPUTE_PGM_RSRC2:SCRATCH_EN: 0
; COMPUTE_PGM_RSRC2:USER_SGPR: 15
; COMPUTE_PGM_RSRC2:TRAP_HANDLER: 0
; COMPUTE_PGM_RSRC2:TGID_X_EN: 1
; COMPUTE_PGM_RSRC2:TGID_Y_EN: 0
; COMPUTE_PGM_RSRC2:TGID_Z_EN: 0
; COMPUTE_PGM_RSRC2:TIDIG_COMP_CNT: 0
	.section	.text._ZN2at6native12_GLOBAL__N_125multi_tensor_apply_kernelINS1_18TensorListMetadataILi2EEENS1_11CopyFunctorIbdLi2ELi1ELi1EEEJNS0_4CopyIbdEEEEEvT_T0_DpT1_,"axG",@progbits,_ZN2at6native12_GLOBAL__N_125multi_tensor_apply_kernelINS1_18TensorListMetadataILi2EEENS1_11CopyFunctorIbdLi2ELi1ELi1EEEJNS0_4CopyIbdEEEEEvT_T0_DpT1_,comdat
	.globl	_ZN2at6native12_GLOBAL__N_125multi_tensor_apply_kernelINS1_18TensorListMetadataILi2EEENS1_11CopyFunctorIbdLi2ELi1ELi1EEEJNS0_4CopyIbdEEEEEvT_T0_DpT1_ ; -- Begin function _ZN2at6native12_GLOBAL__N_125multi_tensor_apply_kernelINS1_18TensorListMetadataILi2EEENS1_11CopyFunctorIbdLi2ELi1ELi1EEEJNS0_4CopyIbdEEEEEvT_T0_DpT1_
	.p2align	8
	.type	_ZN2at6native12_GLOBAL__N_125multi_tensor_apply_kernelINS1_18TensorListMetadataILi2EEENS1_11CopyFunctorIbdLi2ELi1ELi1EEEJNS0_4CopyIbdEEEEEvT_T0_DpT1_,@function
_ZN2at6native12_GLOBAL__N_125multi_tensor_apply_kernelINS1_18TensorListMetadataILi2EEENS1_11CopyFunctorIbdLi2ELi1ELi1EEEJNS0_4CopyIbdEEEEEvT_T0_DpT1_: ; @_ZN2at6native12_GLOBAL__N_125multi_tensor_apply_kernelINS1_18TensorListMetadataILi2EEENS1_11CopyFunctorIbdLi2ELi1ELi1EEEJNS0_4CopyIbdEEEEEvT_T0_DpT1_
; %bb.0:
	v_mov_b32_e32 v1, s15
	s_add_u32 s2, s0, s15
	s_mul_i32 s4, s15, 3
	s_addc_u32 s3, s1, 0
	s_mul_hi_u32 s5, s15, 3
	global_load_u8 v1, v1, s[0:1] offset:1536
	s_add_u32 s2, s2, s4
	s_addc_u32 s3, s3, s5
	s_mov_b32 s17, 0
	s_load_b32 s10, s[2:3], 0x740
	s_waitcnt lgkmcnt(0)
	s_ashr_i32 s11, s10, 31
	s_delay_alu instid0(SALU_CYCLE_1) | instskip(SKIP_2) | instid1(VALU_DEP_1)
	s_lshl_b64 s[8:9], s[10:11], 16
	s_waitcnt vmcnt(0)
	v_readfirstlane_b32 s4, v1
	s_lshl_b32 s4, s4, 3
	s_clause 0x2
	s_load_b64 s[6:7], s[0:1], s4 offset:0x200
	s_load_b64 s[2:3], s[0:1], s4 offset:0x400
	;; [unrolled: 1-line block ×3, first 2 shown]
	s_waitcnt lgkmcnt(0)
	s_add_u32 s14, s6, s8
	s_addc_u32 s15, s7, s9
	s_delay_alu instid0(SALU_CYCLE_1) | instskip(SKIP_2) | instid1(SALU_CYCLE_1)
	s_or_b64 s[4:5], s[2:3], s[14:15]
	s_and_b32 s5, s12, 31
	s_and_b32 s4, s4, 3
	s_or_b32 s16, s4, s5
	s_sub_u32 s4, s2, s8
	s_subb_u32 s5, s3, s9
	s_cmp_eq_u64 s[16:17], 0
	s_mov_b32 s2, -1
	s_cbranch_scc0 .LBB337_5
; %bb.1:
	v_dual_mov_b32 v2, 0 :: v_dual_lshlrev_b32 v1, 2, v0
	s_mov_b32 s16, exec_lo
	s_delay_alu instid0(VALU_DEP_1)
	v_cmpx_gt_i64_e64 s[4:5], v[1:2]
	s_cbranch_execz .LBB337_4
; %bb.2:
	s_load_b32 s17, s[0:1], 0xc5c
	v_lshlrev_b32_e32 v3, 5, v0
	s_lshl_b64 s[2:3], s[10:11], 19
	s_mov_b32 s18, 0
	s_waitcnt lgkmcnt(0)
	s_and_b32 s19, s17, 0xffff
	s_delay_alu instid0(SALU_CYCLE_1) | instskip(SKIP_3) | instid1(VALU_DEP_1)
	s_lshl_b32 s17, s19, 2
	s_add_u32 s2, s12, s2
	s_addc_u32 s3, s13, s3
	v_add_co_u32 v3, s2, s2, v3
	v_add_co_ci_u32_e64 v4, null, s3, 0, s2
	s_lshl_b32 s19, s19, 5
.LBB337_3:                              ; =>This Inner Loop Header: Depth=1
	s_clause 0x1
	global_load_b128 v[5:8], v[3:4], off
	global_load_b128 v[9:12], v[3:4], off offset:16
	v_add_co_u32 v13, vcc_lo, s14, v1
	v_add_co_ci_u32_e32 v14, vcc_lo, s15, v2, vcc_lo
	v_add_co_u32 v1, vcc_lo, s17, v1
	v_add_co_ci_u32_e32 v2, vcc_lo, 0, v2, vcc_lo
	v_add_co_u32 v3, s3, v3, s19
	s_delay_alu instid0(VALU_DEP_1) | instskip(NEXT) | instid1(VALU_DEP_3)
	v_add_co_ci_u32_e64 v4, s3, 0, v4, s3
	v_cmp_le_i64_e32 vcc_lo, s[4:5], v[1:2]
	s_waitcnt vmcnt(1)
	v_cmp_neq_f64_e64 s2, 0, v[7:8]
	s_delay_alu instid0(VALU_DEP_1) | instskip(SKIP_2) | instid1(VALU_DEP_2)
	v_cndmask_b32_e64 v7, 0, 1, s2
	s_waitcnt vmcnt(0)
	v_cmp_neq_f64_e64 s2, 0, v[11:12]
	v_lshlrev_b16 v7, 8, v7
	s_delay_alu instid0(VALU_DEP_2) | instskip(SKIP_1) | instid1(VALU_DEP_2)
	v_cndmask_b32_e64 v8, 0, 1, s2
	v_cmp_neq_f64_e64 s2, 0, v[5:6]
	v_lshlrev_b16 v8, 8, v8
	s_delay_alu instid0(VALU_DEP_2) | instskip(SKIP_1) | instid1(VALU_DEP_2)
	v_cndmask_b32_e64 v5, 0, 1, s2
	v_cmp_neq_f64_e64 s2, 0, v[9:10]
	v_or_b32_e32 v5, v5, v7
	s_delay_alu instid0(VALU_DEP_1) | instskip(NEXT) | instid1(VALU_DEP_3)
	v_and_b32_e32 v5, 0xffff, v5
	v_cndmask_b32_e64 v6, 0, 1, s2
	v_cmp_lt_u64_e64 s2, 0xffff, v[1:2]
	s_delay_alu instid0(VALU_DEP_2) | instskip(NEXT) | instid1(VALU_DEP_2)
	v_or_b32_e32 v6, v6, v8
	s_or_b32 s2, vcc_lo, s2
	s_delay_alu instid0(SALU_CYCLE_1) | instskip(NEXT) | instid1(VALU_DEP_1)
	s_and_b32 s2, exec_lo, s2
	v_lshlrev_b32_e32 v6, 16, v6
	s_or_b32 s18, s2, s18
	s_delay_alu instid0(VALU_DEP_1)
	v_or_b32_e32 v5, v5, v6
	global_store_b32 v[13:14], v5, off
	s_and_not1_b32 exec_lo, exec_lo, s18
	s_cbranch_execnz .LBB337_3
.LBB337_4:
	s_or_b32 exec_lo, exec_lo, s16
	s_mov_b32 s2, 0
.LBB337_5:
	s_delay_alu instid0(SALU_CYCLE_1)
	s_and_not1_b32 vcc_lo, exec_lo, s2
	s_cbranch_vccnz .LBB337_25
; %bb.6:
	v_cmp_lt_i64_e64 s2, s[4:5], 1
	s_delay_alu instid0(VALU_DEP_1)
	s_and_b32 vcc_lo, exec_lo, s2
	s_cbranch_vccnz .LBB337_25
; %bb.7:
	s_load_b32 s0, s[0:1], 0xc5c
	v_cmp_gt_u64_e64 s1, 0x10000, s[4:5]
	v_add_co_u32 v5, s2, s8, v0
	v_lshlrev_b32_e32 v1, 3, v0
	v_add_co_ci_u32_e64 v6, null, s9, 0, s2
	s_delay_alu instid0(VALU_DEP_3) | instskip(NEXT) | instid1(VALU_DEP_2)
	v_add_co_u32 v21, vcc_lo, s6, v5
                                        ; implicit-def: $vgpr9_vgpr10
                                        ; implicit-def: $vgpr11_vgpr12
                                        ; implicit-def: $vgpr7_vgpr8
	v_add_co_ci_u32_e32 v22, vcc_lo, s7, v6, vcc_lo
	s_waitcnt lgkmcnt(0)
	s_and_b32 s0, s0, 0xffff
	s_and_b32 s1, s1, exec_lo
	s_cselect_b32 s3, s5, 0
	s_cselect_b32 s2, s4, 0x10000
	s_lshl_b64 s[10:11], s[10:11], 19
	s_lshl_b32 s14, s0, 1
	s_lshl_b32 s1, s0, 2
	s_add_u32 s12, s12, s10
	s_mul_i32 s15, s0, 3
	s_addc_u32 s13, s13, s11
	s_lshl_b32 s10, s0, 5
	v_add_co_u32 v1, s16, s12, v1
	s_add_u32 s11, s8, s15
	v_add_co_ci_u32_e64 v2, null, s13, 0, s16
	s_addc_u32 s16, s9, 0
	s_add_u32 s11, s6, s11
	s_addc_u32 s16, s7, s16
	v_add_co_u32 v23, s11, s11, v0
	s_delay_alu instid0(VALU_DEP_1)
	v_add_co_ci_u32_e64 v24, null, s16, 0, s11
	v_add_co_u32 v25, s11, s15, v0
	v_add_co_u32 v27, s15, v0, s0
	v_add_co_ci_u32_e64 v26, null, 0, 0, s11
	s_lshl_b32 s11, s0, 4
	s_add_u32 s8, s8, s14
	s_addc_u32 s9, s9, 0
	s_add_u32 s8, s6, s8
	v_lshlrev_b32_e32 v3, 3, v27
	s_addc_u32 s9, s7, s9
	v_add_co_u32 v28, s8, s8, v0
	s_delay_alu instid0(VALU_DEP_1)
	v_add_co_ci_u32_e64 v29, null, s9, 0, s8
	v_add_co_u32 v31, s8, s14, v0
	s_add_u32 s6, s6, s0
	v_add_co_ci_u32_e64 v32, null, 0, 0, s8
	v_add_co_u32 v3, s8, s12, v3
	s_addc_u32 s7, s7, 0
	v_add_co_u32 v33, vcc_lo, s6, v5
	v_add_co_ci_u32_e64 v30, null, 0, 0, s15
	v_add_co_ci_u32_e64 v4, null, s13, 0, s8
	v_add_co_ci_u32_e32 v34, vcc_lo, s7, v6, vcc_lo
	s_mul_i32 s8, s0, 24
	s_mov_b64 s[6:7], 0
                                        ; implicit-def: $vgpr5_vgpr6
	s_branch .LBB337_9
.LBB337_8:                              ;   in Loop: Header=BB337_9 Depth=1
	s_or_b32 exec_lo, exec_lo, s0
	s_add_u32 s6, s6, s1
	s_addc_u32 s7, s7, 0
	v_add_co_u32 v1, vcc_lo, v1, s10
	v_cmp_ge_i64_e64 s0, s[6:7], s[4:5]
	v_cmp_lt_u64_e64 s9, 0xffff, s[6:7]
	v_add_co_ci_u32_e32 v2, vcc_lo, 0, v2, vcc_lo
	v_add_co_u32 v3, vcc_lo, v3, s10
	v_add_co_ci_u32_e32 v4, vcc_lo, 0, v4, vcc_lo
	s_delay_alu instid0(VALU_DEP_4) | instskip(NEXT) | instid1(SALU_CYCLE_1)
	s_or_b32 s0, s0, s9
	s_and_b32 vcc_lo, exec_lo, s0
	s_cbranch_vccnz .LBB337_25
.LBB337_9:                              ; =>This Inner Loop Header: Depth=1
	v_add_co_u32 v13, s0, v0, s6
	s_delay_alu instid0(VALU_DEP_1) | instskip(NEXT) | instid1(VALU_DEP_1)
	v_add_co_ci_u32_e64 v14, null, 0, s7, s0
	v_cmp_gt_i64_e32 vcc_lo, s[4:5], v[13:14]
	v_cmp_gt_u64_e64 s0, 0x10000, v[13:14]
	s_delay_alu instid0(VALU_DEP_1) | instskip(NEXT) | instid1(SALU_CYCLE_1)
	s_and_b32 s9, vcc_lo, s0
	s_and_saveexec_b32 s0, s9
	s_cbranch_execz .LBB337_11
; %bb.10:                               ;   in Loop: Header=BB337_9 Depth=1
	global_load_b64 v[7:8], v[1:2], off
.LBB337_11:                             ;   in Loop: Header=BB337_9 Depth=1
	s_or_b32 exec_lo, exec_lo, s0
	v_add_co_u32 v15, vcc_lo, v27, s6
	v_add_co_ci_u32_e32 v16, vcc_lo, s7, v30, vcc_lo
	s_delay_alu instid0(VALU_DEP_1) | instskip(SKIP_1) | instid1(VALU_DEP_1)
	v_cmp_gt_i64_e32 vcc_lo, s[4:5], v[15:16]
	v_cmp_gt_u64_e64 s0, 0x10000, v[15:16]
	s_and_b32 s9, vcc_lo, s0
	s_delay_alu instid0(SALU_CYCLE_1)
	s_and_saveexec_b32 s0, s9
	s_cbranch_execz .LBB337_13
; %bb.12:                               ;   in Loop: Header=BB337_9 Depth=1
	global_load_b64 v[5:6], v[3:4], off
.LBB337_13:                             ;   in Loop: Header=BB337_9 Depth=1
	s_or_b32 exec_lo, exec_lo, s0
	v_add_co_u32 v17, vcc_lo, v31, s6
	v_add_co_ci_u32_e32 v18, vcc_lo, s7, v32, vcc_lo
	s_delay_alu instid0(VALU_DEP_1) | instskip(SKIP_1) | instid1(VALU_DEP_1)
	v_cmp_gt_i64_e32 vcc_lo, s[4:5], v[17:18]
	v_cmp_gt_u64_e64 s0, 0x10000, v[17:18]
	s_and_b32 s9, vcc_lo, s0
	s_delay_alu instid0(SALU_CYCLE_1)
	s_and_saveexec_b32 s0, s9
	s_cbranch_execz .LBB337_15
; %bb.14:                               ;   in Loop: Header=BB337_9 Depth=1
	s_waitcnt vmcnt(0)
	v_add_co_u32 v11, vcc_lo, v1, s11
	v_add_co_ci_u32_e32 v12, vcc_lo, 0, v2, vcc_lo
	global_load_b64 v[11:12], v[11:12], off
.LBB337_15:                             ;   in Loop: Header=BB337_9 Depth=1
	s_or_b32 exec_lo, exec_lo, s0
	v_add_co_u32 v19, vcc_lo, v25, s6
	v_add_co_ci_u32_e32 v20, vcc_lo, s7, v26, vcc_lo
	s_delay_alu instid0(VALU_DEP_1) | instskip(SKIP_1) | instid1(VALU_DEP_1)
	v_cmp_gt_i64_e32 vcc_lo, s[4:5], v[19:20]
	v_cmp_gt_u64_e64 s0, 0x10000, v[19:20]
	s_and_b32 s9, vcc_lo, s0
	s_delay_alu instid0(SALU_CYCLE_1)
	s_and_saveexec_b32 s0, s9
	s_cbranch_execnz .LBB337_20
; %bb.16:                               ;   in Loop: Header=BB337_9 Depth=1
	s_or_b32 exec_lo, exec_lo, s0
	s_delay_alu instid0(SALU_CYCLE_1)
	s_mov_b32 s0, exec_lo
	v_cmpx_gt_u64_e64 s[2:3], v[13:14]
	s_cbranch_execnz .LBB337_21
.LBB337_17:                             ;   in Loop: Header=BB337_9 Depth=1
	s_or_b32 exec_lo, exec_lo, s0
	s_delay_alu instid0(SALU_CYCLE_1)
	s_mov_b32 s0, exec_lo
	v_cmpx_gt_u64_e64 s[2:3], v[15:16]
	s_cbranch_execnz .LBB337_22
.LBB337_18:                             ;   in Loop: Header=BB337_9 Depth=1
	s_or_b32 exec_lo, exec_lo, s0
	s_delay_alu instid0(SALU_CYCLE_1)
	s_mov_b32 s0, exec_lo
	v_cmpx_gt_u64_e64 s[2:3], v[17:18]
	s_cbranch_execnz .LBB337_23
.LBB337_19:                             ;   in Loop: Header=BB337_9 Depth=1
	s_or_b32 exec_lo, exec_lo, s0
	s_delay_alu instid0(SALU_CYCLE_1)
	s_mov_b32 s0, exec_lo
	v_cmpx_gt_u64_e64 s[2:3], v[19:20]
	s_cbranch_execz .LBB337_8
	s_branch .LBB337_24
.LBB337_20:                             ;   in Loop: Header=BB337_9 Depth=1
	s_waitcnt vmcnt(0)
	v_add_co_u32 v9, vcc_lo, v1, s8
	v_add_co_ci_u32_e32 v10, vcc_lo, 0, v2, vcc_lo
	global_load_b64 v[9:10], v[9:10], off
	s_or_b32 exec_lo, exec_lo, s0
	s_delay_alu instid0(SALU_CYCLE_1)
	s_mov_b32 s0, exec_lo
	v_cmpx_gt_u64_e64 s[2:3], v[13:14]
	s_cbranch_execz .LBB337_17
.LBB337_21:                             ;   in Loop: Header=BB337_9 Depth=1
	v_add_co_u32 v13, vcc_lo, v21, s6
	v_add_co_ci_u32_e32 v14, vcc_lo, s7, v22, vcc_lo
	s_waitcnt vmcnt(0)
	v_cmp_neq_f64_e32 vcc_lo, 0, v[7:8]
	v_cndmask_b32_e64 v35, 0, 1, vcc_lo
	global_store_b8 v[13:14], v35, off
	s_or_b32 exec_lo, exec_lo, s0
	s_delay_alu instid0(SALU_CYCLE_1)
	s_mov_b32 s0, exec_lo
	v_cmpx_gt_u64_e64 s[2:3], v[15:16]
	s_cbranch_execz .LBB337_18
.LBB337_22:                             ;   in Loop: Header=BB337_9 Depth=1
	s_waitcnt vmcnt(0)
	v_cmp_neq_f64_e32 vcc_lo, 0, v[5:6]
	v_cndmask_b32_e64 v15, 0, 1, vcc_lo
	v_add_co_u32 v13, vcc_lo, v33, s6
	v_add_co_ci_u32_e32 v14, vcc_lo, s7, v34, vcc_lo
	global_store_b8 v[13:14], v15, off
	s_or_b32 exec_lo, exec_lo, s0
	s_delay_alu instid0(SALU_CYCLE_1)
	s_mov_b32 s0, exec_lo
	v_cmpx_gt_u64_e64 s[2:3], v[17:18]
	s_cbranch_execz .LBB337_19
.LBB337_23:                             ;   in Loop: Header=BB337_9 Depth=1
	s_waitcnt vmcnt(0)
	v_cmp_neq_f64_e32 vcc_lo, 0, v[11:12]
	v_cndmask_b32_e64 v15, 0, 1, vcc_lo
	v_add_co_u32 v13, vcc_lo, v28, s6
	v_add_co_ci_u32_e32 v14, vcc_lo, s7, v29, vcc_lo
	global_store_b8 v[13:14], v15, off
	s_or_b32 exec_lo, exec_lo, s0
	s_delay_alu instid0(SALU_CYCLE_1)
	s_mov_b32 s0, exec_lo
	v_cmpx_gt_u64_e64 s[2:3], v[19:20]
	s_cbranch_execz .LBB337_8
.LBB337_24:                             ;   in Loop: Header=BB337_9 Depth=1
	s_waitcnt vmcnt(0)
	v_cmp_neq_f64_e32 vcc_lo, 0, v[9:10]
	v_cndmask_b32_e64 v15, 0, 1, vcc_lo
	v_add_co_u32 v13, vcc_lo, v23, s6
	v_add_co_ci_u32_e32 v14, vcc_lo, s7, v24, vcc_lo
	global_store_b8 v[13:14], v15, off
	s_branch .LBB337_8
.LBB337_25:
	s_nop 0
	s_sendmsg sendmsg(MSG_DEALLOC_VGPRS)
	s_endpgm
	.section	.rodata,"a",@progbits
	.p2align	6, 0x0
	.amdhsa_kernel _ZN2at6native12_GLOBAL__N_125multi_tensor_apply_kernelINS1_18TensorListMetadataILi2EEENS1_11CopyFunctorIbdLi2ELi1ELi1EEEJNS0_4CopyIbdEEEEEvT_T0_DpT1_
		.amdhsa_group_segment_fixed_size 0
		.amdhsa_private_segment_fixed_size 0
		.amdhsa_kernarg_size 3408
		.amdhsa_user_sgpr_count 15
		.amdhsa_user_sgpr_dispatch_ptr 0
		.amdhsa_user_sgpr_queue_ptr 0
		.amdhsa_user_sgpr_kernarg_segment_ptr 1
		.amdhsa_user_sgpr_dispatch_id 0
		.amdhsa_user_sgpr_private_segment_size 0
		.amdhsa_wavefront_size32 1
		.amdhsa_uses_dynamic_stack 0
		.amdhsa_enable_private_segment 0
		.amdhsa_system_sgpr_workgroup_id_x 1
		.amdhsa_system_sgpr_workgroup_id_y 0
		.amdhsa_system_sgpr_workgroup_id_z 0
		.amdhsa_system_sgpr_workgroup_info 0
		.amdhsa_system_vgpr_workitem_id 0
		.amdhsa_next_free_vgpr 36
		.amdhsa_next_free_sgpr 20
		.amdhsa_reserve_vcc 1
		.amdhsa_float_round_mode_32 0
		.amdhsa_float_round_mode_16_64 0
		.amdhsa_float_denorm_mode_32 3
		.amdhsa_float_denorm_mode_16_64 3
		.amdhsa_dx10_clamp 1
		.amdhsa_ieee_mode 1
		.amdhsa_fp16_overflow 0
		.amdhsa_workgroup_processor_mode 1
		.amdhsa_memory_ordered 1
		.amdhsa_forward_progress 0
		.amdhsa_shared_vgpr_count 0
		.amdhsa_exception_fp_ieee_invalid_op 0
		.amdhsa_exception_fp_denorm_src 0
		.amdhsa_exception_fp_ieee_div_zero 0
		.amdhsa_exception_fp_ieee_overflow 0
		.amdhsa_exception_fp_ieee_underflow 0
		.amdhsa_exception_fp_ieee_inexact 0
		.amdhsa_exception_int_div_zero 0
	.end_amdhsa_kernel
	.section	.text._ZN2at6native12_GLOBAL__N_125multi_tensor_apply_kernelINS1_18TensorListMetadataILi2EEENS1_11CopyFunctorIbdLi2ELi1ELi1EEEJNS0_4CopyIbdEEEEEvT_T0_DpT1_,"axG",@progbits,_ZN2at6native12_GLOBAL__N_125multi_tensor_apply_kernelINS1_18TensorListMetadataILi2EEENS1_11CopyFunctorIbdLi2ELi1ELi1EEEJNS0_4CopyIbdEEEEEvT_T0_DpT1_,comdat
.Lfunc_end337:
	.size	_ZN2at6native12_GLOBAL__N_125multi_tensor_apply_kernelINS1_18TensorListMetadataILi2EEENS1_11CopyFunctorIbdLi2ELi1ELi1EEEJNS0_4CopyIbdEEEEEvT_T0_DpT1_, .Lfunc_end337-_ZN2at6native12_GLOBAL__N_125multi_tensor_apply_kernelINS1_18TensorListMetadataILi2EEENS1_11CopyFunctorIbdLi2ELi1ELi1EEEJNS0_4CopyIbdEEEEEvT_T0_DpT1_
                                        ; -- End function
	.section	.AMDGPU.csdata,"",@progbits
; Kernel info:
; codeLenInByte = 1544
; NumSgprs: 22
; NumVgprs: 36
; ScratchSize: 0
; MemoryBound: 0
; FloatMode: 240
; IeeeMode: 1
; LDSByteSize: 0 bytes/workgroup (compile time only)
; SGPRBlocks: 2
; VGPRBlocks: 4
; NumSGPRsForWavesPerEU: 22
; NumVGPRsForWavesPerEU: 36
; Occupancy: 16
; WaveLimiterHint : 0
; COMPUTE_PGM_RSRC2:SCRATCH_EN: 0
; COMPUTE_PGM_RSRC2:USER_SGPR: 15
; COMPUTE_PGM_RSRC2:TRAP_HANDLER: 0
; COMPUTE_PGM_RSRC2:TGID_X_EN: 1
; COMPUTE_PGM_RSRC2:TGID_Y_EN: 0
; COMPUTE_PGM_RSRC2:TGID_Z_EN: 0
; COMPUTE_PGM_RSRC2:TIDIG_COMP_CNT: 0
	.section	.text._ZN2at6native12_GLOBAL__N_125multi_tensor_apply_kernelINS1_18TensorListMetadataILi2EEENS1_11CopyFunctorIbfLi2ELi1ELi1EEEJNS0_4CopyIbfEEEEEvT_T0_DpT1_,"axG",@progbits,_ZN2at6native12_GLOBAL__N_125multi_tensor_apply_kernelINS1_18TensorListMetadataILi2EEENS1_11CopyFunctorIbfLi2ELi1ELi1EEEJNS0_4CopyIbfEEEEEvT_T0_DpT1_,comdat
	.globl	_ZN2at6native12_GLOBAL__N_125multi_tensor_apply_kernelINS1_18TensorListMetadataILi2EEENS1_11CopyFunctorIbfLi2ELi1ELi1EEEJNS0_4CopyIbfEEEEEvT_T0_DpT1_ ; -- Begin function _ZN2at6native12_GLOBAL__N_125multi_tensor_apply_kernelINS1_18TensorListMetadataILi2EEENS1_11CopyFunctorIbfLi2ELi1ELi1EEEJNS0_4CopyIbfEEEEEvT_T0_DpT1_
	.p2align	8
	.type	_ZN2at6native12_GLOBAL__N_125multi_tensor_apply_kernelINS1_18TensorListMetadataILi2EEENS1_11CopyFunctorIbfLi2ELi1ELi1EEEJNS0_4CopyIbfEEEEEvT_T0_DpT1_,@function
_ZN2at6native12_GLOBAL__N_125multi_tensor_apply_kernelINS1_18TensorListMetadataILi2EEENS1_11CopyFunctorIbfLi2ELi1ELi1EEEJNS0_4CopyIbfEEEEEvT_T0_DpT1_: ; @_ZN2at6native12_GLOBAL__N_125multi_tensor_apply_kernelINS1_18TensorListMetadataILi2EEENS1_11CopyFunctorIbfLi2ELi1ELi1EEEJNS0_4CopyIbfEEEEEvT_T0_DpT1_
; %bb.0:
	v_mov_b32_e32 v1, s15
	s_add_u32 s2, s0, s15
	s_mul_i32 s4, s15, 3
	s_addc_u32 s3, s1, 0
	s_mul_hi_u32 s5, s15, 3
	global_load_u8 v1, v1, s[0:1] offset:1536
	s_add_u32 s2, s2, s4
	s_addc_u32 s3, s3, s5
	s_mov_b32 s17, 0
	s_load_b32 s10, s[2:3], 0x740
	s_waitcnt lgkmcnt(0)
	s_ashr_i32 s11, s10, 31
	s_delay_alu instid0(SALU_CYCLE_1) | instskip(SKIP_2) | instid1(VALU_DEP_1)
	s_lshl_b64 s[8:9], s[10:11], 16
	s_waitcnt vmcnt(0)
	v_readfirstlane_b32 s4, v1
	s_lshl_b32 s4, s4, 3
	s_clause 0x2
	s_load_b64 s[6:7], s[0:1], s4 offset:0x200
	s_load_b64 s[2:3], s[0:1], s4 offset:0x400
	;; [unrolled: 1-line block ×3, first 2 shown]
	s_waitcnt lgkmcnt(0)
	s_add_u32 s14, s6, s8
	s_addc_u32 s15, s7, s9
	s_delay_alu instid0(SALU_CYCLE_1) | instskip(SKIP_2) | instid1(SALU_CYCLE_1)
	s_or_b64 s[4:5], s[2:3], s[14:15]
	s_and_b32 s5, s12, 15
	s_and_b32 s4, s4, 3
	s_or_b32 s16, s4, s5
	s_sub_u32 s4, s2, s8
	s_subb_u32 s5, s3, s9
	s_cmp_eq_u64 s[16:17], 0
	s_mov_b32 s2, -1
	s_cbranch_scc0 .LBB338_5
; %bb.1:
	v_dual_mov_b32 v2, 0 :: v_dual_lshlrev_b32 v1, 2, v0
	s_mov_b32 s16, exec_lo
	s_delay_alu instid0(VALU_DEP_1)
	v_cmpx_gt_i64_e64 s[4:5], v[1:2]
	s_cbranch_execz .LBB338_4
; %bb.2:
	s_load_b32 s17, s[0:1], 0xc5c
	v_lshlrev_b32_e32 v3, 4, v0
	s_lshl_b64 s[2:3], s[10:11], 18
	s_mov_b32 s18, 0
	s_waitcnt lgkmcnt(0)
	s_and_b32 s19, s17, 0xffff
	s_delay_alu instid0(SALU_CYCLE_1) | instskip(SKIP_3) | instid1(VALU_DEP_1)
	s_lshl_b32 s17, s19, 2
	s_add_u32 s2, s12, s2
	s_addc_u32 s3, s13, s3
	v_add_co_u32 v3, s2, s2, v3
	v_add_co_ci_u32_e64 v4, null, s3, 0, s2
	s_lshl_b32 s19, s19, 4
.LBB338_3:                              ; =>This Inner Loop Header: Depth=1
	global_load_b128 v[5:8], v[3:4], off
	v_add_co_u32 v9, vcc_lo, s14, v1
	v_add_co_ci_u32_e32 v10, vcc_lo, s15, v2, vcc_lo
	v_add_co_u32 v1, vcc_lo, s17, v1
	v_add_co_ci_u32_e32 v2, vcc_lo, 0, v2, vcc_lo
	v_add_co_u32 v3, s3, v3, s19
	s_delay_alu instid0(VALU_DEP_1) | instskip(NEXT) | instid1(VALU_DEP_3)
	v_add_co_ci_u32_e64 v4, s3, 0, v4, s3
	v_cmp_le_i64_e32 vcc_lo, s[4:5], v[1:2]
	s_waitcnt vmcnt(0)
	v_cmp_neq_f32_e64 s2, 0, v6
	s_delay_alu instid0(VALU_DEP_1) | instskip(SKIP_1) | instid1(VALU_DEP_2)
	v_cndmask_b32_e64 v6, 0, 1, s2
	v_cmp_neq_f32_e64 s2, 0, v8
	v_lshlrev_b16 v6, 8, v6
	s_delay_alu instid0(VALU_DEP_2) | instskip(SKIP_1) | instid1(VALU_DEP_2)
	v_cndmask_b32_e64 v8, 0, 1, s2
	v_cmp_neq_f32_e64 s2, 0, v5
	v_lshlrev_b16 v8, 8, v8
	s_delay_alu instid0(VALU_DEP_2) | instskip(SKIP_1) | instid1(VALU_DEP_2)
	v_cndmask_b32_e64 v5, 0, 1, s2
	v_cmp_neq_f32_e64 s2, 0, v7
	v_or_b32_e32 v5, v5, v6
	s_delay_alu instid0(VALU_DEP_2) | instskip(SKIP_1) | instid1(VALU_DEP_3)
	v_cndmask_b32_e64 v7, 0, 1, s2
	v_cmp_lt_u64_e64 s2, 0xffff, v[1:2]
	v_and_b32_e32 v5, 0xffff, v5
	s_delay_alu instid0(VALU_DEP_3) | instskip(NEXT) | instid1(VALU_DEP_3)
	v_or_b32_e32 v6, v7, v8
	s_or_b32 s2, vcc_lo, s2
	s_delay_alu instid0(SALU_CYCLE_1) | instskip(NEXT) | instid1(VALU_DEP_1)
	s_and_b32 s2, exec_lo, s2
	v_lshlrev_b32_e32 v6, 16, v6
	s_or_b32 s18, s2, s18
	s_delay_alu instid0(VALU_DEP_1)
	v_or_b32_e32 v5, v5, v6
	global_store_b32 v[9:10], v5, off
	s_and_not1_b32 exec_lo, exec_lo, s18
	s_cbranch_execnz .LBB338_3
.LBB338_4:
	s_or_b32 exec_lo, exec_lo, s16
	s_mov_b32 s2, 0
.LBB338_5:
	s_delay_alu instid0(SALU_CYCLE_1)
	s_and_not1_b32 vcc_lo, exec_lo, s2
	s_cbranch_vccnz .LBB338_25
; %bb.6:
	v_cmp_lt_i64_e64 s2, s[4:5], 1
	s_delay_alu instid0(VALU_DEP_1)
	s_and_b32 vcc_lo, exec_lo, s2
	s_cbranch_vccnz .LBB338_25
; %bb.7:
	s_load_b32 s0, s[0:1], 0xc5c
	v_cmp_gt_u64_e64 s1, 0x10000, s[4:5]
	v_add_co_u32 v5, s2, s8, v0
	v_lshlrev_b32_e32 v1, 2, v0
	v_add_co_ci_u32_e64 v6, null, s9, 0, s2
	s_delay_alu instid0(VALU_DEP_3) | instskip(NEXT) | instid1(VALU_DEP_2)
	v_add_co_u32 v13, vcc_lo, s6, v5
                                        ; implicit-def: $vgpr29
                                        ; implicit-def: $vgpr30
                                        ; implicit-def: $vgpr27
                                        ; implicit-def: $vgpr28
	v_add_co_ci_u32_e32 v14, vcc_lo, s7, v6, vcc_lo
	s_waitcnt lgkmcnt(0)
	s_and_b32 s0, s0, 0xffff
	s_and_b32 s1, s1, exec_lo
	s_cselect_b32 s3, s5, 0
	s_cselect_b32 s2, s4, 0x10000
	s_lshl_b64 s[10:11], s[10:11], 18
	s_lshl_b32 s14, s0, 1
	s_lshl_b32 s1, s0, 2
	s_add_u32 s12, s12, s10
	s_mul_i32 s15, s0, 3
	s_addc_u32 s13, s13, s11
	s_lshl_b32 s10, s0, 4
	v_add_co_u32 v1, s16, s12, v1
	s_add_u32 s11, s8, s15
	v_add_co_ci_u32_e64 v2, null, s13, 0, s16
	s_addc_u32 s16, s9, 0
	s_add_u32 s11, s6, s11
	s_addc_u32 s16, s7, s16
	v_add_co_u32 v15, s11, s11, v0
	s_delay_alu instid0(VALU_DEP_1)
	v_add_co_ci_u32_e64 v16, null, s16, 0, s11
	v_add_co_u32 v17, s11, s15, v0
	v_add_co_u32 v19, s15, v0, s0
	v_add_co_ci_u32_e64 v18, null, 0, 0, s11
	s_lshl_b32 s11, s0, 3
	s_add_u32 s8, s8, s14
	s_addc_u32 s9, s9, 0
	s_add_u32 s8, s6, s8
	v_lshlrev_b32_e32 v3, 2, v19
	s_addc_u32 s9, s7, s9
	v_add_co_u32 v20, s8, s8, v0
	s_delay_alu instid0(VALU_DEP_1)
	v_add_co_ci_u32_e64 v21, null, s9, 0, s8
	v_add_co_u32 v23, s8, s14, v0
	s_add_u32 s6, s6, s0
	v_add_co_ci_u32_e64 v24, null, 0, 0, s8
	v_add_co_u32 v3, s8, s12, v3
	s_addc_u32 s7, s7, 0
	v_add_co_u32 v25, vcc_lo, s6, v5
	v_add_co_ci_u32_e64 v22, null, 0, 0, s15
	v_add_co_ci_u32_e64 v4, null, s13, 0, s8
	v_add_co_ci_u32_e32 v26, vcc_lo, s7, v6, vcc_lo
	s_mul_i32 s8, s0, 12
	s_mov_b64 s[6:7], 0
	s_branch .LBB338_9
.LBB338_8:                              ;   in Loop: Header=BB338_9 Depth=1
	s_or_b32 exec_lo, exec_lo, s0
	s_add_u32 s6, s6, s1
	s_addc_u32 s7, s7, 0
	v_add_co_u32 v1, vcc_lo, v1, s10
	v_cmp_ge_i64_e64 s0, s[6:7], s[4:5]
	v_cmp_lt_u64_e64 s9, 0xffff, s[6:7]
	v_add_co_ci_u32_e32 v2, vcc_lo, 0, v2, vcc_lo
	v_add_co_u32 v3, vcc_lo, v3, s10
	v_add_co_ci_u32_e32 v4, vcc_lo, 0, v4, vcc_lo
	s_delay_alu instid0(VALU_DEP_4) | instskip(NEXT) | instid1(SALU_CYCLE_1)
	s_or_b32 s0, s0, s9
	s_and_b32 vcc_lo, exec_lo, s0
	s_cbranch_vccnz .LBB338_25
.LBB338_9:                              ; =>This Inner Loop Header: Depth=1
	v_add_co_u32 v5, s0, v0, s6
	s_delay_alu instid0(VALU_DEP_1) | instskip(NEXT) | instid1(VALU_DEP_1)
	v_add_co_ci_u32_e64 v6, null, 0, s7, s0
	v_cmp_gt_i64_e32 vcc_lo, s[4:5], v[5:6]
	v_cmp_gt_u64_e64 s0, 0x10000, v[5:6]
	s_delay_alu instid0(VALU_DEP_1) | instskip(NEXT) | instid1(SALU_CYCLE_1)
	s_and_b32 s9, vcc_lo, s0
	s_and_saveexec_b32 s0, s9
	s_cbranch_execz .LBB338_11
; %bb.10:                               ;   in Loop: Header=BB338_9 Depth=1
	global_load_b32 v28, v[1:2], off
.LBB338_11:                             ;   in Loop: Header=BB338_9 Depth=1
	s_or_b32 exec_lo, exec_lo, s0
	v_add_co_u32 v7, vcc_lo, v19, s6
	v_add_co_ci_u32_e32 v8, vcc_lo, s7, v22, vcc_lo
	s_delay_alu instid0(VALU_DEP_1) | instskip(SKIP_1) | instid1(VALU_DEP_1)
	v_cmp_gt_i64_e32 vcc_lo, s[4:5], v[7:8]
	v_cmp_gt_u64_e64 s0, 0x10000, v[7:8]
	s_and_b32 s9, vcc_lo, s0
	s_delay_alu instid0(SALU_CYCLE_1)
	s_and_saveexec_b32 s0, s9
	s_cbranch_execz .LBB338_13
; %bb.12:                               ;   in Loop: Header=BB338_9 Depth=1
	global_load_b32 v27, v[3:4], off
.LBB338_13:                             ;   in Loop: Header=BB338_9 Depth=1
	s_or_b32 exec_lo, exec_lo, s0
	v_add_co_u32 v9, vcc_lo, v23, s6
	v_add_co_ci_u32_e32 v10, vcc_lo, s7, v24, vcc_lo
	s_delay_alu instid0(VALU_DEP_1) | instskip(SKIP_1) | instid1(VALU_DEP_1)
	v_cmp_gt_i64_e32 vcc_lo, s[4:5], v[9:10]
	v_cmp_gt_u64_e64 s0, 0x10000, v[9:10]
	s_and_b32 s9, vcc_lo, s0
	s_delay_alu instid0(SALU_CYCLE_1)
	s_and_saveexec_b32 s0, s9
	s_cbranch_execz .LBB338_15
; %bb.14:                               ;   in Loop: Header=BB338_9 Depth=1
	v_add_co_u32 v11, vcc_lo, v1, s11
	v_add_co_ci_u32_e32 v12, vcc_lo, 0, v2, vcc_lo
	global_load_b32 v30, v[11:12], off
.LBB338_15:                             ;   in Loop: Header=BB338_9 Depth=1
	s_or_b32 exec_lo, exec_lo, s0
	v_add_co_u32 v11, vcc_lo, v17, s6
	v_add_co_ci_u32_e32 v12, vcc_lo, s7, v18, vcc_lo
	s_delay_alu instid0(VALU_DEP_1) | instskip(SKIP_1) | instid1(VALU_DEP_1)
	v_cmp_gt_i64_e32 vcc_lo, s[4:5], v[11:12]
	v_cmp_gt_u64_e64 s0, 0x10000, v[11:12]
	s_and_b32 s9, vcc_lo, s0
	s_delay_alu instid0(SALU_CYCLE_1)
	s_and_saveexec_b32 s0, s9
	s_cbranch_execnz .LBB338_20
; %bb.16:                               ;   in Loop: Header=BB338_9 Depth=1
	s_or_b32 exec_lo, exec_lo, s0
	s_delay_alu instid0(SALU_CYCLE_1)
	s_mov_b32 s0, exec_lo
	v_cmpx_gt_u64_e64 s[2:3], v[5:6]
	s_cbranch_execnz .LBB338_21
.LBB338_17:                             ;   in Loop: Header=BB338_9 Depth=1
	s_or_b32 exec_lo, exec_lo, s0
	s_delay_alu instid0(SALU_CYCLE_1)
	s_mov_b32 s0, exec_lo
	v_cmpx_gt_u64_e64 s[2:3], v[7:8]
	s_cbranch_execnz .LBB338_22
.LBB338_18:                             ;   in Loop: Header=BB338_9 Depth=1
	s_or_b32 exec_lo, exec_lo, s0
	s_delay_alu instid0(SALU_CYCLE_1)
	s_mov_b32 s0, exec_lo
	v_cmpx_gt_u64_e64 s[2:3], v[9:10]
	s_cbranch_execnz .LBB338_23
.LBB338_19:                             ;   in Loop: Header=BB338_9 Depth=1
	s_or_b32 exec_lo, exec_lo, s0
	s_delay_alu instid0(SALU_CYCLE_1)
	s_mov_b32 s0, exec_lo
	v_cmpx_gt_u64_e64 s[2:3], v[11:12]
	s_cbranch_execz .LBB338_8
	s_branch .LBB338_24
.LBB338_20:                             ;   in Loop: Header=BB338_9 Depth=1
	v_add_co_u32 v31, vcc_lo, v1, s8
	v_add_co_ci_u32_e32 v32, vcc_lo, 0, v2, vcc_lo
	global_load_b32 v29, v[31:32], off
	s_or_b32 exec_lo, exec_lo, s0
	s_delay_alu instid0(SALU_CYCLE_1)
	s_mov_b32 s0, exec_lo
	v_cmpx_gt_u64_e64 s[2:3], v[5:6]
	s_cbranch_execz .LBB338_17
.LBB338_21:                             ;   in Loop: Header=BB338_9 Depth=1
	v_add_co_u32 v5, vcc_lo, v13, s6
	v_add_co_ci_u32_e32 v6, vcc_lo, s7, v14, vcc_lo
	s_waitcnt vmcnt(0)
	v_cmp_neq_f32_e32 vcc_lo, 0, v28
	v_cndmask_b32_e64 v31, 0, 1, vcc_lo
	global_store_b8 v[5:6], v31, off
	s_or_b32 exec_lo, exec_lo, s0
	s_delay_alu instid0(SALU_CYCLE_1)
	s_mov_b32 s0, exec_lo
	v_cmpx_gt_u64_e64 s[2:3], v[7:8]
	s_cbranch_execz .LBB338_18
.LBB338_22:                             ;   in Loop: Header=BB338_9 Depth=1
	s_waitcnt vmcnt(0)
	v_cmp_neq_f32_e32 vcc_lo, 0, v27
	v_cndmask_b32_e64 v7, 0, 1, vcc_lo
	v_add_co_u32 v5, vcc_lo, v25, s6
	v_add_co_ci_u32_e32 v6, vcc_lo, s7, v26, vcc_lo
	global_store_b8 v[5:6], v7, off
	s_or_b32 exec_lo, exec_lo, s0
	s_delay_alu instid0(SALU_CYCLE_1)
	s_mov_b32 s0, exec_lo
	v_cmpx_gt_u64_e64 s[2:3], v[9:10]
	s_cbranch_execz .LBB338_19
.LBB338_23:                             ;   in Loop: Header=BB338_9 Depth=1
	s_waitcnt vmcnt(0)
	v_cmp_neq_f32_e32 vcc_lo, 0, v30
	v_cndmask_b32_e64 v7, 0, 1, vcc_lo
	v_add_co_u32 v5, vcc_lo, v20, s6
	v_add_co_ci_u32_e32 v6, vcc_lo, s7, v21, vcc_lo
	global_store_b8 v[5:6], v7, off
	s_or_b32 exec_lo, exec_lo, s0
	s_delay_alu instid0(SALU_CYCLE_1)
	s_mov_b32 s0, exec_lo
	v_cmpx_gt_u64_e64 s[2:3], v[11:12]
	s_cbranch_execz .LBB338_8
.LBB338_24:                             ;   in Loop: Header=BB338_9 Depth=1
	s_waitcnt vmcnt(0)
	v_cmp_neq_f32_e32 vcc_lo, 0, v29
	v_cndmask_b32_e64 v7, 0, 1, vcc_lo
	v_add_co_u32 v5, vcc_lo, v15, s6
	v_add_co_ci_u32_e32 v6, vcc_lo, s7, v16, vcc_lo
	global_store_b8 v[5:6], v7, off
	s_branch .LBB338_8
.LBB338_25:
	s_nop 0
	s_sendmsg sendmsg(MSG_DEALLOC_VGPRS)
	s_endpgm
	.section	.rodata,"a",@progbits
	.p2align	6, 0x0
	.amdhsa_kernel _ZN2at6native12_GLOBAL__N_125multi_tensor_apply_kernelINS1_18TensorListMetadataILi2EEENS1_11CopyFunctorIbfLi2ELi1ELi1EEEJNS0_4CopyIbfEEEEEvT_T0_DpT1_
		.amdhsa_group_segment_fixed_size 0
		.amdhsa_private_segment_fixed_size 0
		.amdhsa_kernarg_size 3408
		.amdhsa_user_sgpr_count 15
		.amdhsa_user_sgpr_dispatch_ptr 0
		.amdhsa_user_sgpr_queue_ptr 0
		.amdhsa_user_sgpr_kernarg_segment_ptr 1
		.amdhsa_user_sgpr_dispatch_id 0
		.amdhsa_user_sgpr_private_segment_size 0
		.amdhsa_wavefront_size32 1
		.amdhsa_uses_dynamic_stack 0
		.amdhsa_enable_private_segment 0
		.amdhsa_system_sgpr_workgroup_id_x 1
		.amdhsa_system_sgpr_workgroup_id_y 0
		.amdhsa_system_sgpr_workgroup_id_z 0
		.amdhsa_system_sgpr_workgroup_info 0
		.amdhsa_system_vgpr_workitem_id 0
		.amdhsa_next_free_vgpr 33
		.amdhsa_next_free_sgpr 20
		.amdhsa_reserve_vcc 1
		.amdhsa_float_round_mode_32 0
		.amdhsa_float_round_mode_16_64 0
		.amdhsa_float_denorm_mode_32 3
		.amdhsa_float_denorm_mode_16_64 3
		.amdhsa_dx10_clamp 1
		.amdhsa_ieee_mode 1
		.amdhsa_fp16_overflow 0
		.amdhsa_workgroup_processor_mode 1
		.amdhsa_memory_ordered 1
		.amdhsa_forward_progress 0
		.amdhsa_shared_vgpr_count 0
		.amdhsa_exception_fp_ieee_invalid_op 0
		.amdhsa_exception_fp_denorm_src 0
		.amdhsa_exception_fp_ieee_div_zero 0
		.amdhsa_exception_fp_ieee_overflow 0
		.amdhsa_exception_fp_ieee_underflow 0
		.amdhsa_exception_fp_ieee_inexact 0
		.amdhsa_exception_int_div_zero 0
	.end_amdhsa_kernel
	.section	.text._ZN2at6native12_GLOBAL__N_125multi_tensor_apply_kernelINS1_18TensorListMetadataILi2EEENS1_11CopyFunctorIbfLi2ELi1ELi1EEEJNS0_4CopyIbfEEEEEvT_T0_DpT1_,"axG",@progbits,_ZN2at6native12_GLOBAL__N_125multi_tensor_apply_kernelINS1_18TensorListMetadataILi2EEENS1_11CopyFunctorIbfLi2ELi1ELi1EEEJNS0_4CopyIbfEEEEEvT_T0_DpT1_,comdat
.Lfunc_end338:
	.size	_ZN2at6native12_GLOBAL__N_125multi_tensor_apply_kernelINS1_18TensorListMetadataILi2EEENS1_11CopyFunctorIbfLi2ELi1ELi1EEEJNS0_4CopyIbfEEEEEvT_T0_DpT1_, .Lfunc_end338-_ZN2at6native12_GLOBAL__N_125multi_tensor_apply_kernelINS1_18TensorListMetadataILi2EEENS1_11CopyFunctorIbfLi2ELi1ELi1EEEJNS0_4CopyIbfEEEEEvT_T0_DpT1_
                                        ; -- End function
	.section	.AMDGPU.csdata,"",@progbits
; Kernel info:
; codeLenInByte = 1520
; NumSgprs: 22
; NumVgprs: 33
; ScratchSize: 0
; MemoryBound: 0
; FloatMode: 240
; IeeeMode: 1
; LDSByteSize: 0 bytes/workgroup (compile time only)
; SGPRBlocks: 2
; VGPRBlocks: 4
; NumSGPRsForWavesPerEU: 22
; NumVGPRsForWavesPerEU: 33
; Occupancy: 16
; WaveLimiterHint : 0
; COMPUTE_PGM_RSRC2:SCRATCH_EN: 0
; COMPUTE_PGM_RSRC2:USER_SGPR: 15
; COMPUTE_PGM_RSRC2:TRAP_HANDLER: 0
; COMPUTE_PGM_RSRC2:TGID_X_EN: 1
; COMPUTE_PGM_RSRC2:TGID_Y_EN: 0
; COMPUTE_PGM_RSRC2:TGID_Z_EN: 0
; COMPUTE_PGM_RSRC2:TIDIG_COMP_CNT: 0
	.section	.text._ZN2at6native12_GLOBAL__N_125multi_tensor_apply_kernelINS1_18TensorListMetadataILi2EEENS1_11CopyFunctorIbN3c107complexIdEELi2ELi1ELi1EEEJNS0_4CopyIbS8_EEEEEvT_T0_DpT1_,"axG",@progbits,_ZN2at6native12_GLOBAL__N_125multi_tensor_apply_kernelINS1_18TensorListMetadataILi2EEENS1_11CopyFunctorIbN3c107complexIdEELi2ELi1ELi1EEEJNS0_4CopyIbS8_EEEEEvT_T0_DpT1_,comdat
	.globl	_ZN2at6native12_GLOBAL__N_125multi_tensor_apply_kernelINS1_18TensorListMetadataILi2EEENS1_11CopyFunctorIbN3c107complexIdEELi2ELi1ELi1EEEJNS0_4CopyIbS8_EEEEEvT_T0_DpT1_ ; -- Begin function _ZN2at6native12_GLOBAL__N_125multi_tensor_apply_kernelINS1_18TensorListMetadataILi2EEENS1_11CopyFunctorIbN3c107complexIdEELi2ELi1ELi1EEEJNS0_4CopyIbS8_EEEEEvT_T0_DpT1_
	.p2align	8
	.type	_ZN2at6native12_GLOBAL__N_125multi_tensor_apply_kernelINS1_18TensorListMetadataILi2EEENS1_11CopyFunctorIbN3c107complexIdEELi2ELi1ELi1EEEJNS0_4CopyIbS8_EEEEEvT_T0_DpT1_,@function
_ZN2at6native12_GLOBAL__N_125multi_tensor_apply_kernelINS1_18TensorListMetadataILi2EEENS1_11CopyFunctorIbN3c107complexIdEELi2ELi1ELi1EEEJNS0_4CopyIbS8_EEEEEvT_T0_DpT1_: ; @_ZN2at6native12_GLOBAL__N_125multi_tensor_apply_kernelINS1_18TensorListMetadataILi2EEENS1_11CopyFunctorIbN3c107complexIdEELi2ELi1ELi1EEEJNS0_4CopyIbS8_EEEEEvT_T0_DpT1_
; %bb.0:
	v_mov_b32_e32 v1, s15
	s_add_u32 s2, s0, s15
	s_mul_i32 s4, s15, 3
	s_addc_u32 s3, s1, 0
	s_mul_hi_u32 s5, s15, 3
	global_load_u8 v1, v1, s[0:1] offset:1536
	s_add_u32 s2, s2, s4
	s_addc_u32 s3, s3, s5
	s_mov_b32 s17, 0
	s_load_b32 s10, s[2:3], 0x740
	s_waitcnt lgkmcnt(0)
	s_ashr_i32 s11, s10, 31
	s_delay_alu instid0(SALU_CYCLE_1) | instskip(SKIP_2) | instid1(VALU_DEP_1)
	s_lshl_b64 s[8:9], s[10:11], 16
	s_waitcnt vmcnt(0)
	v_readfirstlane_b32 s4, v1
	s_lshl_b32 s4, s4, 3
	s_clause 0x2
	s_load_b64 s[6:7], s[0:1], s4 offset:0x200
	s_load_b64 s[2:3], s[0:1], s4 offset:0x400
	;; [unrolled: 1-line block ×3, first 2 shown]
	s_waitcnt lgkmcnt(0)
	s_add_u32 s14, s6, s8
	s_addc_u32 s15, s7, s9
	s_delay_alu instid0(SALU_CYCLE_1) | instskip(SKIP_2) | instid1(SALU_CYCLE_1)
	s_or_b64 s[4:5], s[2:3], s[14:15]
	s_and_b32 s5, s12, 63
	s_and_b32 s4, s4, 3
	s_or_b32 s16, s4, s5
	s_sub_u32 s4, s2, s8
	s_subb_u32 s5, s3, s9
	s_cmp_eq_u64 s[16:17], 0
	s_mov_b32 s2, -1
	s_cbranch_scc0 .LBB339_5
; %bb.1:
	v_dual_mov_b32 v2, 0 :: v_dual_lshlrev_b32 v1, 2, v0
	s_mov_b32 s16, exec_lo
	s_delay_alu instid0(VALU_DEP_1)
	v_cmpx_gt_i64_e64 s[4:5], v[1:2]
	s_cbranch_execz .LBB339_4
; %bb.2:
	s_load_b32 s17, s[0:1], 0xc5c
	v_lshlrev_b32_e32 v3, 6, v0
	s_lshl_b64 s[2:3], s[10:11], 20
	s_mov_b32 s18, 0
	s_waitcnt lgkmcnt(0)
	s_and_b32 s19, s17, 0xffff
	s_delay_alu instid0(SALU_CYCLE_1) | instskip(SKIP_3) | instid1(VALU_DEP_1)
	s_lshl_b32 s17, s19, 2
	s_add_u32 s2, s12, s2
	s_addc_u32 s3, s13, s3
	v_add_co_u32 v3, s2, s2, v3
	v_add_co_ci_u32_e64 v4, null, s3, 0, s2
	s_lshl_b32 s19, s19, 6
.LBB339_3:                              ; =>This Inner Loop Header: Depth=1
	s_clause 0x3
	global_load_b64 v[5:6], v[3:4], off offset:16
	global_load_b64 v[7:8], v[3:4], off offset:48
	global_load_b64 v[9:10], v[3:4], off
	global_load_b64 v[11:12], v[3:4], off offset:32
	v_add_co_u32 v13, vcc_lo, s14, v1
	v_add_co_ci_u32_e32 v14, vcc_lo, s15, v2, vcc_lo
	v_add_co_u32 v1, vcc_lo, s17, v1
	v_add_co_ci_u32_e32 v2, vcc_lo, 0, v2, vcc_lo
	v_add_co_u32 v3, s3, v3, s19
	s_delay_alu instid0(VALU_DEP_1) | instskip(NEXT) | instid1(VALU_DEP_3)
	v_add_co_ci_u32_e64 v4, s3, 0, v4, s3
	v_cmp_le_i64_e32 vcc_lo, s[4:5], v[1:2]
	s_waitcnt vmcnt(3)
	v_cmp_neq_f64_e64 s2, 0, v[5:6]
	s_delay_alu instid0(VALU_DEP_1) | instskip(SKIP_2) | instid1(VALU_DEP_2)
	v_cndmask_b32_e64 v5, 0, 1, s2
	s_waitcnt vmcnt(2)
	v_cmp_neq_f64_e64 s2, 0, v[7:8]
	v_lshlrev_b16 v5, 8, v5
	s_delay_alu instid0(VALU_DEP_2) | instskip(SKIP_2) | instid1(VALU_DEP_2)
	v_cndmask_b32_e64 v6, 0, 1, s2
	s_waitcnt vmcnt(1)
	v_cmp_neq_f64_e64 s2, 0, v[9:10]
	v_lshlrev_b16 v6, 8, v6
	s_delay_alu instid0(VALU_DEP_2) | instskip(SKIP_2) | instid1(VALU_DEP_2)
	v_cndmask_b32_e64 v7, 0, 1, s2
	s_waitcnt vmcnt(0)
	v_cmp_neq_f64_e64 s2, 0, v[11:12]
	v_or_b32_e32 v5, v7, v5
	s_delay_alu instid0(VALU_DEP_1) | instskip(NEXT) | instid1(VALU_DEP_3)
	v_and_b32_e32 v5, 0xffff, v5
	v_cndmask_b32_e64 v8, 0, 1, s2
	v_cmp_lt_u64_e64 s2, 0xffff, v[1:2]
	s_delay_alu instid0(VALU_DEP_2) | instskip(NEXT) | instid1(VALU_DEP_2)
	v_or_b32_e32 v6, v8, v6
	s_or_b32 s2, vcc_lo, s2
	s_delay_alu instid0(SALU_CYCLE_1) | instskip(NEXT) | instid1(VALU_DEP_1)
	s_and_b32 s2, exec_lo, s2
	v_lshlrev_b32_e32 v6, 16, v6
	s_or_b32 s18, s2, s18
	s_delay_alu instid0(VALU_DEP_1)
	v_or_b32_e32 v5, v5, v6
	global_store_b32 v[13:14], v5, off
	s_and_not1_b32 exec_lo, exec_lo, s18
	s_cbranch_execnz .LBB339_3
.LBB339_4:
	s_or_b32 exec_lo, exec_lo, s16
	s_mov_b32 s2, 0
.LBB339_5:
	s_delay_alu instid0(SALU_CYCLE_1)
	s_and_not1_b32 vcc_lo, exec_lo, s2
	s_cbranch_vccnz .LBB339_25
; %bb.6:
	v_cmp_lt_i64_e64 s2, s[4:5], 1
	s_delay_alu instid0(VALU_DEP_1)
	s_and_b32 vcc_lo, exec_lo, s2
	s_cbranch_vccnz .LBB339_25
; %bb.7:
	s_load_b32 s0, s[0:1], 0xc5c
	v_cmp_gt_u64_e64 s1, 0x10000, s[4:5]
	v_add_co_u32 v7, s2, s8, v0
	v_lshlrev_b32_e32 v1, 4, v0
	v_add_co_ci_u32_e64 v8, null, s9, 0, s2
	v_mov_b32_e32 v5, 0
	v_mov_b32_e32 v6, 0
	v_add_co_u32 v21, vcc_lo, s6, v7
	s_delay_alu instid0(VALU_DEP_4) | instskip(NEXT) | instid1(VALU_DEP_3)
	v_add_co_ci_u32_e32 v22, vcc_lo, s7, v8, vcc_lo
	v_dual_mov_b32 v12, v6 :: v_dual_mov_b32 v11, v5
	v_dual_mov_b32 v10, v6 :: v_dual_mov_b32 v9, v5
	s_waitcnt lgkmcnt(0)
	s_and_b32 s0, s0, 0xffff
	s_and_b32 s1, s1, exec_lo
	s_cselect_b32 s3, s5, 0
	s_cselect_b32 s2, s4, 0x10000
	s_lshl_b64 s[10:11], s[10:11], 20
	s_lshl_b32 s14, s0, 1
	s_lshl_b32 s1, s0, 2
	s_add_u32 s12, s12, s10
	s_mul_i32 s15, s0, 3
	s_addc_u32 s13, s13, s11
	s_lshl_b32 s10, s0, 6
	v_add_co_u32 v1, s16, s12, v1
	s_add_u32 s11, s8, s15
	v_add_co_ci_u32_e64 v2, null, s13, 0, s16
	s_addc_u32 s16, s9, 0
	s_add_u32 s11, s6, s11
	s_addc_u32 s16, s7, s16
	v_add_co_u32 v23, s11, s11, v0
	s_delay_alu instid0(VALU_DEP_1)
	v_add_co_ci_u32_e64 v24, null, s16, 0, s11
	v_add_co_u32 v25, s11, s15, v0
	v_add_co_u32 v27, s15, v0, s0
	v_add_co_ci_u32_e64 v26, null, 0, 0, s11
	s_lshl_b32 s11, s0, 5
	s_add_u32 s8, s8, s14
	s_addc_u32 s9, s9, 0
	s_add_u32 s8, s6, s8
	s_addc_u32 s9, s7, s9
	v_lshlrev_b32_e32 v3, 4, v27
	v_add_co_u32 v28, s8, s8, v0
	s_add_u32 s6, s6, s0
	v_add_co_ci_u32_e64 v29, null, s9, 0, s8
	v_add_co_u32 v31, s8, s14, v0
	s_addc_u32 s7, s7, 0
	v_add_co_u32 v33, vcc_lo, s6, v7
	v_add_co_ci_u32_e64 v32, null, 0, 0, s8
	v_add_co_u32 v3, s8, s12, v3
	v_add_co_ci_u32_e32 v34, vcc_lo, s7, v8, vcc_lo
	v_dual_mov_b32 v8, v6 :: v_dual_mov_b32 v7, v5
	v_add_co_ci_u32_e64 v30, null, 0, 0, s15
	v_add_co_ci_u32_e64 v4, null, s13, 0, s8
	s_mul_i32 s8, s0, 48
	s_mov_b64 s[6:7], 0
	s_branch .LBB339_9
.LBB339_8:                              ;   in Loop: Header=BB339_9 Depth=1
	s_or_b32 exec_lo, exec_lo, s0
	s_add_u32 s6, s6, s1
	s_addc_u32 s7, s7, 0
	v_add_co_u32 v1, vcc_lo, v1, s10
	v_cmp_ge_i64_e64 s0, s[6:7], s[4:5]
	v_cmp_lt_u64_e64 s9, 0xffff, s[6:7]
	v_add_co_ci_u32_e32 v2, vcc_lo, 0, v2, vcc_lo
	v_add_co_u32 v3, vcc_lo, v3, s10
	v_add_co_ci_u32_e32 v4, vcc_lo, 0, v4, vcc_lo
	s_delay_alu instid0(VALU_DEP_4) | instskip(NEXT) | instid1(SALU_CYCLE_1)
	s_or_b32 s0, s0, s9
	s_and_b32 vcc_lo, exec_lo, s0
	s_cbranch_vccnz .LBB339_25
.LBB339_9:                              ; =>This Inner Loop Header: Depth=1
	v_add_co_u32 v13, s0, v0, s6
	s_delay_alu instid0(VALU_DEP_1) | instskip(NEXT) | instid1(VALU_DEP_1)
	v_add_co_ci_u32_e64 v14, null, 0, s7, s0
	v_cmp_gt_i64_e32 vcc_lo, s[4:5], v[13:14]
	v_cmp_gt_u64_e64 s0, 0x10000, v[13:14]
	s_delay_alu instid0(VALU_DEP_1) | instskip(NEXT) | instid1(SALU_CYCLE_1)
	s_and_b32 s9, vcc_lo, s0
	s_and_saveexec_b32 s0, s9
	s_cbranch_execz .LBB339_11
; %bb.10:                               ;   in Loop: Header=BB339_9 Depth=1
	global_load_b64 v[9:10], v[1:2], off
.LBB339_11:                             ;   in Loop: Header=BB339_9 Depth=1
	s_or_b32 exec_lo, exec_lo, s0
	v_add_co_u32 v15, vcc_lo, v27, s6
	v_add_co_ci_u32_e32 v16, vcc_lo, s7, v30, vcc_lo
	s_delay_alu instid0(VALU_DEP_1) | instskip(SKIP_1) | instid1(VALU_DEP_1)
	v_cmp_gt_i64_e32 vcc_lo, s[4:5], v[15:16]
	v_cmp_gt_u64_e64 s0, 0x10000, v[15:16]
	s_and_b32 s9, vcc_lo, s0
	s_delay_alu instid0(SALU_CYCLE_1)
	s_and_saveexec_b32 s0, s9
	s_cbranch_execz .LBB339_13
; %bb.12:                               ;   in Loop: Header=BB339_9 Depth=1
	global_load_b64 v[7:8], v[3:4], off
.LBB339_13:                             ;   in Loop: Header=BB339_9 Depth=1
	s_or_b32 exec_lo, exec_lo, s0
	v_add_co_u32 v17, vcc_lo, v31, s6
	v_add_co_ci_u32_e32 v18, vcc_lo, s7, v32, vcc_lo
	s_delay_alu instid0(VALU_DEP_1) | instskip(SKIP_1) | instid1(VALU_DEP_1)
	v_cmp_gt_i64_e32 vcc_lo, s[4:5], v[17:18]
	v_cmp_gt_u64_e64 s0, 0x10000, v[17:18]
	s_and_b32 s9, vcc_lo, s0
	s_delay_alu instid0(SALU_CYCLE_1)
	s_and_saveexec_b32 s0, s9
	s_cbranch_execz .LBB339_15
; %bb.14:                               ;   in Loop: Header=BB339_9 Depth=1
	s_waitcnt vmcnt(0)
	v_add_co_u32 v11, vcc_lo, v1, s11
	v_add_co_ci_u32_e32 v12, vcc_lo, 0, v2, vcc_lo
	global_load_b64 v[11:12], v[11:12], off
.LBB339_15:                             ;   in Loop: Header=BB339_9 Depth=1
	s_or_b32 exec_lo, exec_lo, s0
	v_add_co_u32 v19, vcc_lo, v25, s6
	v_add_co_ci_u32_e32 v20, vcc_lo, s7, v26, vcc_lo
	s_delay_alu instid0(VALU_DEP_1) | instskip(SKIP_1) | instid1(VALU_DEP_1)
	v_cmp_gt_i64_e32 vcc_lo, s[4:5], v[19:20]
	v_cmp_gt_u64_e64 s0, 0x10000, v[19:20]
	s_and_b32 s9, vcc_lo, s0
	s_delay_alu instid0(SALU_CYCLE_1)
	s_and_saveexec_b32 s0, s9
	s_cbranch_execnz .LBB339_20
; %bb.16:                               ;   in Loop: Header=BB339_9 Depth=1
	s_or_b32 exec_lo, exec_lo, s0
	s_delay_alu instid0(SALU_CYCLE_1)
	s_mov_b32 s0, exec_lo
	v_cmpx_gt_u64_e64 s[2:3], v[13:14]
	s_cbranch_execnz .LBB339_21
.LBB339_17:                             ;   in Loop: Header=BB339_9 Depth=1
	s_or_b32 exec_lo, exec_lo, s0
	s_delay_alu instid0(SALU_CYCLE_1)
	s_mov_b32 s0, exec_lo
	v_cmpx_gt_u64_e64 s[2:3], v[15:16]
	s_cbranch_execnz .LBB339_22
.LBB339_18:                             ;   in Loop: Header=BB339_9 Depth=1
	s_or_b32 exec_lo, exec_lo, s0
	s_delay_alu instid0(SALU_CYCLE_1)
	s_mov_b32 s0, exec_lo
	v_cmpx_gt_u64_e64 s[2:3], v[17:18]
	s_cbranch_execnz .LBB339_23
.LBB339_19:                             ;   in Loop: Header=BB339_9 Depth=1
	s_or_b32 exec_lo, exec_lo, s0
	s_delay_alu instid0(SALU_CYCLE_1)
	s_mov_b32 s0, exec_lo
	v_cmpx_gt_u64_e64 s[2:3], v[19:20]
	s_cbranch_execz .LBB339_8
	s_branch .LBB339_24
.LBB339_20:                             ;   in Loop: Header=BB339_9 Depth=1
	s_waitcnt vmcnt(0)
	v_add_co_u32 v5, vcc_lo, v1, s8
	v_add_co_ci_u32_e32 v6, vcc_lo, 0, v2, vcc_lo
	global_load_b64 v[5:6], v[5:6], off
	s_or_b32 exec_lo, exec_lo, s0
	s_delay_alu instid0(SALU_CYCLE_1)
	s_mov_b32 s0, exec_lo
	v_cmpx_gt_u64_e64 s[2:3], v[13:14]
	s_cbranch_execz .LBB339_17
.LBB339_21:                             ;   in Loop: Header=BB339_9 Depth=1
	v_add_co_u32 v13, vcc_lo, v21, s6
	v_add_co_ci_u32_e32 v14, vcc_lo, s7, v22, vcc_lo
	s_waitcnt vmcnt(0)
	v_cmp_neq_f64_e32 vcc_lo, 0, v[9:10]
	v_cndmask_b32_e64 v35, 0, 1, vcc_lo
	global_store_b8 v[13:14], v35, off
	s_or_b32 exec_lo, exec_lo, s0
	s_delay_alu instid0(SALU_CYCLE_1)
	s_mov_b32 s0, exec_lo
	v_cmpx_gt_u64_e64 s[2:3], v[15:16]
	s_cbranch_execz .LBB339_18
.LBB339_22:                             ;   in Loop: Header=BB339_9 Depth=1
	s_waitcnt vmcnt(0)
	v_cmp_neq_f64_e32 vcc_lo, 0, v[7:8]
	v_cndmask_b32_e64 v15, 0, 1, vcc_lo
	v_add_co_u32 v13, vcc_lo, v33, s6
	v_add_co_ci_u32_e32 v14, vcc_lo, s7, v34, vcc_lo
	global_store_b8 v[13:14], v15, off
	s_or_b32 exec_lo, exec_lo, s0
	s_delay_alu instid0(SALU_CYCLE_1)
	s_mov_b32 s0, exec_lo
	v_cmpx_gt_u64_e64 s[2:3], v[17:18]
	s_cbranch_execz .LBB339_19
.LBB339_23:                             ;   in Loop: Header=BB339_9 Depth=1
	s_waitcnt vmcnt(0)
	v_cmp_neq_f64_e32 vcc_lo, 0, v[11:12]
	v_cndmask_b32_e64 v15, 0, 1, vcc_lo
	v_add_co_u32 v13, vcc_lo, v28, s6
	v_add_co_ci_u32_e32 v14, vcc_lo, s7, v29, vcc_lo
	global_store_b8 v[13:14], v15, off
	s_or_b32 exec_lo, exec_lo, s0
	s_delay_alu instid0(SALU_CYCLE_1)
	s_mov_b32 s0, exec_lo
	v_cmpx_gt_u64_e64 s[2:3], v[19:20]
	s_cbranch_execz .LBB339_8
.LBB339_24:                             ;   in Loop: Header=BB339_9 Depth=1
	s_waitcnt vmcnt(0)
	v_cmp_neq_f64_e32 vcc_lo, 0, v[5:6]
	v_cndmask_b32_e64 v15, 0, 1, vcc_lo
	v_add_co_u32 v13, vcc_lo, v23, s6
	v_add_co_ci_u32_e32 v14, vcc_lo, s7, v24, vcc_lo
	global_store_b8 v[13:14], v15, off
	s_branch .LBB339_8
.LBB339_25:
	s_nop 0
	s_sendmsg sendmsg(MSG_DEALLOC_VGPRS)
	s_endpgm
	.section	.rodata,"a",@progbits
	.p2align	6, 0x0
	.amdhsa_kernel _ZN2at6native12_GLOBAL__N_125multi_tensor_apply_kernelINS1_18TensorListMetadataILi2EEENS1_11CopyFunctorIbN3c107complexIdEELi2ELi1ELi1EEEJNS0_4CopyIbS8_EEEEEvT_T0_DpT1_
		.amdhsa_group_segment_fixed_size 0
		.amdhsa_private_segment_fixed_size 0
		.amdhsa_kernarg_size 3408
		.amdhsa_user_sgpr_count 15
		.amdhsa_user_sgpr_dispatch_ptr 0
		.amdhsa_user_sgpr_queue_ptr 0
		.amdhsa_user_sgpr_kernarg_segment_ptr 1
		.amdhsa_user_sgpr_dispatch_id 0
		.amdhsa_user_sgpr_private_segment_size 0
		.amdhsa_wavefront_size32 1
		.amdhsa_uses_dynamic_stack 0
		.amdhsa_enable_private_segment 0
		.amdhsa_system_sgpr_workgroup_id_x 1
		.amdhsa_system_sgpr_workgroup_id_y 0
		.amdhsa_system_sgpr_workgroup_id_z 0
		.amdhsa_system_sgpr_workgroup_info 0
		.amdhsa_system_vgpr_workitem_id 0
		.amdhsa_next_free_vgpr 36
		.amdhsa_next_free_sgpr 20
		.amdhsa_reserve_vcc 1
		.amdhsa_float_round_mode_32 0
		.amdhsa_float_round_mode_16_64 0
		.amdhsa_float_denorm_mode_32 3
		.amdhsa_float_denorm_mode_16_64 3
		.amdhsa_dx10_clamp 1
		.amdhsa_ieee_mode 1
		.amdhsa_fp16_overflow 0
		.amdhsa_workgroup_processor_mode 1
		.amdhsa_memory_ordered 1
		.amdhsa_forward_progress 0
		.amdhsa_shared_vgpr_count 0
		.amdhsa_exception_fp_ieee_invalid_op 0
		.amdhsa_exception_fp_denorm_src 0
		.amdhsa_exception_fp_ieee_div_zero 0
		.amdhsa_exception_fp_ieee_overflow 0
		.amdhsa_exception_fp_ieee_underflow 0
		.amdhsa_exception_fp_ieee_inexact 0
		.amdhsa_exception_int_div_zero 0
	.end_amdhsa_kernel
	.section	.text._ZN2at6native12_GLOBAL__N_125multi_tensor_apply_kernelINS1_18TensorListMetadataILi2EEENS1_11CopyFunctorIbN3c107complexIdEELi2ELi1ELi1EEEJNS0_4CopyIbS8_EEEEEvT_T0_DpT1_,"axG",@progbits,_ZN2at6native12_GLOBAL__N_125multi_tensor_apply_kernelINS1_18TensorListMetadataILi2EEENS1_11CopyFunctorIbN3c107complexIdEELi2ELi1ELi1EEEJNS0_4CopyIbS8_EEEEEvT_T0_DpT1_,comdat
.Lfunc_end339:
	.size	_ZN2at6native12_GLOBAL__N_125multi_tensor_apply_kernelINS1_18TensorListMetadataILi2EEENS1_11CopyFunctorIbN3c107complexIdEELi2ELi1ELi1EEEJNS0_4CopyIbS8_EEEEEvT_T0_DpT1_, .Lfunc_end339-_ZN2at6native12_GLOBAL__N_125multi_tensor_apply_kernelINS1_18TensorListMetadataILi2EEENS1_11CopyFunctorIbN3c107complexIdEELi2ELi1ELi1EEEJNS0_4CopyIbS8_EEEEEvT_T0_DpT1_
                                        ; -- End function
	.section	.AMDGPU.csdata,"",@progbits
; Kernel info:
; codeLenInByte = 1596
; NumSgprs: 22
; NumVgprs: 36
; ScratchSize: 0
; MemoryBound: 0
; FloatMode: 240
; IeeeMode: 1
; LDSByteSize: 0 bytes/workgroup (compile time only)
; SGPRBlocks: 2
; VGPRBlocks: 4
; NumSGPRsForWavesPerEU: 22
; NumVGPRsForWavesPerEU: 36
; Occupancy: 16
; WaveLimiterHint : 0
; COMPUTE_PGM_RSRC2:SCRATCH_EN: 0
; COMPUTE_PGM_RSRC2:USER_SGPR: 15
; COMPUTE_PGM_RSRC2:TRAP_HANDLER: 0
; COMPUTE_PGM_RSRC2:TGID_X_EN: 1
; COMPUTE_PGM_RSRC2:TGID_Y_EN: 0
; COMPUTE_PGM_RSRC2:TGID_Z_EN: 0
; COMPUTE_PGM_RSRC2:TIDIG_COMP_CNT: 0
	.section	.text._ZN2at6native12_GLOBAL__N_125multi_tensor_apply_kernelINS1_18TensorListMetadataILi2EEENS1_11CopyFunctorIbN3c107complexIfEELi2ELi1ELi1EEEJNS0_4CopyIbS8_EEEEEvT_T0_DpT1_,"axG",@progbits,_ZN2at6native12_GLOBAL__N_125multi_tensor_apply_kernelINS1_18TensorListMetadataILi2EEENS1_11CopyFunctorIbN3c107complexIfEELi2ELi1ELi1EEEJNS0_4CopyIbS8_EEEEEvT_T0_DpT1_,comdat
	.globl	_ZN2at6native12_GLOBAL__N_125multi_tensor_apply_kernelINS1_18TensorListMetadataILi2EEENS1_11CopyFunctorIbN3c107complexIfEELi2ELi1ELi1EEEJNS0_4CopyIbS8_EEEEEvT_T0_DpT1_ ; -- Begin function _ZN2at6native12_GLOBAL__N_125multi_tensor_apply_kernelINS1_18TensorListMetadataILi2EEENS1_11CopyFunctorIbN3c107complexIfEELi2ELi1ELi1EEEJNS0_4CopyIbS8_EEEEEvT_T0_DpT1_
	.p2align	8
	.type	_ZN2at6native12_GLOBAL__N_125multi_tensor_apply_kernelINS1_18TensorListMetadataILi2EEENS1_11CopyFunctorIbN3c107complexIfEELi2ELi1ELi1EEEJNS0_4CopyIbS8_EEEEEvT_T0_DpT1_,@function
_ZN2at6native12_GLOBAL__N_125multi_tensor_apply_kernelINS1_18TensorListMetadataILi2EEENS1_11CopyFunctorIbN3c107complexIfEELi2ELi1ELi1EEEJNS0_4CopyIbS8_EEEEEvT_T0_DpT1_: ; @_ZN2at6native12_GLOBAL__N_125multi_tensor_apply_kernelINS1_18TensorListMetadataILi2EEENS1_11CopyFunctorIbN3c107complexIfEELi2ELi1ELi1EEEJNS0_4CopyIbS8_EEEEEvT_T0_DpT1_
; %bb.0:
	v_mov_b32_e32 v1, s15
	s_add_u32 s2, s0, s15
	s_mul_i32 s4, s15, 3
	s_addc_u32 s3, s1, 0
	s_mul_hi_u32 s5, s15, 3
	global_load_u8 v1, v1, s[0:1] offset:1536
	s_add_u32 s2, s2, s4
	s_addc_u32 s3, s3, s5
	s_mov_b32 s17, 0
	s_load_b32 s10, s[2:3], 0x740
	s_waitcnt lgkmcnt(0)
	s_ashr_i32 s11, s10, 31
	s_delay_alu instid0(SALU_CYCLE_1) | instskip(SKIP_2) | instid1(VALU_DEP_1)
	s_lshl_b64 s[8:9], s[10:11], 16
	s_waitcnt vmcnt(0)
	v_readfirstlane_b32 s4, v1
	s_lshl_b32 s4, s4, 3
	s_clause 0x2
	s_load_b64 s[6:7], s[0:1], s4 offset:0x200
	s_load_b64 s[2:3], s[0:1], s4 offset:0x400
	;; [unrolled: 1-line block ×3, first 2 shown]
	s_waitcnt lgkmcnt(0)
	s_add_u32 s14, s6, s8
	s_addc_u32 s15, s7, s9
	s_delay_alu instid0(SALU_CYCLE_1) | instskip(SKIP_2) | instid1(SALU_CYCLE_1)
	s_or_b64 s[4:5], s[2:3], s[14:15]
	s_and_b32 s5, s12, 31
	s_and_b32 s4, s4, 3
	s_or_b32 s16, s4, s5
	s_sub_u32 s4, s2, s8
	s_subb_u32 s5, s3, s9
	s_cmp_eq_u64 s[16:17], 0
	s_mov_b32 s2, -1
	s_cbranch_scc0 .LBB340_5
; %bb.1:
	v_dual_mov_b32 v2, 0 :: v_dual_lshlrev_b32 v1, 2, v0
	s_mov_b32 s16, exec_lo
	s_delay_alu instid0(VALU_DEP_1)
	v_cmpx_gt_i64_e64 s[4:5], v[1:2]
	s_cbranch_execz .LBB340_4
; %bb.2:
	s_load_b32 s17, s[0:1], 0xc5c
	v_lshlrev_b32_e32 v3, 5, v0
	s_lshl_b64 s[2:3], s[10:11], 19
	s_mov_b32 s18, 0
	s_waitcnt lgkmcnt(0)
	s_and_b32 s19, s17, 0xffff
	s_delay_alu instid0(SALU_CYCLE_1) | instskip(SKIP_3) | instid1(VALU_DEP_1)
	s_lshl_b32 s17, s19, 2
	s_add_u32 s2, s12, s2
	s_addc_u32 s3, s13, s3
	v_add_co_u32 v3, s2, s2, v3
	v_add_co_ci_u32_e64 v4, null, s3, 0, s2
	s_lshl_b32 s19, s19, 5
.LBB340_3:                              ; =>This Inner Loop Header: Depth=1
	s_clause 0x3
	global_load_b32 v7, v[3:4], off offset:8
	global_load_b32 v8, v[3:4], off offset:24
	global_load_b32 v9, v[3:4], off
	global_load_b32 v10, v[3:4], off offset:16
	v_add_co_u32 v5, vcc_lo, s14, v1
	v_add_co_ci_u32_e32 v6, vcc_lo, s15, v2, vcc_lo
	v_add_co_u32 v1, vcc_lo, s17, v1
	v_add_co_ci_u32_e32 v2, vcc_lo, 0, v2, vcc_lo
	v_add_co_u32 v3, s3, v3, s19
	s_delay_alu instid0(VALU_DEP_1) | instskip(NEXT) | instid1(VALU_DEP_3)
	v_add_co_ci_u32_e64 v4, s3, 0, v4, s3
	v_cmp_le_i64_e32 vcc_lo, s[4:5], v[1:2]
	s_waitcnt vmcnt(3)
	v_cmp_neq_f32_e64 s2, 0, v7
	s_delay_alu instid0(VALU_DEP_1) | instskip(SKIP_2) | instid1(VALU_DEP_2)
	v_cndmask_b32_e64 v7, 0, 1, s2
	s_waitcnt vmcnt(2)
	v_cmp_neq_f32_e64 s2, 0, v8
	v_lshlrev_b16 v7, 8, v7
	s_delay_alu instid0(VALU_DEP_2) | instskip(SKIP_2) | instid1(VALU_DEP_2)
	v_cndmask_b32_e64 v8, 0, 1, s2
	s_waitcnt vmcnt(1)
	v_cmp_neq_f32_e64 s2, 0, v9
	v_lshlrev_b16 v8, 8, v8
	s_delay_alu instid0(VALU_DEP_2) | instskip(SKIP_2) | instid1(VALU_DEP_2)
	v_cndmask_b32_e64 v9, 0, 1, s2
	s_waitcnt vmcnt(0)
	v_cmp_neq_f32_e64 s2, 0, v10
	v_or_b32_e32 v7, v9, v7
	s_delay_alu instid0(VALU_DEP_2) | instskip(SKIP_1) | instid1(VALU_DEP_3)
	v_cndmask_b32_e64 v10, 0, 1, s2
	v_cmp_lt_u64_e64 s2, 0xffff, v[1:2]
	v_and_b32_e32 v7, 0xffff, v7
	s_delay_alu instid0(VALU_DEP_3) | instskip(NEXT) | instid1(VALU_DEP_3)
	v_or_b32_e32 v8, v10, v8
	s_or_b32 s2, vcc_lo, s2
	s_delay_alu instid0(SALU_CYCLE_1) | instskip(NEXT) | instid1(VALU_DEP_1)
	s_and_b32 s2, exec_lo, s2
	v_lshlrev_b32_e32 v8, 16, v8
	s_or_b32 s18, s2, s18
	s_delay_alu instid0(VALU_DEP_1)
	v_or_b32_e32 v7, v7, v8
	global_store_b32 v[5:6], v7, off
	s_and_not1_b32 exec_lo, exec_lo, s18
	s_cbranch_execnz .LBB340_3
.LBB340_4:
	s_or_b32 exec_lo, exec_lo, s16
	s_mov_b32 s2, 0
.LBB340_5:
	s_delay_alu instid0(SALU_CYCLE_1)
	s_and_not1_b32 vcc_lo, exec_lo, s2
	s_cbranch_vccnz .LBB340_25
; %bb.6:
	v_cmp_lt_i64_e64 s2, s[4:5], 1
	s_delay_alu instid0(VALU_DEP_1)
	s_and_b32 vcc_lo, exec_lo, s2
	s_cbranch_vccnz .LBB340_25
; %bb.7:
	s_load_b32 s0, s[0:1], 0xc5c
	v_cmp_gt_u64_e64 s1, 0x10000, s[4:5]
	v_add_co_u32 v5, s2, s8, v0
	v_dual_mov_b32 v28, 0 :: v_dual_lshlrev_b32 v1, 3, v0
	v_add_co_ci_u32_e64 v6, null, s9, 0, s2
	s_delay_alu instid0(VALU_DEP_3) | instskip(SKIP_1) | instid1(VALU_DEP_3)
	v_add_co_u32 v14, vcc_lo, s6, v5
	v_dual_mov_b32 v13, 0 :: v_dual_mov_b32 v30, 0
	v_add_co_ci_u32_e32 v15, vcc_lo, s7, v6, vcc_lo
	v_mov_b32_e32 v29, 0
	s_waitcnt lgkmcnt(0)
	s_and_b32 s0, s0, 0xffff
	s_and_b32 s1, s1, exec_lo
	s_cselect_b32 s3, s5, 0
	s_cselect_b32 s2, s4, 0x10000
	s_lshl_b64 s[10:11], s[10:11], 19
	s_lshl_b32 s14, s0, 1
	s_lshl_b32 s1, s0, 2
	s_add_u32 s12, s12, s10
	s_mul_i32 s15, s0, 3
	s_addc_u32 s13, s13, s11
	s_lshl_b32 s10, s0, 5
	v_add_co_u32 v1, s16, s12, v1
	s_add_u32 s11, s8, s15
	v_add_co_ci_u32_e64 v2, null, s13, 0, s16
	s_addc_u32 s16, s9, 0
	s_add_u32 s11, s6, s11
	s_addc_u32 s16, s7, s16
	v_add_co_u32 v16, s11, s11, v0
	s_delay_alu instid0(VALU_DEP_1)
	v_add_co_ci_u32_e64 v17, null, s16, 0, s11
	v_add_co_u32 v18, s11, s15, v0
	v_add_co_u32 v20, s15, v0, s0
	v_add_co_ci_u32_e64 v19, null, 0, 0, s11
	s_lshl_b32 s11, s0, 4
	s_add_u32 s8, s8, s14
	s_addc_u32 s9, s9, 0
	s_add_u32 s8, s6, s8
	v_lshlrev_b32_e32 v3, 3, v20
	s_addc_u32 s9, s7, s9
	v_add_co_u32 v21, s8, s8, v0
	s_delay_alu instid0(VALU_DEP_1)
	v_add_co_ci_u32_e64 v22, null, s9, 0, s8
	v_add_co_u32 v24, s8, s14, v0
	s_add_u32 s6, s6, s0
	v_add_co_ci_u32_e64 v25, null, 0, 0, s8
	v_add_co_u32 v3, s8, s12, v3
	s_addc_u32 s7, s7, 0
	v_add_co_u32 v26, vcc_lo, s6, v5
	v_add_co_ci_u32_e64 v23, null, 0, 0, s15
	v_add_co_ci_u32_e64 v4, null, s13, 0, s8
	v_add_co_ci_u32_e32 v27, vcc_lo, s7, v6, vcc_lo
	s_mul_i32 s8, s0, 24
	s_mov_b64 s[6:7], 0
	s_branch .LBB340_9
.LBB340_8:                              ;   in Loop: Header=BB340_9 Depth=1
	s_or_b32 exec_lo, exec_lo, s0
	s_add_u32 s6, s6, s1
	s_addc_u32 s7, s7, 0
	v_add_co_u32 v1, vcc_lo, v1, s10
	v_cmp_ge_i64_e64 s0, s[6:7], s[4:5]
	v_cmp_lt_u64_e64 s9, 0xffff, s[6:7]
	v_add_co_ci_u32_e32 v2, vcc_lo, 0, v2, vcc_lo
	v_add_co_u32 v3, vcc_lo, v3, s10
	v_add_co_ci_u32_e32 v4, vcc_lo, 0, v4, vcc_lo
	s_delay_alu instid0(VALU_DEP_4) | instskip(NEXT) | instid1(SALU_CYCLE_1)
	s_or_b32 s0, s0, s9
	s_and_b32 vcc_lo, exec_lo, s0
	s_cbranch_vccnz .LBB340_25
.LBB340_9:                              ; =>This Inner Loop Header: Depth=1
	v_add_co_u32 v5, s0, v0, s6
	s_delay_alu instid0(VALU_DEP_1) | instskip(NEXT) | instid1(VALU_DEP_1)
	v_add_co_ci_u32_e64 v6, null, 0, s7, s0
	v_cmp_gt_i64_e32 vcc_lo, s[4:5], v[5:6]
	v_cmp_gt_u64_e64 s0, 0x10000, v[5:6]
	s_delay_alu instid0(VALU_DEP_1) | instskip(NEXT) | instid1(SALU_CYCLE_1)
	s_and_b32 s9, vcc_lo, s0
	s_and_saveexec_b32 s0, s9
	s_cbranch_execz .LBB340_11
; %bb.10:                               ;   in Loop: Header=BB340_9 Depth=1
	global_load_b32 v29, v[1:2], off
.LBB340_11:                             ;   in Loop: Header=BB340_9 Depth=1
	s_or_b32 exec_lo, exec_lo, s0
	v_add_co_u32 v7, vcc_lo, v20, s6
	v_add_co_ci_u32_e32 v8, vcc_lo, s7, v23, vcc_lo
	s_delay_alu instid0(VALU_DEP_1) | instskip(SKIP_1) | instid1(VALU_DEP_1)
	v_cmp_gt_i64_e32 vcc_lo, s[4:5], v[7:8]
	v_cmp_gt_u64_e64 s0, 0x10000, v[7:8]
	s_and_b32 s9, vcc_lo, s0
	s_delay_alu instid0(SALU_CYCLE_1)
	s_and_saveexec_b32 s0, s9
	s_cbranch_execz .LBB340_13
; %bb.12:                               ;   in Loop: Header=BB340_9 Depth=1
	global_load_b32 v28, v[3:4], off
.LBB340_13:                             ;   in Loop: Header=BB340_9 Depth=1
	s_or_b32 exec_lo, exec_lo, s0
	v_add_co_u32 v9, vcc_lo, v24, s6
	v_add_co_ci_u32_e32 v10, vcc_lo, s7, v25, vcc_lo
	s_delay_alu instid0(VALU_DEP_1) | instskip(SKIP_1) | instid1(VALU_DEP_1)
	v_cmp_gt_i64_e32 vcc_lo, s[4:5], v[9:10]
	v_cmp_gt_u64_e64 s0, 0x10000, v[9:10]
	s_and_b32 s9, vcc_lo, s0
	s_delay_alu instid0(SALU_CYCLE_1)
	s_and_saveexec_b32 s0, s9
	s_cbranch_execz .LBB340_15
; %bb.14:                               ;   in Loop: Header=BB340_9 Depth=1
	v_add_co_u32 v11, vcc_lo, v1, s11
	v_add_co_ci_u32_e32 v12, vcc_lo, 0, v2, vcc_lo
	global_load_b32 v30, v[11:12], off
.LBB340_15:                             ;   in Loop: Header=BB340_9 Depth=1
	s_or_b32 exec_lo, exec_lo, s0
	v_add_co_u32 v11, vcc_lo, v18, s6
	v_add_co_ci_u32_e32 v12, vcc_lo, s7, v19, vcc_lo
	s_delay_alu instid0(VALU_DEP_1) | instskip(SKIP_1) | instid1(VALU_DEP_1)
	v_cmp_gt_i64_e32 vcc_lo, s[4:5], v[11:12]
	v_cmp_gt_u64_e64 s0, 0x10000, v[11:12]
	s_and_b32 s9, vcc_lo, s0
	s_delay_alu instid0(SALU_CYCLE_1)
	s_and_saveexec_b32 s0, s9
	s_cbranch_execnz .LBB340_20
; %bb.16:                               ;   in Loop: Header=BB340_9 Depth=1
	s_or_b32 exec_lo, exec_lo, s0
	s_delay_alu instid0(SALU_CYCLE_1)
	s_mov_b32 s0, exec_lo
	v_cmpx_gt_u64_e64 s[2:3], v[5:6]
	s_cbranch_execnz .LBB340_21
.LBB340_17:                             ;   in Loop: Header=BB340_9 Depth=1
	s_or_b32 exec_lo, exec_lo, s0
	s_delay_alu instid0(SALU_CYCLE_1)
	s_mov_b32 s0, exec_lo
	v_cmpx_gt_u64_e64 s[2:3], v[7:8]
	s_cbranch_execnz .LBB340_22
.LBB340_18:                             ;   in Loop: Header=BB340_9 Depth=1
	s_or_b32 exec_lo, exec_lo, s0
	s_delay_alu instid0(SALU_CYCLE_1)
	s_mov_b32 s0, exec_lo
	v_cmpx_gt_u64_e64 s[2:3], v[9:10]
	s_cbranch_execnz .LBB340_23
.LBB340_19:                             ;   in Loop: Header=BB340_9 Depth=1
	s_or_b32 exec_lo, exec_lo, s0
	s_delay_alu instid0(SALU_CYCLE_1)
	s_mov_b32 s0, exec_lo
	v_cmpx_gt_u64_e64 s[2:3], v[11:12]
	s_cbranch_execz .LBB340_8
	s_branch .LBB340_24
.LBB340_20:                             ;   in Loop: Header=BB340_9 Depth=1
	v_add_co_u32 v31, vcc_lo, v1, s8
	v_add_co_ci_u32_e32 v32, vcc_lo, 0, v2, vcc_lo
	global_load_b32 v13, v[31:32], off
	s_or_b32 exec_lo, exec_lo, s0
	s_delay_alu instid0(SALU_CYCLE_1)
	s_mov_b32 s0, exec_lo
	v_cmpx_gt_u64_e64 s[2:3], v[5:6]
	s_cbranch_execz .LBB340_17
.LBB340_21:                             ;   in Loop: Header=BB340_9 Depth=1
	v_add_co_u32 v5, vcc_lo, v14, s6
	v_add_co_ci_u32_e32 v6, vcc_lo, s7, v15, vcc_lo
	s_waitcnt vmcnt(0)
	v_cmp_neq_f32_e32 vcc_lo, 0, v29
	v_cndmask_b32_e64 v31, 0, 1, vcc_lo
	global_store_b8 v[5:6], v31, off
	s_or_b32 exec_lo, exec_lo, s0
	s_delay_alu instid0(SALU_CYCLE_1)
	s_mov_b32 s0, exec_lo
	v_cmpx_gt_u64_e64 s[2:3], v[7:8]
	s_cbranch_execz .LBB340_18
.LBB340_22:                             ;   in Loop: Header=BB340_9 Depth=1
	s_waitcnt vmcnt(0)
	v_cmp_neq_f32_e32 vcc_lo, 0, v28
	v_cndmask_b32_e64 v7, 0, 1, vcc_lo
	v_add_co_u32 v5, vcc_lo, v26, s6
	v_add_co_ci_u32_e32 v6, vcc_lo, s7, v27, vcc_lo
	global_store_b8 v[5:6], v7, off
	s_or_b32 exec_lo, exec_lo, s0
	s_delay_alu instid0(SALU_CYCLE_1)
	s_mov_b32 s0, exec_lo
	v_cmpx_gt_u64_e64 s[2:3], v[9:10]
	s_cbranch_execz .LBB340_19
.LBB340_23:                             ;   in Loop: Header=BB340_9 Depth=1
	s_waitcnt vmcnt(0)
	v_cmp_neq_f32_e32 vcc_lo, 0, v30
	v_cndmask_b32_e64 v7, 0, 1, vcc_lo
	v_add_co_u32 v5, vcc_lo, v21, s6
	v_add_co_ci_u32_e32 v6, vcc_lo, s7, v22, vcc_lo
	global_store_b8 v[5:6], v7, off
	s_or_b32 exec_lo, exec_lo, s0
	s_delay_alu instid0(SALU_CYCLE_1)
	s_mov_b32 s0, exec_lo
	v_cmpx_gt_u64_e64 s[2:3], v[11:12]
	s_cbranch_execz .LBB340_8
.LBB340_24:                             ;   in Loop: Header=BB340_9 Depth=1
	s_waitcnt vmcnt(0)
	v_cmp_neq_f32_e32 vcc_lo, 0, v13
	v_cndmask_b32_e64 v7, 0, 1, vcc_lo
	v_add_co_u32 v5, vcc_lo, v16, s6
	v_add_co_ci_u32_e32 v6, vcc_lo, s7, v17, vcc_lo
	global_store_b8 v[5:6], v7, off
	s_branch .LBB340_8
.LBB340_25:
	s_nop 0
	s_sendmsg sendmsg(MSG_DEALLOC_VGPRS)
	s_endpgm
	.section	.rodata,"a",@progbits
	.p2align	6, 0x0
	.amdhsa_kernel _ZN2at6native12_GLOBAL__N_125multi_tensor_apply_kernelINS1_18TensorListMetadataILi2EEENS1_11CopyFunctorIbN3c107complexIfEELi2ELi1ELi1EEEJNS0_4CopyIbS8_EEEEEvT_T0_DpT1_
		.amdhsa_group_segment_fixed_size 0
		.amdhsa_private_segment_fixed_size 0
		.amdhsa_kernarg_size 3408
		.amdhsa_user_sgpr_count 15
		.amdhsa_user_sgpr_dispatch_ptr 0
		.amdhsa_user_sgpr_queue_ptr 0
		.amdhsa_user_sgpr_kernarg_segment_ptr 1
		.amdhsa_user_sgpr_dispatch_id 0
		.amdhsa_user_sgpr_private_segment_size 0
		.amdhsa_wavefront_size32 1
		.amdhsa_uses_dynamic_stack 0
		.amdhsa_enable_private_segment 0
		.amdhsa_system_sgpr_workgroup_id_x 1
		.amdhsa_system_sgpr_workgroup_id_y 0
		.amdhsa_system_sgpr_workgroup_id_z 0
		.amdhsa_system_sgpr_workgroup_info 0
		.amdhsa_system_vgpr_workitem_id 0
		.amdhsa_next_free_vgpr 33
		.amdhsa_next_free_sgpr 20
		.amdhsa_reserve_vcc 1
		.amdhsa_float_round_mode_32 0
		.amdhsa_float_round_mode_16_64 0
		.amdhsa_float_denorm_mode_32 3
		.amdhsa_float_denorm_mode_16_64 3
		.amdhsa_dx10_clamp 1
		.amdhsa_ieee_mode 1
		.amdhsa_fp16_overflow 0
		.amdhsa_workgroup_processor_mode 1
		.amdhsa_memory_ordered 1
		.amdhsa_forward_progress 0
		.amdhsa_shared_vgpr_count 0
		.amdhsa_exception_fp_ieee_invalid_op 0
		.amdhsa_exception_fp_denorm_src 0
		.amdhsa_exception_fp_ieee_div_zero 0
		.amdhsa_exception_fp_ieee_overflow 0
		.amdhsa_exception_fp_ieee_underflow 0
		.amdhsa_exception_fp_ieee_inexact 0
		.amdhsa_exception_int_div_zero 0
	.end_amdhsa_kernel
	.section	.text._ZN2at6native12_GLOBAL__N_125multi_tensor_apply_kernelINS1_18TensorListMetadataILi2EEENS1_11CopyFunctorIbN3c107complexIfEELi2ELi1ELi1EEEJNS0_4CopyIbS8_EEEEEvT_T0_DpT1_,"axG",@progbits,_ZN2at6native12_GLOBAL__N_125multi_tensor_apply_kernelINS1_18TensorListMetadataILi2EEENS1_11CopyFunctorIbN3c107complexIfEELi2ELi1ELi1EEEJNS0_4CopyIbS8_EEEEEvT_T0_DpT1_,comdat
.Lfunc_end340:
	.size	_ZN2at6native12_GLOBAL__N_125multi_tensor_apply_kernelINS1_18TensorListMetadataILi2EEENS1_11CopyFunctorIbN3c107complexIfEELi2ELi1ELi1EEEJNS0_4CopyIbS8_EEEEEvT_T0_DpT1_, .Lfunc_end340-_ZN2at6native12_GLOBAL__N_125multi_tensor_apply_kernelINS1_18TensorListMetadataILi2EEENS1_11CopyFunctorIbN3c107complexIfEELi2ELi1ELi1EEEJNS0_4CopyIbS8_EEEEEvT_T0_DpT1_
                                        ; -- End function
	.section	.AMDGPU.csdata,"",@progbits
; Kernel info:
; codeLenInByte = 1576
; NumSgprs: 22
; NumVgprs: 33
; ScratchSize: 0
; MemoryBound: 0
; FloatMode: 240
; IeeeMode: 1
; LDSByteSize: 0 bytes/workgroup (compile time only)
; SGPRBlocks: 2
; VGPRBlocks: 4
; NumSGPRsForWavesPerEU: 22
; NumVGPRsForWavesPerEU: 33
; Occupancy: 16
; WaveLimiterHint : 0
; COMPUTE_PGM_RSRC2:SCRATCH_EN: 0
; COMPUTE_PGM_RSRC2:USER_SGPR: 15
; COMPUTE_PGM_RSRC2:TRAP_HANDLER: 0
; COMPUTE_PGM_RSRC2:TGID_X_EN: 1
; COMPUTE_PGM_RSRC2:TGID_Y_EN: 0
; COMPUTE_PGM_RSRC2:TGID_Z_EN: 0
; COMPUTE_PGM_RSRC2:TIDIG_COMP_CNT: 0
	.section	.text._ZN2at6native12_GLOBAL__N_125multi_tensor_apply_kernelINS1_18TensorListMetadataILi2EEENS1_11CopyFunctorIbN3c104HalfELi2ELi1ELi1EEEJNS0_4CopyIbS7_EEEEEvT_T0_DpT1_,"axG",@progbits,_ZN2at6native12_GLOBAL__N_125multi_tensor_apply_kernelINS1_18TensorListMetadataILi2EEENS1_11CopyFunctorIbN3c104HalfELi2ELi1ELi1EEEJNS0_4CopyIbS7_EEEEEvT_T0_DpT1_,comdat
	.globl	_ZN2at6native12_GLOBAL__N_125multi_tensor_apply_kernelINS1_18TensorListMetadataILi2EEENS1_11CopyFunctorIbN3c104HalfELi2ELi1ELi1EEEJNS0_4CopyIbS7_EEEEEvT_T0_DpT1_ ; -- Begin function _ZN2at6native12_GLOBAL__N_125multi_tensor_apply_kernelINS1_18TensorListMetadataILi2EEENS1_11CopyFunctorIbN3c104HalfELi2ELi1ELi1EEEJNS0_4CopyIbS7_EEEEEvT_T0_DpT1_
	.p2align	8
	.type	_ZN2at6native12_GLOBAL__N_125multi_tensor_apply_kernelINS1_18TensorListMetadataILi2EEENS1_11CopyFunctorIbN3c104HalfELi2ELi1ELi1EEEJNS0_4CopyIbS7_EEEEEvT_T0_DpT1_,@function
_ZN2at6native12_GLOBAL__N_125multi_tensor_apply_kernelINS1_18TensorListMetadataILi2EEENS1_11CopyFunctorIbN3c104HalfELi2ELi1ELi1EEEJNS0_4CopyIbS7_EEEEEvT_T0_DpT1_: ; @_ZN2at6native12_GLOBAL__N_125multi_tensor_apply_kernelINS1_18TensorListMetadataILi2EEENS1_11CopyFunctorIbN3c104HalfELi2ELi1ELi1EEEJNS0_4CopyIbS7_EEEEEvT_T0_DpT1_
; %bb.0:
	v_mov_b32_e32 v1, s15
	s_add_u32 s2, s0, s15
	s_mul_i32 s4, s15, 3
	s_addc_u32 s3, s1, 0
	s_mul_hi_u32 s5, s15, 3
	global_load_u8 v1, v1, s[0:1] offset:1536
	s_add_u32 s2, s2, s4
	s_addc_u32 s3, s3, s5
	s_mov_b32 s17, 0
	s_load_b32 s10, s[2:3], 0x740
	s_waitcnt lgkmcnt(0)
	s_ashr_i32 s11, s10, 31
	s_delay_alu instid0(SALU_CYCLE_1) | instskip(SKIP_2) | instid1(VALU_DEP_1)
	s_lshl_b64 s[8:9], s[10:11], 16
	s_waitcnt vmcnt(0)
	v_readfirstlane_b32 s4, v1
	s_lshl_b32 s4, s4, 3
	s_clause 0x2
	s_load_b64 s[6:7], s[0:1], s4 offset:0x200
	s_load_b64 s[2:3], s[0:1], s4 offset:0x400
	;; [unrolled: 1-line block ×3, first 2 shown]
	s_waitcnt lgkmcnt(0)
	s_add_u32 s14, s6, s8
	s_addc_u32 s15, s7, s9
	s_delay_alu instid0(SALU_CYCLE_1) | instskip(SKIP_2) | instid1(SALU_CYCLE_1)
	s_or_b64 s[4:5], s[2:3], s[14:15]
	s_and_b32 s5, s12, 7
	s_and_b32 s4, s4, 3
	s_or_b32 s16, s4, s5
	s_sub_u32 s4, s2, s8
	s_subb_u32 s5, s3, s9
	s_cmp_eq_u64 s[16:17], 0
	s_mov_b32 s2, -1
	s_cbranch_scc0 .LBB341_5
; %bb.1:
	v_dual_mov_b32 v2, 0 :: v_dual_lshlrev_b32 v1, 2, v0
	s_mov_b32 s16, exec_lo
	s_delay_alu instid0(VALU_DEP_1)
	v_cmpx_gt_i64_e64 s[4:5], v[1:2]
	s_cbranch_execz .LBB341_4
; %bb.2:
	s_load_b32 s17, s[0:1], 0xc5c
	v_dual_mov_b32 v6, v2 :: v_dual_lshlrev_b32 v3, 3, v0
	s_lshl_b64 s[2:3], s[10:11], 17
	v_mov_b32_e32 v5, v1
	s_waitcnt lgkmcnt(0)
	s_and_b32 s19, s17, 0xffff
	s_add_u32 s2, s12, s2
	s_addc_u32 s3, s13, s3
	v_add_co_u32 v3, s2, s2, v3
	s_delay_alu instid0(VALU_DEP_1)
	v_add_co_ci_u32_e64 v4, null, s3, 0, s2
	s_mov_b32 s17, 0
	s_lshl_b32 s18, s19, 3
	s_lshl_b32 s19, s19, 2
.LBB341_3:                              ; =>This Inner Loop Header: Depth=1
	global_load_b64 v[7:8], v[3:4], off
	v_mov_b32_e32 v11, v2
	v_mov_b32_e32 v9, v2
	v_add_co_u32 v13, vcc_lo, s14, v5
	v_add_co_ci_u32_e32 v14, vcc_lo, s15, v6, vcc_lo
	v_add_co_u32 v5, vcc_lo, s19, v5
	v_add_co_ci_u32_e32 v6, vcc_lo, 0, v6, vcc_lo
	v_add_co_u32 v3, s3, v3, s18
	s_delay_alu instid0(VALU_DEP_1) | instskip(NEXT) | instid1(VALU_DEP_3)
	v_add_co_ci_u32_e64 v4, s3, 0, v4, s3
	v_cmp_le_i64_e32 vcc_lo, s[4:5], v[5:6]
	s_waitcnt vmcnt(0)
	v_and_b32_e32 v10, 0x7fff, v8
	v_and_b32_e32 v1, 0x7fff, v7
	;; [unrolled: 1-line block ×3, first 2 shown]
	s_delay_alu instid0(VALU_DEP_2) | instskip(SKIP_1) | instid1(VALU_DEP_2)
	v_cmp_ne_u64_e64 s2, 0, v[1:2]
	v_and_b32_e32 v1, 0x7fff0000, v7
	v_cndmask_b32_e64 v7, 0, 1, s2
	s_delay_alu instid0(VALU_DEP_4) | instskip(NEXT) | instid1(VALU_DEP_1)
	v_cmp_ne_u64_e64 s2, 0, v[11:12]
	v_cndmask_b32_e64 v8, 0, 1, s2
	s_delay_alu instid0(VALU_DEP_4) | instskip(NEXT) | instid1(VALU_DEP_2)
	v_cmp_ne_u64_e64 s2, 0, v[1:2]
	v_lshlrev_b16 v8, 8, v8
	s_delay_alu instid0(VALU_DEP_2) | instskip(SKIP_1) | instid1(VALU_DEP_2)
	v_cndmask_b32_e64 v1, 0, 1, s2
	v_cmp_ne_u64_e64 s2, 0, v[9:10]
	v_lshlrev_b16 v1, 8, v1
	s_delay_alu instid0(VALU_DEP_2) | instskip(SKIP_1) | instid1(VALU_DEP_3)
	v_cndmask_b32_e64 v9, 0, 1, s2
	v_cmp_lt_u64_e64 s2, 0xffff, v[5:6]
	v_or_b32_e32 v1, v7, v1
	s_delay_alu instid0(VALU_DEP_3) | instskip(NEXT) | instid1(VALU_DEP_3)
	v_or_b32_e32 v8, v9, v8
	s_or_b32 s2, vcc_lo, s2
	s_delay_alu instid0(VALU_DEP_2) | instskip(SKIP_1) | instid1(VALU_DEP_2)
	v_and_b32_e32 v1, 0xffff, v1
	s_and_b32 s2, exec_lo, s2
	v_lshlrev_b32_e32 v7, 16, v8
	s_or_b32 s17, s2, s17
	s_delay_alu instid0(VALU_DEP_1)
	v_or_b32_e32 v1, v1, v7
	global_store_b32 v[13:14], v1, off
	s_and_not1_b32 exec_lo, exec_lo, s17
	s_cbranch_execnz .LBB341_3
.LBB341_4:
	s_or_b32 exec_lo, exec_lo, s16
	s_mov_b32 s2, 0
.LBB341_5:
	s_delay_alu instid0(SALU_CYCLE_1)
	s_and_not1_b32 vcc_lo, exec_lo, s2
	s_cbranch_vccnz .LBB341_25
; %bb.6:
	v_cmp_lt_i64_e64 s2, s[4:5], 1
	s_delay_alu instid0(VALU_DEP_1)
	s_and_b32 vcc_lo, exec_lo, s2
	s_cbranch_vccnz .LBB341_25
; %bb.7:
	s_load_b32 s0, s[0:1], 0xc5c
	v_cmp_gt_u64_e64 s1, 0x10000, s[4:5]
	v_add_co_u32 v5, s2, s8, v0
	v_lshlrev_b32_e32 v1, 1, v0
	v_add_co_ci_u32_e64 v6, null, s9, 0, s2
	s_delay_alu instid0(VALU_DEP_3) | instskip(NEXT) | instid1(VALU_DEP_2)
	v_add_co_u32 v13, vcc_lo, s6, v5
                                        ; implicit-def: $vgpr29
                                        ; implicit-def: $vgpr30
                                        ; implicit-def: $vgpr27
                                        ; implicit-def: $vgpr28
	v_add_co_ci_u32_e32 v14, vcc_lo, s7, v6, vcc_lo
	s_waitcnt lgkmcnt(0)
	s_and_b32 s0, s0, 0xffff
	s_and_b32 s1, s1, exec_lo
	s_cselect_b32 s3, s5, 0
	s_cselect_b32 s2, s4, 0x10000
	s_lshl_b64 s[10:11], s[10:11], 17
	s_lshl_b32 s14, s0, 1
	s_lshl_b32 s1, s0, 2
	s_add_u32 s12, s12, s10
	s_mul_i32 s15, s0, 3
	s_addc_u32 s11, s13, s11
	s_lshl_b32 s10, s0, 3
	v_add_co_u32 v1, s16, s12, v1
	s_add_u32 s13, s8, s15
	v_add_co_ci_u32_e64 v2, null, s11, 0, s16
	s_addc_u32 s16, s9, 0
	s_add_u32 s13, s6, s13
	s_addc_u32 s16, s7, s16
	v_add_co_u32 v15, s13, s13, v0
	s_delay_alu instid0(VALU_DEP_1) | instskip(SKIP_1) | instid1(VALU_DEP_1)
	v_add_co_ci_u32_e64 v16, null, s16, 0, s13
	v_add_co_u32 v17, s13, s15, v0
	v_add_co_ci_u32_e64 v18, null, 0, 0, s13
	v_add_co_u32 v19, s13, v0, s0
	s_add_u32 s8, s8, s14
	s_addc_u32 s9, s9, 0
	s_add_u32 s8, s6, s8
	s_delay_alu instid0(VALU_DEP_1) | instskip(SKIP_2) | instid1(VALU_DEP_1)
	v_lshlrev_b32_e32 v3, 1, v19
	s_addc_u32 s9, s7, s9
	v_add_co_u32 v20, s8, s8, v0
	v_add_co_ci_u32_e64 v21, null, s9, 0, s8
	v_add_co_u32 v23, s8, s14, v0
	s_add_u32 s6, s6, s0
	v_add_co_ci_u32_e64 v24, null, 0, 0, s8
	v_add_co_u32 v3, s8, s12, v3
	s_addc_u32 s7, s7, 0
	v_add_co_u32 v25, vcc_lo, s6, v5
	v_add_co_ci_u32_e64 v22, null, 0, 0, s13
	v_add_co_ci_u32_e64 v4, null, s11, 0, s8
	v_add_co_ci_u32_e32 v26, vcc_lo, s7, v6, vcc_lo
	s_mul_i32 s8, s0, 6
	s_mov_b64 s[6:7], 0
	s_branch .LBB341_9
.LBB341_8:                              ;   in Loop: Header=BB341_9 Depth=1
	s_or_b32 exec_lo, exec_lo, s0
	s_add_u32 s6, s6, s1
	s_addc_u32 s7, s7, 0
	v_add_co_u32 v1, vcc_lo, v1, s10
	v_cmp_ge_i64_e64 s0, s[6:7], s[4:5]
	v_cmp_lt_u64_e64 s9, 0xffff, s[6:7]
	v_add_co_ci_u32_e32 v2, vcc_lo, 0, v2, vcc_lo
	v_add_co_u32 v3, vcc_lo, v3, s10
	v_add_co_ci_u32_e32 v4, vcc_lo, 0, v4, vcc_lo
	s_delay_alu instid0(VALU_DEP_4) | instskip(NEXT) | instid1(SALU_CYCLE_1)
	s_or_b32 s0, s0, s9
	s_and_b32 vcc_lo, exec_lo, s0
	s_cbranch_vccnz .LBB341_25
.LBB341_9:                              ; =>This Inner Loop Header: Depth=1
	v_add_co_u32 v5, s0, v0, s6
	s_delay_alu instid0(VALU_DEP_1) | instskip(NEXT) | instid1(VALU_DEP_1)
	v_add_co_ci_u32_e64 v6, null, 0, s7, s0
	v_cmp_gt_i64_e32 vcc_lo, s[4:5], v[5:6]
	v_cmp_gt_u64_e64 s0, 0x10000, v[5:6]
	s_delay_alu instid0(VALU_DEP_1) | instskip(NEXT) | instid1(SALU_CYCLE_1)
	s_and_b32 s9, vcc_lo, s0
	s_and_saveexec_b32 s0, s9
	s_cbranch_execz .LBB341_11
; %bb.10:                               ;   in Loop: Header=BB341_9 Depth=1
	global_load_u16 v28, v[1:2], off
.LBB341_11:                             ;   in Loop: Header=BB341_9 Depth=1
	s_or_b32 exec_lo, exec_lo, s0
	v_add_co_u32 v7, vcc_lo, v19, s6
	v_add_co_ci_u32_e32 v8, vcc_lo, s7, v22, vcc_lo
	s_delay_alu instid0(VALU_DEP_1) | instskip(SKIP_1) | instid1(VALU_DEP_1)
	v_cmp_gt_i64_e32 vcc_lo, s[4:5], v[7:8]
	v_cmp_gt_u64_e64 s0, 0x10000, v[7:8]
	s_and_b32 s9, vcc_lo, s0
	s_delay_alu instid0(SALU_CYCLE_1)
	s_and_saveexec_b32 s0, s9
	s_cbranch_execz .LBB341_13
; %bb.12:                               ;   in Loop: Header=BB341_9 Depth=1
	global_load_u16 v27, v[3:4], off
.LBB341_13:                             ;   in Loop: Header=BB341_9 Depth=1
	s_or_b32 exec_lo, exec_lo, s0
	v_add_co_u32 v9, vcc_lo, v23, s6
	v_add_co_ci_u32_e32 v10, vcc_lo, s7, v24, vcc_lo
	s_delay_alu instid0(VALU_DEP_1) | instskip(SKIP_1) | instid1(VALU_DEP_1)
	v_cmp_gt_i64_e32 vcc_lo, s[4:5], v[9:10]
	v_cmp_gt_u64_e64 s0, 0x10000, v[9:10]
	s_and_b32 s9, vcc_lo, s0
	s_delay_alu instid0(SALU_CYCLE_1)
	s_and_saveexec_b32 s0, s9
	s_cbranch_execz .LBB341_15
; %bb.14:                               ;   in Loop: Header=BB341_9 Depth=1
	v_add_co_u32 v11, vcc_lo, v1, s1
	v_add_co_ci_u32_e32 v12, vcc_lo, 0, v2, vcc_lo
	global_load_u16 v30, v[11:12], off
.LBB341_15:                             ;   in Loop: Header=BB341_9 Depth=1
	s_or_b32 exec_lo, exec_lo, s0
	v_add_co_u32 v11, vcc_lo, v17, s6
	v_add_co_ci_u32_e32 v12, vcc_lo, s7, v18, vcc_lo
	s_delay_alu instid0(VALU_DEP_1) | instskip(SKIP_1) | instid1(VALU_DEP_1)
	v_cmp_gt_i64_e32 vcc_lo, s[4:5], v[11:12]
	v_cmp_gt_u64_e64 s0, 0x10000, v[11:12]
	s_and_b32 s9, vcc_lo, s0
	s_delay_alu instid0(SALU_CYCLE_1)
	s_and_saveexec_b32 s0, s9
	s_cbranch_execnz .LBB341_20
; %bb.16:                               ;   in Loop: Header=BB341_9 Depth=1
	s_or_b32 exec_lo, exec_lo, s0
	s_delay_alu instid0(SALU_CYCLE_1)
	s_mov_b32 s0, exec_lo
	v_cmpx_gt_u64_e64 s[2:3], v[5:6]
	s_cbranch_execnz .LBB341_21
.LBB341_17:                             ;   in Loop: Header=BB341_9 Depth=1
	s_or_b32 exec_lo, exec_lo, s0
	s_delay_alu instid0(SALU_CYCLE_1)
	s_mov_b32 s0, exec_lo
	v_cmpx_gt_u64_e64 s[2:3], v[7:8]
	s_cbranch_execnz .LBB341_22
.LBB341_18:                             ;   in Loop: Header=BB341_9 Depth=1
	s_or_b32 exec_lo, exec_lo, s0
	s_delay_alu instid0(SALU_CYCLE_1)
	s_mov_b32 s0, exec_lo
	v_cmpx_gt_u64_e64 s[2:3], v[9:10]
	s_cbranch_execnz .LBB341_23
.LBB341_19:                             ;   in Loop: Header=BB341_9 Depth=1
	s_or_b32 exec_lo, exec_lo, s0
	s_delay_alu instid0(SALU_CYCLE_1)
	s_mov_b32 s0, exec_lo
	v_cmpx_gt_u64_e64 s[2:3], v[11:12]
	s_cbranch_execz .LBB341_8
	s_branch .LBB341_24
.LBB341_20:                             ;   in Loop: Header=BB341_9 Depth=1
	v_add_co_u32 v31, vcc_lo, v1, s8
	v_add_co_ci_u32_e32 v32, vcc_lo, 0, v2, vcc_lo
	global_load_u16 v29, v[31:32], off
	s_or_b32 exec_lo, exec_lo, s0
	s_delay_alu instid0(SALU_CYCLE_1)
	s_mov_b32 s0, exec_lo
	v_cmpx_gt_u64_e64 s[2:3], v[5:6]
	s_cbranch_execz .LBB341_17
.LBB341_21:                             ;   in Loop: Header=BB341_9 Depth=1
	s_waitcnt vmcnt(0)
	v_and_b32_e32 v31, 0x7fff, v28
	v_add_co_u32 v5, vcc_lo, v13, s6
	v_add_co_ci_u32_e32 v6, vcc_lo, s7, v14, vcc_lo
	s_delay_alu instid0(VALU_DEP_3) | instskip(SKIP_3) | instid1(SALU_CYCLE_1)
	v_cmp_ne_u16_e32 vcc_lo, 0, v31
	v_cndmask_b32_e64 v31, 0, 1, vcc_lo
	global_store_b8 v[5:6], v31, off
	s_or_b32 exec_lo, exec_lo, s0
	s_mov_b32 s0, exec_lo
	v_cmpx_gt_u64_e64 s[2:3], v[7:8]
	s_cbranch_execz .LBB341_18
.LBB341_22:                             ;   in Loop: Header=BB341_9 Depth=1
	s_waitcnt vmcnt(0)
	v_and_b32_e32 v5, 0x7fff, v27
	s_delay_alu instid0(VALU_DEP_1)
	v_cmp_ne_u16_e32 vcc_lo, 0, v5
	v_cndmask_b32_e64 v7, 0, 1, vcc_lo
	v_add_co_u32 v5, vcc_lo, v25, s6
	v_add_co_ci_u32_e32 v6, vcc_lo, s7, v26, vcc_lo
	global_store_b8 v[5:6], v7, off
	s_or_b32 exec_lo, exec_lo, s0
	s_delay_alu instid0(SALU_CYCLE_1)
	s_mov_b32 s0, exec_lo
	v_cmpx_gt_u64_e64 s[2:3], v[9:10]
	s_cbranch_execz .LBB341_19
.LBB341_23:                             ;   in Loop: Header=BB341_9 Depth=1
	s_waitcnt vmcnt(0)
	v_and_b32_e32 v5, 0x7fff, v30
	s_delay_alu instid0(VALU_DEP_1)
	v_cmp_ne_u16_e32 vcc_lo, 0, v5
	v_cndmask_b32_e64 v7, 0, 1, vcc_lo
	v_add_co_u32 v5, vcc_lo, v20, s6
	v_add_co_ci_u32_e32 v6, vcc_lo, s7, v21, vcc_lo
	global_store_b8 v[5:6], v7, off
	s_or_b32 exec_lo, exec_lo, s0
	s_delay_alu instid0(SALU_CYCLE_1)
	s_mov_b32 s0, exec_lo
	v_cmpx_gt_u64_e64 s[2:3], v[11:12]
	s_cbranch_execz .LBB341_8
.LBB341_24:                             ;   in Loop: Header=BB341_9 Depth=1
	s_waitcnt vmcnt(0)
	v_and_b32_e32 v5, 0x7fff, v29
	s_delay_alu instid0(VALU_DEP_1)
	v_cmp_ne_u16_e32 vcc_lo, 0, v5
	v_cndmask_b32_e64 v7, 0, 1, vcc_lo
	v_add_co_u32 v5, vcc_lo, v15, s6
	v_add_co_ci_u32_e32 v6, vcc_lo, s7, v16, vcc_lo
	global_store_b8 v[5:6], v7, off
	s_branch .LBB341_8
.LBB341_25:
	s_nop 0
	s_sendmsg sendmsg(MSG_DEALLOC_VGPRS)
	s_endpgm
	.section	.rodata,"a",@progbits
	.p2align	6, 0x0
	.amdhsa_kernel _ZN2at6native12_GLOBAL__N_125multi_tensor_apply_kernelINS1_18TensorListMetadataILi2EEENS1_11CopyFunctorIbN3c104HalfELi2ELi1ELi1EEEJNS0_4CopyIbS7_EEEEEvT_T0_DpT1_
		.amdhsa_group_segment_fixed_size 0
		.amdhsa_private_segment_fixed_size 0
		.amdhsa_kernarg_size 3408
		.amdhsa_user_sgpr_count 15
		.amdhsa_user_sgpr_dispatch_ptr 0
		.amdhsa_user_sgpr_queue_ptr 0
		.amdhsa_user_sgpr_kernarg_segment_ptr 1
		.amdhsa_user_sgpr_dispatch_id 0
		.amdhsa_user_sgpr_private_segment_size 0
		.amdhsa_wavefront_size32 1
		.amdhsa_uses_dynamic_stack 0
		.amdhsa_enable_private_segment 0
		.amdhsa_system_sgpr_workgroup_id_x 1
		.amdhsa_system_sgpr_workgroup_id_y 0
		.amdhsa_system_sgpr_workgroup_id_z 0
		.amdhsa_system_sgpr_workgroup_info 0
		.amdhsa_system_vgpr_workitem_id 0
		.amdhsa_next_free_vgpr 33
		.amdhsa_next_free_sgpr 20
		.amdhsa_reserve_vcc 1
		.amdhsa_float_round_mode_32 0
		.amdhsa_float_round_mode_16_64 0
		.amdhsa_float_denorm_mode_32 3
		.amdhsa_float_denorm_mode_16_64 3
		.amdhsa_dx10_clamp 1
		.amdhsa_ieee_mode 1
		.amdhsa_fp16_overflow 0
		.amdhsa_workgroup_processor_mode 1
		.amdhsa_memory_ordered 1
		.amdhsa_forward_progress 0
		.amdhsa_shared_vgpr_count 0
		.amdhsa_exception_fp_ieee_invalid_op 0
		.amdhsa_exception_fp_denorm_src 0
		.amdhsa_exception_fp_ieee_div_zero 0
		.amdhsa_exception_fp_ieee_overflow 0
		.amdhsa_exception_fp_ieee_underflow 0
		.amdhsa_exception_fp_ieee_inexact 0
		.amdhsa_exception_int_div_zero 0
	.end_amdhsa_kernel
	.section	.text._ZN2at6native12_GLOBAL__N_125multi_tensor_apply_kernelINS1_18TensorListMetadataILi2EEENS1_11CopyFunctorIbN3c104HalfELi2ELi1ELi1EEEJNS0_4CopyIbS7_EEEEEvT_T0_DpT1_,"axG",@progbits,_ZN2at6native12_GLOBAL__N_125multi_tensor_apply_kernelINS1_18TensorListMetadataILi2EEENS1_11CopyFunctorIbN3c104HalfELi2ELi1ELi1EEEJNS0_4CopyIbS7_EEEEEvT_T0_DpT1_,comdat
.Lfunc_end341:
	.size	_ZN2at6native12_GLOBAL__N_125multi_tensor_apply_kernelINS1_18TensorListMetadataILi2EEENS1_11CopyFunctorIbN3c104HalfELi2ELi1ELi1EEEJNS0_4CopyIbS7_EEEEEvT_T0_DpT1_, .Lfunc_end341-_ZN2at6native12_GLOBAL__N_125multi_tensor_apply_kernelINS1_18TensorListMetadataILi2EEENS1_11CopyFunctorIbN3c104HalfELi2ELi1ELi1EEEJNS0_4CopyIbS7_EEEEEvT_T0_DpT1_
                                        ; -- End function
	.section	.AMDGPU.csdata,"",@progbits
; Kernel info:
; codeLenInByte = 1612
; NumSgprs: 22
; NumVgprs: 33
; ScratchSize: 0
; MemoryBound: 0
; FloatMode: 240
; IeeeMode: 1
; LDSByteSize: 0 bytes/workgroup (compile time only)
; SGPRBlocks: 2
; VGPRBlocks: 4
; NumSGPRsForWavesPerEU: 22
; NumVGPRsForWavesPerEU: 33
; Occupancy: 16
; WaveLimiterHint : 0
; COMPUTE_PGM_RSRC2:SCRATCH_EN: 0
; COMPUTE_PGM_RSRC2:USER_SGPR: 15
; COMPUTE_PGM_RSRC2:TRAP_HANDLER: 0
; COMPUTE_PGM_RSRC2:TGID_X_EN: 1
; COMPUTE_PGM_RSRC2:TGID_Y_EN: 0
; COMPUTE_PGM_RSRC2:TGID_Z_EN: 0
; COMPUTE_PGM_RSRC2:TIDIG_COMP_CNT: 0
	.section	.text._ZN2at6native12_GLOBAL__N_125multi_tensor_apply_kernelINS1_18TensorListMetadataILi2EEENS1_11CopyFunctorIbN3c108BFloat16ELi2ELi1ELi1EEEJNS0_4CopyIbS7_EEEEEvT_T0_DpT1_,"axG",@progbits,_ZN2at6native12_GLOBAL__N_125multi_tensor_apply_kernelINS1_18TensorListMetadataILi2EEENS1_11CopyFunctorIbN3c108BFloat16ELi2ELi1ELi1EEEJNS0_4CopyIbS7_EEEEEvT_T0_DpT1_,comdat
	.globl	_ZN2at6native12_GLOBAL__N_125multi_tensor_apply_kernelINS1_18TensorListMetadataILi2EEENS1_11CopyFunctorIbN3c108BFloat16ELi2ELi1ELi1EEEJNS0_4CopyIbS7_EEEEEvT_T0_DpT1_ ; -- Begin function _ZN2at6native12_GLOBAL__N_125multi_tensor_apply_kernelINS1_18TensorListMetadataILi2EEENS1_11CopyFunctorIbN3c108BFloat16ELi2ELi1ELi1EEEJNS0_4CopyIbS7_EEEEEvT_T0_DpT1_
	.p2align	8
	.type	_ZN2at6native12_GLOBAL__N_125multi_tensor_apply_kernelINS1_18TensorListMetadataILi2EEENS1_11CopyFunctorIbN3c108BFloat16ELi2ELi1ELi1EEEJNS0_4CopyIbS7_EEEEEvT_T0_DpT1_,@function
_ZN2at6native12_GLOBAL__N_125multi_tensor_apply_kernelINS1_18TensorListMetadataILi2EEENS1_11CopyFunctorIbN3c108BFloat16ELi2ELi1ELi1EEEJNS0_4CopyIbS7_EEEEEvT_T0_DpT1_: ; @_ZN2at6native12_GLOBAL__N_125multi_tensor_apply_kernelINS1_18TensorListMetadataILi2EEENS1_11CopyFunctorIbN3c108BFloat16ELi2ELi1ELi1EEEJNS0_4CopyIbS7_EEEEEvT_T0_DpT1_
; %bb.0:
	v_mov_b32_e32 v1, s15
	s_add_u32 s2, s0, s15
	s_mul_i32 s4, s15, 3
	s_addc_u32 s3, s1, 0
	s_mul_hi_u32 s5, s15, 3
	global_load_u8 v1, v1, s[0:1] offset:1536
	s_add_u32 s2, s2, s4
	s_addc_u32 s3, s3, s5
	s_mov_b32 s17, 0
	s_load_b32 s10, s[2:3], 0x740
	s_waitcnt lgkmcnt(0)
	s_ashr_i32 s11, s10, 31
	s_delay_alu instid0(SALU_CYCLE_1) | instskip(SKIP_2) | instid1(VALU_DEP_1)
	s_lshl_b64 s[8:9], s[10:11], 16
	s_waitcnt vmcnt(0)
	v_readfirstlane_b32 s4, v1
	s_lshl_b32 s4, s4, 3
	s_clause 0x2
	s_load_b64 s[6:7], s[0:1], s4 offset:0x200
	s_load_b64 s[2:3], s[0:1], s4 offset:0x400
	;; [unrolled: 1-line block ×3, first 2 shown]
	s_waitcnt lgkmcnt(0)
	s_add_u32 s14, s6, s8
	s_addc_u32 s15, s7, s9
	s_delay_alu instid0(SALU_CYCLE_1) | instskip(SKIP_2) | instid1(SALU_CYCLE_1)
	s_or_b64 s[4:5], s[2:3], s[14:15]
	s_and_b32 s5, s12, 7
	s_and_b32 s4, s4, 3
	s_or_b32 s16, s4, s5
	s_sub_u32 s4, s2, s8
	s_subb_u32 s5, s3, s9
	s_cmp_eq_u64 s[16:17], 0
	s_mov_b32 s2, -1
	s_cbranch_scc0 .LBB342_5
; %bb.1:
	v_dual_mov_b32 v2, 0 :: v_dual_lshlrev_b32 v1, 2, v0
	s_mov_b32 s16, exec_lo
	s_delay_alu instid0(VALU_DEP_1)
	v_cmpx_gt_i64_e64 s[4:5], v[1:2]
	s_cbranch_execz .LBB342_4
; %bb.2:
	s_load_b32 s17, s[0:1], 0xc5c
	v_dual_mov_b32 v6, v2 :: v_dual_lshlrev_b32 v3, 3, v0
	s_lshl_b64 s[2:3], s[10:11], 17
	v_mov_b32_e32 v5, v1
	s_waitcnt lgkmcnt(0)
	s_and_b32 s19, s17, 0xffff
	s_add_u32 s2, s12, s2
	s_addc_u32 s3, s13, s3
	v_add_co_u32 v3, s2, s2, v3
	s_delay_alu instid0(VALU_DEP_1)
	v_add_co_ci_u32_e64 v4, null, s3, 0, s2
	s_mov_b32 s17, 0
	s_lshl_b32 s18, s19, 3
	s_lshl_b32 s19, s19, 2
.LBB342_3:                              ; =>This Inner Loop Header: Depth=1
	global_load_b64 v[7:8], v[3:4], off
	v_mov_b32_e32 v11, v2
	v_mov_b32_e32 v9, v2
	v_add_co_u32 v13, vcc_lo, s14, v5
	v_add_co_ci_u32_e32 v14, vcc_lo, s15, v6, vcc_lo
	v_add_co_u32 v5, vcc_lo, s19, v5
	v_add_co_ci_u32_e32 v6, vcc_lo, 0, v6, vcc_lo
	v_add_co_u32 v3, s3, v3, s18
	s_delay_alu instid0(VALU_DEP_1) | instskip(NEXT) | instid1(VALU_DEP_3)
	v_add_co_ci_u32_e64 v4, s3, 0, v4, s3
	v_cmp_le_i64_e32 vcc_lo, s[4:5], v[5:6]
	s_waitcnt vmcnt(0)
	v_and_b32_e32 v10, 0x7fff, v8
	v_and_b32_e32 v1, 0x7fff, v7
	;; [unrolled: 1-line block ×3, first 2 shown]
	s_delay_alu instid0(VALU_DEP_2) | instskip(SKIP_1) | instid1(VALU_DEP_2)
	v_cmp_ne_u64_e64 s2, 0, v[1:2]
	v_and_b32_e32 v1, 0x7fff0000, v7
	v_cndmask_b32_e64 v7, 0, 1, s2
	s_delay_alu instid0(VALU_DEP_4) | instskip(NEXT) | instid1(VALU_DEP_1)
	v_cmp_ne_u64_e64 s2, 0, v[11:12]
	v_cndmask_b32_e64 v8, 0, 1, s2
	s_delay_alu instid0(VALU_DEP_4) | instskip(NEXT) | instid1(VALU_DEP_2)
	v_cmp_ne_u64_e64 s2, 0, v[1:2]
	v_lshlrev_b16 v8, 8, v8
	s_delay_alu instid0(VALU_DEP_2) | instskip(SKIP_1) | instid1(VALU_DEP_2)
	v_cndmask_b32_e64 v1, 0, 1, s2
	v_cmp_ne_u64_e64 s2, 0, v[9:10]
	v_lshlrev_b16 v1, 8, v1
	s_delay_alu instid0(VALU_DEP_2) | instskip(SKIP_1) | instid1(VALU_DEP_3)
	v_cndmask_b32_e64 v9, 0, 1, s2
	v_cmp_lt_u64_e64 s2, 0xffff, v[5:6]
	v_or_b32_e32 v1, v7, v1
	s_delay_alu instid0(VALU_DEP_3) | instskip(NEXT) | instid1(VALU_DEP_3)
	v_or_b32_e32 v8, v9, v8
	s_or_b32 s2, vcc_lo, s2
	s_delay_alu instid0(VALU_DEP_2) | instskip(SKIP_1) | instid1(VALU_DEP_2)
	v_and_b32_e32 v1, 0xffff, v1
	s_and_b32 s2, exec_lo, s2
	v_lshlrev_b32_e32 v7, 16, v8
	s_or_b32 s17, s2, s17
	s_delay_alu instid0(VALU_DEP_1)
	v_or_b32_e32 v1, v1, v7
	global_store_b32 v[13:14], v1, off
	s_and_not1_b32 exec_lo, exec_lo, s17
	s_cbranch_execnz .LBB342_3
.LBB342_4:
	s_or_b32 exec_lo, exec_lo, s16
	s_mov_b32 s2, 0
.LBB342_5:
	s_delay_alu instid0(SALU_CYCLE_1)
	s_and_not1_b32 vcc_lo, exec_lo, s2
	s_cbranch_vccnz .LBB342_25
; %bb.6:
	v_cmp_lt_i64_e64 s2, s[4:5], 1
	s_delay_alu instid0(VALU_DEP_1)
	s_and_b32 vcc_lo, exec_lo, s2
	s_cbranch_vccnz .LBB342_25
; %bb.7:
	s_load_b32 s0, s[0:1], 0xc5c
	v_cmp_gt_u64_e64 s1, 0x10000, s[4:5]
	v_add_co_u32 v5, s2, s8, v0
	v_lshlrev_b32_e32 v1, 1, v0
	v_add_co_ci_u32_e64 v6, null, s9, 0, s2
	s_delay_alu instid0(VALU_DEP_3) | instskip(NEXT) | instid1(VALU_DEP_2)
	v_add_co_u32 v13, vcc_lo, s6, v5
                                        ; implicit-def: $vgpr29
                                        ; implicit-def: $vgpr30
                                        ; implicit-def: $vgpr27
                                        ; implicit-def: $vgpr28
	v_add_co_ci_u32_e32 v14, vcc_lo, s7, v6, vcc_lo
	s_waitcnt lgkmcnt(0)
	s_and_b32 s0, s0, 0xffff
	s_and_b32 s1, s1, exec_lo
	s_cselect_b32 s3, s5, 0
	s_cselect_b32 s2, s4, 0x10000
	s_lshl_b64 s[10:11], s[10:11], 17
	s_lshl_b32 s14, s0, 1
	s_lshl_b32 s1, s0, 2
	s_add_u32 s12, s12, s10
	s_mul_i32 s15, s0, 3
	s_addc_u32 s11, s13, s11
	s_lshl_b32 s10, s0, 3
	v_add_co_u32 v1, s16, s12, v1
	s_add_u32 s13, s8, s15
	v_add_co_ci_u32_e64 v2, null, s11, 0, s16
	s_addc_u32 s16, s9, 0
	s_add_u32 s13, s6, s13
	s_addc_u32 s16, s7, s16
	v_add_co_u32 v15, s13, s13, v0
	s_delay_alu instid0(VALU_DEP_1) | instskip(SKIP_1) | instid1(VALU_DEP_1)
	v_add_co_ci_u32_e64 v16, null, s16, 0, s13
	v_add_co_u32 v17, s13, s15, v0
	v_add_co_ci_u32_e64 v18, null, 0, 0, s13
	v_add_co_u32 v19, s13, v0, s0
	s_add_u32 s8, s8, s14
	s_addc_u32 s9, s9, 0
	s_add_u32 s8, s6, s8
	s_delay_alu instid0(VALU_DEP_1) | instskip(SKIP_2) | instid1(VALU_DEP_1)
	v_lshlrev_b32_e32 v3, 1, v19
	s_addc_u32 s9, s7, s9
	v_add_co_u32 v20, s8, s8, v0
	v_add_co_ci_u32_e64 v21, null, s9, 0, s8
	v_add_co_u32 v23, s8, s14, v0
	s_add_u32 s6, s6, s0
	v_add_co_ci_u32_e64 v24, null, 0, 0, s8
	v_add_co_u32 v3, s8, s12, v3
	s_addc_u32 s7, s7, 0
	v_add_co_u32 v25, vcc_lo, s6, v5
	v_add_co_ci_u32_e64 v22, null, 0, 0, s13
	v_add_co_ci_u32_e64 v4, null, s11, 0, s8
	v_add_co_ci_u32_e32 v26, vcc_lo, s7, v6, vcc_lo
	s_mul_i32 s8, s0, 6
	s_mov_b64 s[6:7], 0
	s_branch .LBB342_9
.LBB342_8:                              ;   in Loop: Header=BB342_9 Depth=1
	s_or_b32 exec_lo, exec_lo, s0
	s_add_u32 s6, s6, s1
	s_addc_u32 s7, s7, 0
	v_add_co_u32 v1, vcc_lo, v1, s10
	v_cmp_ge_i64_e64 s0, s[6:7], s[4:5]
	v_cmp_lt_u64_e64 s9, 0xffff, s[6:7]
	v_add_co_ci_u32_e32 v2, vcc_lo, 0, v2, vcc_lo
	v_add_co_u32 v3, vcc_lo, v3, s10
	v_add_co_ci_u32_e32 v4, vcc_lo, 0, v4, vcc_lo
	s_delay_alu instid0(VALU_DEP_4) | instskip(NEXT) | instid1(SALU_CYCLE_1)
	s_or_b32 s0, s0, s9
	s_and_b32 vcc_lo, exec_lo, s0
	s_cbranch_vccnz .LBB342_25
.LBB342_9:                              ; =>This Inner Loop Header: Depth=1
	v_add_co_u32 v5, s0, v0, s6
	s_delay_alu instid0(VALU_DEP_1) | instskip(NEXT) | instid1(VALU_DEP_1)
	v_add_co_ci_u32_e64 v6, null, 0, s7, s0
	v_cmp_gt_i64_e32 vcc_lo, s[4:5], v[5:6]
	v_cmp_gt_u64_e64 s0, 0x10000, v[5:6]
	s_delay_alu instid0(VALU_DEP_1) | instskip(NEXT) | instid1(SALU_CYCLE_1)
	s_and_b32 s9, vcc_lo, s0
	s_and_saveexec_b32 s0, s9
	s_cbranch_execz .LBB342_11
; %bb.10:                               ;   in Loop: Header=BB342_9 Depth=1
	global_load_u16 v28, v[1:2], off
.LBB342_11:                             ;   in Loop: Header=BB342_9 Depth=1
	s_or_b32 exec_lo, exec_lo, s0
	v_add_co_u32 v7, vcc_lo, v19, s6
	v_add_co_ci_u32_e32 v8, vcc_lo, s7, v22, vcc_lo
	s_delay_alu instid0(VALU_DEP_1) | instskip(SKIP_1) | instid1(VALU_DEP_1)
	v_cmp_gt_i64_e32 vcc_lo, s[4:5], v[7:8]
	v_cmp_gt_u64_e64 s0, 0x10000, v[7:8]
	s_and_b32 s9, vcc_lo, s0
	s_delay_alu instid0(SALU_CYCLE_1)
	s_and_saveexec_b32 s0, s9
	s_cbranch_execz .LBB342_13
; %bb.12:                               ;   in Loop: Header=BB342_9 Depth=1
	global_load_u16 v27, v[3:4], off
.LBB342_13:                             ;   in Loop: Header=BB342_9 Depth=1
	s_or_b32 exec_lo, exec_lo, s0
	v_add_co_u32 v9, vcc_lo, v23, s6
	v_add_co_ci_u32_e32 v10, vcc_lo, s7, v24, vcc_lo
	s_delay_alu instid0(VALU_DEP_1) | instskip(SKIP_1) | instid1(VALU_DEP_1)
	v_cmp_gt_i64_e32 vcc_lo, s[4:5], v[9:10]
	v_cmp_gt_u64_e64 s0, 0x10000, v[9:10]
	s_and_b32 s9, vcc_lo, s0
	s_delay_alu instid0(SALU_CYCLE_1)
	s_and_saveexec_b32 s0, s9
	s_cbranch_execz .LBB342_15
; %bb.14:                               ;   in Loop: Header=BB342_9 Depth=1
	v_add_co_u32 v11, vcc_lo, v1, s1
	v_add_co_ci_u32_e32 v12, vcc_lo, 0, v2, vcc_lo
	global_load_u16 v30, v[11:12], off
.LBB342_15:                             ;   in Loop: Header=BB342_9 Depth=1
	s_or_b32 exec_lo, exec_lo, s0
	v_add_co_u32 v11, vcc_lo, v17, s6
	v_add_co_ci_u32_e32 v12, vcc_lo, s7, v18, vcc_lo
	s_delay_alu instid0(VALU_DEP_1) | instskip(SKIP_1) | instid1(VALU_DEP_1)
	v_cmp_gt_i64_e32 vcc_lo, s[4:5], v[11:12]
	v_cmp_gt_u64_e64 s0, 0x10000, v[11:12]
	s_and_b32 s9, vcc_lo, s0
	s_delay_alu instid0(SALU_CYCLE_1)
	s_and_saveexec_b32 s0, s9
	s_cbranch_execnz .LBB342_20
; %bb.16:                               ;   in Loop: Header=BB342_9 Depth=1
	s_or_b32 exec_lo, exec_lo, s0
	s_delay_alu instid0(SALU_CYCLE_1)
	s_mov_b32 s0, exec_lo
	v_cmpx_gt_u64_e64 s[2:3], v[5:6]
	s_cbranch_execnz .LBB342_21
.LBB342_17:                             ;   in Loop: Header=BB342_9 Depth=1
	s_or_b32 exec_lo, exec_lo, s0
	s_delay_alu instid0(SALU_CYCLE_1)
	s_mov_b32 s0, exec_lo
	v_cmpx_gt_u64_e64 s[2:3], v[7:8]
	s_cbranch_execnz .LBB342_22
.LBB342_18:                             ;   in Loop: Header=BB342_9 Depth=1
	s_or_b32 exec_lo, exec_lo, s0
	s_delay_alu instid0(SALU_CYCLE_1)
	s_mov_b32 s0, exec_lo
	v_cmpx_gt_u64_e64 s[2:3], v[9:10]
	s_cbranch_execnz .LBB342_23
.LBB342_19:                             ;   in Loop: Header=BB342_9 Depth=1
	s_or_b32 exec_lo, exec_lo, s0
	s_delay_alu instid0(SALU_CYCLE_1)
	s_mov_b32 s0, exec_lo
	v_cmpx_gt_u64_e64 s[2:3], v[11:12]
	s_cbranch_execz .LBB342_8
	s_branch .LBB342_24
.LBB342_20:                             ;   in Loop: Header=BB342_9 Depth=1
	v_add_co_u32 v31, vcc_lo, v1, s8
	v_add_co_ci_u32_e32 v32, vcc_lo, 0, v2, vcc_lo
	global_load_u16 v29, v[31:32], off
	s_or_b32 exec_lo, exec_lo, s0
	s_delay_alu instid0(SALU_CYCLE_1)
	s_mov_b32 s0, exec_lo
	v_cmpx_gt_u64_e64 s[2:3], v[5:6]
	s_cbranch_execz .LBB342_17
.LBB342_21:                             ;   in Loop: Header=BB342_9 Depth=1
	s_waitcnt vmcnt(0)
	v_and_b32_e32 v31, 0x7fff, v28
	v_add_co_u32 v5, vcc_lo, v13, s6
	v_add_co_ci_u32_e32 v6, vcc_lo, s7, v14, vcc_lo
	s_delay_alu instid0(VALU_DEP_3) | instskip(SKIP_3) | instid1(SALU_CYCLE_1)
	v_cmp_ne_u16_e32 vcc_lo, 0, v31
	v_cndmask_b32_e64 v31, 0, 1, vcc_lo
	global_store_b8 v[5:6], v31, off
	s_or_b32 exec_lo, exec_lo, s0
	s_mov_b32 s0, exec_lo
	v_cmpx_gt_u64_e64 s[2:3], v[7:8]
	s_cbranch_execz .LBB342_18
.LBB342_22:                             ;   in Loop: Header=BB342_9 Depth=1
	s_waitcnt vmcnt(0)
	v_and_b32_e32 v5, 0x7fff, v27
	s_delay_alu instid0(VALU_DEP_1)
	v_cmp_ne_u16_e32 vcc_lo, 0, v5
	v_cndmask_b32_e64 v7, 0, 1, vcc_lo
	v_add_co_u32 v5, vcc_lo, v25, s6
	v_add_co_ci_u32_e32 v6, vcc_lo, s7, v26, vcc_lo
	global_store_b8 v[5:6], v7, off
	s_or_b32 exec_lo, exec_lo, s0
	s_delay_alu instid0(SALU_CYCLE_1)
	s_mov_b32 s0, exec_lo
	v_cmpx_gt_u64_e64 s[2:3], v[9:10]
	s_cbranch_execz .LBB342_19
.LBB342_23:                             ;   in Loop: Header=BB342_9 Depth=1
	s_waitcnt vmcnt(0)
	v_and_b32_e32 v5, 0x7fff, v30
	s_delay_alu instid0(VALU_DEP_1)
	v_cmp_ne_u16_e32 vcc_lo, 0, v5
	v_cndmask_b32_e64 v7, 0, 1, vcc_lo
	v_add_co_u32 v5, vcc_lo, v20, s6
	v_add_co_ci_u32_e32 v6, vcc_lo, s7, v21, vcc_lo
	global_store_b8 v[5:6], v7, off
	s_or_b32 exec_lo, exec_lo, s0
	s_delay_alu instid0(SALU_CYCLE_1)
	s_mov_b32 s0, exec_lo
	v_cmpx_gt_u64_e64 s[2:3], v[11:12]
	s_cbranch_execz .LBB342_8
.LBB342_24:                             ;   in Loop: Header=BB342_9 Depth=1
	s_waitcnt vmcnt(0)
	v_and_b32_e32 v5, 0x7fff, v29
	s_delay_alu instid0(VALU_DEP_1)
	v_cmp_ne_u16_e32 vcc_lo, 0, v5
	v_cndmask_b32_e64 v7, 0, 1, vcc_lo
	v_add_co_u32 v5, vcc_lo, v15, s6
	v_add_co_ci_u32_e32 v6, vcc_lo, s7, v16, vcc_lo
	global_store_b8 v[5:6], v7, off
	s_branch .LBB342_8
.LBB342_25:
	s_nop 0
	s_sendmsg sendmsg(MSG_DEALLOC_VGPRS)
	s_endpgm
	.section	.rodata,"a",@progbits
	.p2align	6, 0x0
	.amdhsa_kernel _ZN2at6native12_GLOBAL__N_125multi_tensor_apply_kernelINS1_18TensorListMetadataILi2EEENS1_11CopyFunctorIbN3c108BFloat16ELi2ELi1ELi1EEEJNS0_4CopyIbS7_EEEEEvT_T0_DpT1_
		.amdhsa_group_segment_fixed_size 0
		.amdhsa_private_segment_fixed_size 0
		.amdhsa_kernarg_size 3408
		.amdhsa_user_sgpr_count 15
		.amdhsa_user_sgpr_dispatch_ptr 0
		.amdhsa_user_sgpr_queue_ptr 0
		.amdhsa_user_sgpr_kernarg_segment_ptr 1
		.amdhsa_user_sgpr_dispatch_id 0
		.amdhsa_user_sgpr_private_segment_size 0
		.amdhsa_wavefront_size32 1
		.amdhsa_uses_dynamic_stack 0
		.amdhsa_enable_private_segment 0
		.amdhsa_system_sgpr_workgroup_id_x 1
		.amdhsa_system_sgpr_workgroup_id_y 0
		.amdhsa_system_sgpr_workgroup_id_z 0
		.amdhsa_system_sgpr_workgroup_info 0
		.amdhsa_system_vgpr_workitem_id 0
		.amdhsa_next_free_vgpr 33
		.amdhsa_next_free_sgpr 20
		.amdhsa_reserve_vcc 1
		.amdhsa_float_round_mode_32 0
		.amdhsa_float_round_mode_16_64 0
		.amdhsa_float_denorm_mode_32 3
		.amdhsa_float_denorm_mode_16_64 3
		.amdhsa_dx10_clamp 1
		.amdhsa_ieee_mode 1
		.amdhsa_fp16_overflow 0
		.amdhsa_workgroup_processor_mode 1
		.amdhsa_memory_ordered 1
		.amdhsa_forward_progress 0
		.amdhsa_shared_vgpr_count 0
		.amdhsa_exception_fp_ieee_invalid_op 0
		.amdhsa_exception_fp_denorm_src 0
		.amdhsa_exception_fp_ieee_div_zero 0
		.amdhsa_exception_fp_ieee_overflow 0
		.amdhsa_exception_fp_ieee_underflow 0
		.amdhsa_exception_fp_ieee_inexact 0
		.amdhsa_exception_int_div_zero 0
	.end_amdhsa_kernel
	.section	.text._ZN2at6native12_GLOBAL__N_125multi_tensor_apply_kernelINS1_18TensorListMetadataILi2EEENS1_11CopyFunctorIbN3c108BFloat16ELi2ELi1ELi1EEEJNS0_4CopyIbS7_EEEEEvT_T0_DpT1_,"axG",@progbits,_ZN2at6native12_GLOBAL__N_125multi_tensor_apply_kernelINS1_18TensorListMetadataILi2EEENS1_11CopyFunctorIbN3c108BFloat16ELi2ELi1ELi1EEEJNS0_4CopyIbS7_EEEEEvT_T0_DpT1_,comdat
.Lfunc_end342:
	.size	_ZN2at6native12_GLOBAL__N_125multi_tensor_apply_kernelINS1_18TensorListMetadataILi2EEENS1_11CopyFunctorIbN3c108BFloat16ELi2ELi1ELi1EEEJNS0_4CopyIbS7_EEEEEvT_T0_DpT1_, .Lfunc_end342-_ZN2at6native12_GLOBAL__N_125multi_tensor_apply_kernelINS1_18TensorListMetadataILi2EEENS1_11CopyFunctorIbN3c108BFloat16ELi2ELi1ELi1EEEJNS0_4CopyIbS7_EEEEEvT_T0_DpT1_
                                        ; -- End function
	.section	.AMDGPU.csdata,"",@progbits
; Kernel info:
; codeLenInByte = 1612
; NumSgprs: 22
; NumVgprs: 33
; ScratchSize: 0
; MemoryBound: 0
; FloatMode: 240
; IeeeMode: 1
; LDSByteSize: 0 bytes/workgroup (compile time only)
; SGPRBlocks: 2
; VGPRBlocks: 4
; NumSGPRsForWavesPerEU: 22
; NumVGPRsForWavesPerEU: 33
; Occupancy: 16
; WaveLimiterHint : 0
; COMPUTE_PGM_RSRC2:SCRATCH_EN: 0
; COMPUTE_PGM_RSRC2:USER_SGPR: 15
; COMPUTE_PGM_RSRC2:TRAP_HANDLER: 0
; COMPUTE_PGM_RSRC2:TGID_X_EN: 1
; COMPUTE_PGM_RSRC2:TGID_Y_EN: 0
; COMPUTE_PGM_RSRC2:TGID_Z_EN: 0
; COMPUTE_PGM_RSRC2:TIDIG_COMP_CNT: 0
	.section	.text._ZN2at6native12_GLOBAL__N_125multi_tensor_apply_kernelINS1_18TensorListMetadataILi2EEENS1_14UnaryOpFunctorIbLi2ELi1ELi1EEEJNS0_4CopyIbbEEEEEvT_T0_DpT1_,"axG",@progbits,_ZN2at6native12_GLOBAL__N_125multi_tensor_apply_kernelINS1_18TensorListMetadataILi2EEENS1_14UnaryOpFunctorIbLi2ELi1ELi1EEEJNS0_4CopyIbbEEEEEvT_T0_DpT1_,comdat
	.globl	_ZN2at6native12_GLOBAL__N_125multi_tensor_apply_kernelINS1_18TensorListMetadataILi2EEENS1_14UnaryOpFunctorIbLi2ELi1ELi1EEEJNS0_4CopyIbbEEEEEvT_T0_DpT1_ ; -- Begin function _ZN2at6native12_GLOBAL__N_125multi_tensor_apply_kernelINS1_18TensorListMetadataILi2EEENS1_14UnaryOpFunctorIbLi2ELi1ELi1EEEJNS0_4CopyIbbEEEEEvT_T0_DpT1_
	.p2align	8
	.type	_ZN2at6native12_GLOBAL__N_125multi_tensor_apply_kernelINS1_18TensorListMetadataILi2EEENS1_14UnaryOpFunctorIbLi2ELi1ELi1EEEJNS0_4CopyIbbEEEEEvT_T0_DpT1_,@function
_ZN2at6native12_GLOBAL__N_125multi_tensor_apply_kernelINS1_18TensorListMetadataILi2EEENS1_14UnaryOpFunctorIbLi2ELi1ELi1EEEJNS0_4CopyIbbEEEEEvT_T0_DpT1_: ; @_ZN2at6native12_GLOBAL__N_125multi_tensor_apply_kernelINS1_18TensorListMetadataILi2EEENS1_14UnaryOpFunctorIbLi2ELi1ELi1EEEJNS0_4CopyIbbEEEEEvT_T0_DpT1_
; %bb.0:
	v_mov_b32_e32 v1, s15
	s_add_u32 s2, s0, s15
	s_mul_hi_u32 s3, s15, 3
	s_mul_i32 s15, s15, 3
	s_addc_u32 s4, s1, 0
	global_load_u8 v1, v1, s[0:1] offset:1536
	s_add_u32 s2, s2, s15
	s_addc_u32 s3, s4, s3
	s_load_b32 s2, s[2:3], 0x740
	s_waitcnt vmcnt(0)
	v_readfirstlane_b32 s5, v1
	s_delay_alu instid0(VALU_DEP_1)
	s_lshl_b32 s3, s5, 3
	s_clause 0x2
	s_load_b64 s[8:9], s[0:1], s3 offset:0x0
	s_load_b64 s[10:11], s[0:1], s3 offset:0x200
	;; [unrolled: 1-line block ×3, first 2 shown]
	s_waitcnt lgkmcnt(0)
	s_ashr_i32 s3, s2, 31
	s_delay_alu instid0(SALU_CYCLE_1) | instskip(NEXT) | instid1(SALU_CYCLE_1)
	s_lshl_b64 s[12:13], s[2:3], 16
	s_add_u32 s6, s8, s12
	s_addc_u32 s7, s9, s13
	s_add_u32 s3, s10, s12
	s_addc_u32 s14, s11, s13
	s_or_b64 s[16:17], s[4:5], s[6:7]
	s_delay_alu instid0(SALU_CYCLE_1) | instskip(NEXT) | instid1(SALU_CYCLE_1)
	s_or_b32 s2, s3, s16
	s_and_b32 s2, s2, 3
	s_sub_u32 s4, s4, s12
	s_subb_u32 s5, s5, s13
	s_cmp_eq_u32 s2, 0
	s_mov_b32 s2, -1
	s_cbranch_scc0 .LBB343_5
; %bb.1:
	v_dual_mov_b32 v2, 0 :: v_dual_lshlrev_b32 v1, 2, v0
	s_mov_b32 s15, exec_lo
	s_delay_alu instid0(VALU_DEP_1)
	v_cmpx_gt_i64_e64 s[4:5], v[1:2]
	s_cbranch_execz .LBB343_4
; %bb.2:
	s_load_b32 s2, s[0:1], 0xc5c
	s_mov_b32 s17, 0
	s_waitcnt lgkmcnt(0)
	s_and_b32 s2, s2, 0xffff
	s_delay_alu instid0(SALU_CYCLE_1)
	s_lshl_b32 s16, s2, 2
	.p2align	6
.LBB343_3:                              ; =>This Inner Loop Header: Depth=1
	v_add_co_u32 v3, vcc_lo, s6, v1
	v_add_co_ci_u32_e32 v4, vcc_lo, s7, v2, vcc_lo
	global_load_b32 v5, v[3:4], off
	v_add_co_u32 v3, vcc_lo, s3, v1
	v_add_co_ci_u32_e32 v4, vcc_lo, s14, v2, vcc_lo
	v_add_co_u32 v1, vcc_lo, s16, v1
	v_add_co_ci_u32_e32 v2, vcc_lo, 0, v2, vcc_lo
	s_delay_alu instid0(VALU_DEP_1) | instskip(SKIP_1) | instid1(VALU_DEP_1)
	v_cmp_le_i64_e32 vcc_lo, s[4:5], v[1:2]
	v_cmp_lt_u64_e64 s2, 0xffff, v[1:2]
	s_or_b32 s2, vcc_lo, s2
	s_delay_alu instid0(SALU_CYCLE_1) | instskip(NEXT) | instid1(SALU_CYCLE_1)
	s_and_b32 s2, exec_lo, s2
	s_or_b32 s17, s2, s17
	s_waitcnt vmcnt(0)
	global_store_b32 v[3:4], v5, off
	s_and_not1_b32 exec_lo, exec_lo, s17
	s_cbranch_execnz .LBB343_3
.LBB343_4:
	s_or_b32 exec_lo, exec_lo, s15
	s_mov_b32 s2, 0
.LBB343_5:
	s_delay_alu instid0(SALU_CYCLE_1)
	s_and_not1_b32 vcc_lo, exec_lo, s2
	s_cbranch_vccnz .LBB343_25
; %bb.6:
	v_cmp_lt_i64_e64 s2, s[4:5], 1
	s_delay_alu instid0(VALU_DEP_1)
	s_and_b32 vcc_lo, exec_lo, s2
	s_cbranch_vccnz .LBB343_25
; %bb.7:
	s_load_b32 s0, s[0:1], 0xc5c
	v_add_co_u32 v15, s1, s12, v0
	s_delay_alu instid0(VALU_DEP_1) | instskip(SKIP_1) | instid1(VALU_DEP_3)
	v_add_co_ci_u32_e64 v16, null, s13, 0, s1
	v_cmp_gt_u64_e64 s1, 0x10000, s[4:5]
	v_add_co_u32 v1, vcc_lo, s8, v15
	s_delay_alu instid0(VALU_DEP_3)
	v_add_co_ci_u32_e32 v2, vcc_lo, s9, v16, vcc_lo
	v_add_co_u32 v3, vcc_lo, s10, v15
	v_add_co_ci_u32_e32 v4, vcc_lo, s11, v16, vcc_lo
	s_waitcnt lgkmcnt(0)
	s_and_b32 s0, s0, 0xffff
	s_and_b32 s1, s1, exec_lo
	s_mul_i32 s2, s0, 3
	s_cselect_b32 s7, s5, 0
	s_cselect_b32 s6, s4, 0x10000
	s_lshl_b32 s1, s0, 1
	s_lshl_b32 s14, s0, 2
	s_add_u32 s3, s12, s2
	s_addc_u32 s15, s13, 0
	v_add_co_u32 v7, s3, s3, v0
	s_delay_alu instid0(VALU_DEP_1) | instskip(SKIP_1) | instid1(VALU_DEP_2)
	v_add_co_ci_u32_e64 v8, null, s15, 0, s3
	s_add_u32 s3, s12, s1
	v_add_co_u32 v5, vcc_lo, s8, v7
	s_addc_u32 s12, s13, 0
	v_add_co_u32 v13, s3, s3, v0
	v_add_co_ci_u32_e32 v6, vcc_lo, s9, v8, vcc_lo
	v_add_co_u32 v7, vcc_lo, s10, v7
	v_add_co_ci_u32_e64 v14, null, s12, 0, s3
	v_add_co_ci_u32_e32 v8, vcc_lo, s11, v8, vcc_lo
	v_add_co_u32 v11, vcc_lo, s8, v13
	s_delay_alu instid0(VALU_DEP_3)
	v_add_co_ci_u32_e32 v12, vcc_lo, s9, v14, vcc_lo
	v_add_co_u32 v13, vcc_lo, s10, v13
	v_add_co_ci_u32_e32 v14, vcc_lo, s11, v14, vcc_lo
	v_add_co_u32 v19, vcc_lo, v15, s0
	v_add_co_ci_u32_e32 v20, vcc_lo, 0, v16, vcc_lo
	v_add_co_u32 v9, s2, s2, v0
	s_delay_alu instid0(VALU_DEP_3) | instskip(NEXT) | instid1(VALU_DEP_3)
	v_add_co_u32 v17, vcc_lo, s8, v19
	v_add_co_ci_u32_e32 v18, vcc_lo, s9, v20, vcc_lo
	v_add_co_u32 v15, s1, s1, v0
	v_add_co_u32 v19, vcc_lo, s10, v19
	v_add_co_u32 v21, s0, v0, s0
	v_add_co_ci_u32_e64 v10, null, 0, 0, s2
	v_add_co_ci_u32_e64 v16, null, 0, 0, s1
	v_add_co_ci_u32_e32 v20, vcc_lo, s11, v20, vcc_lo
	v_add_co_ci_u32_e64 v22, null, 0, 0, s0
	s_mov_b64 s[8:9], 0
	s_branch .LBB343_9
.LBB343_8:                              ;   in Loop: Header=BB343_9 Depth=1
	s_or_b32 exec_lo, exec_lo, s0
	s_add_u32 s8, s8, s14
	s_addc_u32 s9, s9, 0
	s_delay_alu instid0(SALU_CYCLE_1) | instskip(SKIP_1) | instid1(VALU_DEP_1)
	v_cmp_ge_i64_e64 s0, s[8:9], s[4:5]
	v_cmp_lt_u64_e64 s1, 0xffff, s[8:9]
	s_or_b32 s0, s0, s1
	s_delay_alu instid0(SALU_CYCLE_1)
	s_and_b32 vcc_lo, exec_lo, s0
	s_cbranch_vccnz .LBB343_25
.LBB343_9:                              ; =>This Inner Loop Header: Depth=1
	s_waitcnt vmcnt(0)
	v_add_co_u32 v23, s0, v0, s8
	s_delay_alu instid0(VALU_DEP_1) | instskip(NEXT) | instid1(VALU_DEP_1)
	v_add_co_ci_u32_e64 v24, null, 0, s9, s0
	v_cmp_gt_u64_e32 vcc_lo, s[6:7], v[23:24]
	v_mov_b32_e32 v23, 0
	s_and_saveexec_b32 s1, vcc_lo
	s_cbranch_execz .LBB343_11
; %bb.10:                               ;   in Loop: Header=BB343_9 Depth=1
	v_add_co_u32 v23, s0, v1, s8
	s_delay_alu instid0(VALU_DEP_1)
	v_add_co_ci_u32_e64 v24, s0, s9, v2, s0
	global_load_u8 v23, v[23:24], off
.LBB343_11:                             ;   in Loop: Header=BB343_9 Depth=1
	s_or_b32 exec_lo, exec_lo, s1
	v_add_co_u32 v24, s0, v21, s8
	s_delay_alu instid0(VALU_DEP_1) | instskip(NEXT) | instid1(VALU_DEP_1)
	v_add_co_ci_u32_e64 v25, s0, s9, v22, s0
	v_cmp_gt_u64_e64 s0, s[6:7], v[24:25]
	v_mov_b32_e32 v25, 0
	s_delay_alu instid0(VALU_DEP_2)
	s_and_saveexec_b32 s2, s0
	s_cbranch_execz .LBB343_13
; %bb.12:                               ;   in Loop: Header=BB343_9 Depth=1
	v_add_co_u32 v24, s1, v17, s8
	s_delay_alu instid0(VALU_DEP_1)
	v_add_co_ci_u32_e64 v25, s1, s9, v18, s1
	global_load_u8 v25, v[24:25], off
.LBB343_13:                             ;   in Loop: Header=BB343_9 Depth=1
	s_or_b32 exec_lo, exec_lo, s2
	v_add_co_u32 v26, s1, v15, s8
	s_delay_alu instid0(VALU_DEP_1) | instskip(SKIP_1) | instid1(VALU_DEP_2)
	v_add_co_ci_u32_e64 v27, s1, s9, v16, s1
	v_mov_b32_e32 v24, 0
	v_cmp_gt_u64_e64 s1, s[6:7], v[26:27]
	v_mov_b32_e32 v26, 0
	s_delay_alu instid0(VALU_DEP_2)
	s_and_saveexec_b32 s3, s1
	s_cbranch_execz .LBB343_15
; %bb.14:                               ;   in Loop: Header=BB343_9 Depth=1
	v_add_co_u32 v26, s2, v11, s8
	s_delay_alu instid0(VALU_DEP_1)
	v_add_co_ci_u32_e64 v27, s2, s9, v12, s2
	global_load_u8 v26, v[26:27], off
.LBB343_15:                             ;   in Loop: Header=BB343_9 Depth=1
	s_or_b32 exec_lo, exec_lo, s3
	v_add_co_u32 v27, s2, v9, s8
	s_delay_alu instid0(VALU_DEP_1) | instskip(NEXT) | instid1(VALU_DEP_1)
	v_add_co_ci_u32_e64 v28, s2, s9, v10, s2
	v_cmp_gt_u64_e64 s2, s[6:7], v[27:28]
	s_delay_alu instid0(VALU_DEP_1)
	s_and_saveexec_b32 s10, s2
	s_cbranch_execnz .LBB343_20
; %bb.16:                               ;   in Loop: Header=BB343_9 Depth=1
	s_or_b32 exec_lo, exec_lo, s10
	s_and_saveexec_b32 s3, vcc_lo
	s_cbranch_execnz .LBB343_21
.LBB343_17:                             ;   in Loop: Header=BB343_9 Depth=1
	s_or_b32 exec_lo, exec_lo, s3
	s_and_saveexec_b32 s3, s0
	s_cbranch_execnz .LBB343_22
.LBB343_18:                             ;   in Loop: Header=BB343_9 Depth=1
	s_or_b32 exec_lo, exec_lo, s3
	s_and_saveexec_b32 s0, s1
	s_cbranch_execnz .LBB343_23
.LBB343_19:                             ;   in Loop: Header=BB343_9 Depth=1
	s_or_b32 exec_lo, exec_lo, s0
	s_and_saveexec_b32 s0, s2
	s_cbranch_execz .LBB343_8
	s_branch .LBB343_24
.LBB343_20:                             ;   in Loop: Header=BB343_9 Depth=1
	v_add_co_u32 v27, s3, v5, s8
	s_delay_alu instid0(VALU_DEP_1)
	v_add_co_ci_u32_e64 v28, s3, s9, v6, s3
	global_load_u8 v24, v[27:28], off
	s_or_b32 exec_lo, exec_lo, s10
	s_and_saveexec_b32 s3, vcc_lo
	s_cbranch_execz .LBB343_17
.LBB343_21:                             ;   in Loop: Header=BB343_9 Depth=1
	v_add_co_u32 v27, vcc_lo, v3, s8
	v_add_co_ci_u32_e32 v28, vcc_lo, s9, v4, vcc_lo
	s_waitcnt vmcnt(0)
	global_store_b8 v[27:28], v23, off
	s_or_b32 exec_lo, exec_lo, s3
	s_and_saveexec_b32 s3, s0
	s_cbranch_execz .LBB343_18
.LBB343_22:                             ;   in Loop: Header=BB343_9 Depth=1
	v_add_co_u32 v27, vcc_lo, v19, s8
	v_add_co_ci_u32_e32 v28, vcc_lo, s9, v20, vcc_lo
	s_waitcnt vmcnt(0)
	global_store_b8 v[27:28], v25, off
	s_or_b32 exec_lo, exec_lo, s3
	s_and_saveexec_b32 s0, s1
	s_cbranch_execz .LBB343_19
.LBB343_23:                             ;   in Loop: Header=BB343_9 Depth=1
	v_add_co_u32 v27, vcc_lo, v13, s8
	v_add_co_ci_u32_e32 v28, vcc_lo, s9, v14, vcc_lo
	s_waitcnt vmcnt(0)
	global_store_b8 v[27:28], v26, off
	s_or_b32 exec_lo, exec_lo, s0
	s_and_saveexec_b32 s0, s2
	s_cbranch_execz .LBB343_8
.LBB343_24:                             ;   in Loop: Header=BB343_9 Depth=1
	s_waitcnt vmcnt(0)
	v_add_co_u32 v25, vcc_lo, v7, s8
	v_add_co_ci_u32_e32 v26, vcc_lo, s9, v8, vcc_lo
	global_store_b8 v[25:26], v24, off
	s_branch .LBB343_8
.LBB343_25:
	s_nop 0
	s_sendmsg sendmsg(MSG_DEALLOC_VGPRS)
	s_endpgm
	.section	.rodata,"a",@progbits
	.p2align	6, 0x0
	.amdhsa_kernel _ZN2at6native12_GLOBAL__N_125multi_tensor_apply_kernelINS1_18TensorListMetadataILi2EEENS1_14UnaryOpFunctorIbLi2ELi1ELi1EEEJNS0_4CopyIbbEEEEEvT_T0_DpT1_
		.amdhsa_group_segment_fixed_size 0
		.amdhsa_private_segment_fixed_size 0
		.amdhsa_kernarg_size 3408
		.amdhsa_user_sgpr_count 15
		.amdhsa_user_sgpr_dispatch_ptr 0
		.amdhsa_user_sgpr_queue_ptr 0
		.amdhsa_user_sgpr_kernarg_segment_ptr 1
		.amdhsa_user_sgpr_dispatch_id 0
		.amdhsa_user_sgpr_private_segment_size 0
		.amdhsa_wavefront_size32 1
		.amdhsa_uses_dynamic_stack 0
		.amdhsa_enable_private_segment 0
		.amdhsa_system_sgpr_workgroup_id_x 1
		.amdhsa_system_sgpr_workgroup_id_y 0
		.amdhsa_system_sgpr_workgroup_id_z 0
		.amdhsa_system_sgpr_workgroup_info 0
		.amdhsa_system_vgpr_workitem_id 0
		.amdhsa_next_free_vgpr 29
		.amdhsa_next_free_sgpr 18
		.amdhsa_reserve_vcc 1
		.amdhsa_float_round_mode_32 0
		.amdhsa_float_round_mode_16_64 0
		.amdhsa_float_denorm_mode_32 3
		.amdhsa_float_denorm_mode_16_64 3
		.amdhsa_dx10_clamp 1
		.amdhsa_ieee_mode 1
		.amdhsa_fp16_overflow 0
		.amdhsa_workgroup_processor_mode 1
		.amdhsa_memory_ordered 1
		.amdhsa_forward_progress 0
		.amdhsa_shared_vgpr_count 0
		.amdhsa_exception_fp_ieee_invalid_op 0
		.amdhsa_exception_fp_denorm_src 0
		.amdhsa_exception_fp_ieee_div_zero 0
		.amdhsa_exception_fp_ieee_overflow 0
		.amdhsa_exception_fp_ieee_underflow 0
		.amdhsa_exception_fp_ieee_inexact 0
		.amdhsa_exception_int_div_zero 0
	.end_amdhsa_kernel
	.section	.text._ZN2at6native12_GLOBAL__N_125multi_tensor_apply_kernelINS1_18TensorListMetadataILi2EEENS1_14UnaryOpFunctorIbLi2ELi1ELi1EEEJNS0_4CopyIbbEEEEEvT_T0_DpT1_,"axG",@progbits,_ZN2at6native12_GLOBAL__N_125multi_tensor_apply_kernelINS1_18TensorListMetadataILi2EEENS1_14UnaryOpFunctorIbLi2ELi1ELi1EEEJNS0_4CopyIbbEEEEEvT_T0_DpT1_,comdat
.Lfunc_end343:
	.size	_ZN2at6native12_GLOBAL__N_125multi_tensor_apply_kernelINS1_18TensorListMetadataILi2EEENS1_14UnaryOpFunctorIbLi2ELi1ELi1EEEJNS0_4CopyIbbEEEEEvT_T0_DpT1_, .Lfunc_end343-_ZN2at6native12_GLOBAL__N_125multi_tensor_apply_kernelINS1_18TensorListMetadataILi2EEENS1_14UnaryOpFunctorIbLi2ELi1ELi1EEEJNS0_4CopyIbbEEEEEvT_T0_DpT1_
                                        ; -- End function
	.section	.AMDGPU.csdata,"",@progbits
; Kernel info:
; codeLenInByte = 1224
; NumSgprs: 20
; NumVgprs: 29
; ScratchSize: 0
; MemoryBound: 0
; FloatMode: 240
; IeeeMode: 1
; LDSByteSize: 0 bytes/workgroup (compile time only)
; SGPRBlocks: 2
; VGPRBlocks: 3
; NumSGPRsForWavesPerEU: 20
; NumVGPRsForWavesPerEU: 29
; Occupancy: 16
; WaveLimiterHint : 0
; COMPUTE_PGM_RSRC2:SCRATCH_EN: 0
; COMPUTE_PGM_RSRC2:USER_SGPR: 15
; COMPUTE_PGM_RSRC2:TRAP_HANDLER: 0
; COMPUTE_PGM_RSRC2:TGID_X_EN: 1
; COMPUTE_PGM_RSRC2:TGID_Y_EN: 0
; COMPUTE_PGM_RSRC2:TGID_Z_EN: 0
; COMPUTE_PGM_RSRC2:TIDIG_COMP_CNT: 0
	.section	.text._ZN2at6native12_GLOBAL__N_125multi_tensor_apply_kernelINS1_18TensorListMetadataILi2EEENS1_11CopyFunctorIbN3c1013Float8_e4m3fnELi2ELi1ELi1EEEJNS0_4CopyIbS7_EEEEEvT_T0_DpT1_,"axG",@progbits,_ZN2at6native12_GLOBAL__N_125multi_tensor_apply_kernelINS1_18TensorListMetadataILi2EEENS1_11CopyFunctorIbN3c1013Float8_e4m3fnELi2ELi1ELi1EEEJNS0_4CopyIbS7_EEEEEvT_T0_DpT1_,comdat
	.globl	_ZN2at6native12_GLOBAL__N_125multi_tensor_apply_kernelINS1_18TensorListMetadataILi2EEENS1_11CopyFunctorIbN3c1013Float8_e4m3fnELi2ELi1ELi1EEEJNS0_4CopyIbS7_EEEEEvT_T0_DpT1_ ; -- Begin function _ZN2at6native12_GLOBAL__N_125multi_tensor_apply_kernelINS1_18TensorListMetadataILi2EEENS1_11CopyFunctorIbN3c1013Float8_e4m3fnELi2ELi1ELi1EEEJNS0_4CopyIbS7_EEEEEvT_T0_DpT1_
	.p2align	8
	.type	_ZN2at6native12_GLOBAL__N_125multi_tensor_apply_kernelINS1_18TensorListMetadataILi2EEENS1_11CopyFunctorIbN3c1013Float8_e4m3fnELi2ELi1ELi1EEEJNS0_4CopyIbS7_EEEEEvT_T0_DpT1_,@function
_ZN2at6native12_GLOBAL__N_125multi_tensor_apply_kernelINS1_18TensorListMetadataILi2EEENS1_11CopyFunctorIbN3c1013Float8_e4m3fnELi2ELi1ELi1EEEJNS0_4CopyIbS7_EEEEEvT_T0_DpT1_: ; @_ZN2at6native12_GLOBAL__N_125multi_tensor_apply_kernelINS1_18TensorListMetadataILi2EEENS1_11CopyFunctorIbN3c1013Float8_e4m3fnELi2ELi1ELi1EEEJNS0_4CopyIbS7_EEEEEvT_T0_DpT1_
; %bb.0:
	v_mov_b32_e32 v1, s15
	s_add_u32 s2, s0, s15
	s_mul_i32 s4, s15, 3
	s_addc_u32 s3, s1, 0
	s_mul_hi_u32 s5, s15, 3
	global_load_u8 v1, v1, s[0:1] offset:1536
	s_add_u32 s2, s2, s4
	s_addc_u32 s3, s3, s5
	s_load_b32 s2, s[2:3], 0x740
	s_waitcnt vmcnt(0)
	v_readfirstlane_b32 s4, v1
	s_delay_alu instid0(VALU_DEP_1)
	s_lshl_b32 s3, s4, 3
	s_clause 0x2
	s_load_b64 s[12:13], s[0:1], s3 offset:0x0
	s_load_b64 s[14:15], s[0:1], s3 offset:0x200
	;; [unrolled: 1-line block ×3, first 2 shown]
	s_waitcnt lgkmcnt(0)
	s_ashr_i32 s3, s2, 31
	s_delay_alu instid0(SALU_CYCLE_1) | instskip(NEXT) | instid1(SALU_CYCLE_1)
	s_lshl_b64 s[16:17], s[2:3], 16
	s_add_u32 s20, s12, s16
	s_addc_u32 s21, s13, s17
	s_add_u32 s18, s14, s16
	s_addc_u32 s19, s15, s17
	s_delay_alu instid0(SALU_CYCLE_1) | instskip(NEXT) | instid1(SALU_CYCLE_1)
	s_or_b64 s[2:3], s[4:5], s[18:19]
	s_or_b32 s2, s20, s2
	s_delay_alu instid0(SALU_CYCLE_1)
	s_and_b32 s2, s2, 3
	s_sub_u32 s10, s4, s16
	s_subb_u32 s11, s5, s17
	s_cmp_eq_u32 s2, 0
	s_mov_b32 s2, -1
	s_cbranch_scc0 .LBB344_5
; %bb.1:
	v_dual_mov_b32 v2, 0 :: v_dual_lshlrev_b32 v1, 2, v0
	s_mov_b32 s22, exec_lo
	s_delay_alu instid0(VALU_DEP_1)
	v_cmpx_gt_i64_e64 s[10:11], v[1:2]
	s_cbranch_execz .LBB344_4
; %bb.2:
	s_load_b32 s2, s[0:1], 0xc5c
	s_mov_b32 s24, 0
	s_waitcnt lgkmcnt(0)
	s_and_b32 s2, s2, 0xffff
	s_delay_alu instid0(SALU_CYCLE_1)
	s_lshl_b32 s23, s2, 2
.LBB344_3:                              ; =>This Inner Loop Header: Depth=1
	v_add_co_u32 v3, vcc_lo, s20, v1
	v_add_co_ci_u32_e32 v4, vcc_lo, s21, v2, vcc_lo
	global_load_b32 v5, v[3:4], off
	v_add_co_u32 v3, vcc_lo, s18, v1
	v_add_co_ci_u32_e32 v4, vcc_lo, s19, v2, vcc_lo
	v_add_co_u32 v1, vcc_lo, s23, v1
	v_add_co_ci_u32_e32 v2, vcc_lo, 0, v2, vcc_lo
	s_delay_alu instid0(VALU_DEP_1)
	v_cmp_le_i64_e32 vcc_lo, s[10:11], v[1:2]
	s_waitcnt vmcnt(0)
	v_lshlrev_b32_e32 v7, 16, v5
	v_lshlrev_b32_e32 v6, 24, v5
	;; [unrolled: 1-line block ×3, first 2 shown]
	v_and_b32_e32 v5, 0x7f000000, v5
	s_delay_alu instid0(VALU_DEP_4) | instskip(NEXT) | instid1(VALU_DEP_4)
	v_and_b32_e32 v7, 0x7f000000, v7
	v_and_b32_e32 v6, 0x7f000000, v6
	s_delay_alu instid0(VALU_DEP_4) | instskip(NEXT) | instid1(VALU_DEP_4)
	v_and_b32_e32 v8, 0x7f000000, v8
	v_clz_i32_u32_e32 v9, v5
	v_add_nc_u32_e32 v10, 0x1000000, v5
	v_clz_i32_u32_e32 v13, v7
	v_clz_i32_u32_e32 v11, v6
	;; [unrolled: 1-line block ×3, first 2 shown]
	v_min_u32_e32 v9, 32, v9
	v_cmp_ne_u32_e64 s2, 0, v5
	v_min_u32_e32 v13, 32, v13
	v_min_u32_e32 v11, 32, v11
	;; [unrolled: 1-line block ×3, first 2 shown]
	v_sub_nc_u32_e64 v9, v9, 4 clamp
	v_add_nc_u32_e32 v14, 0x1000000, v7
	v_sub_nc_u32_e64 v13, v13, 4 clamp
	v_sub_nc_u32_e64 v11, v11, 4 clamp
	v_cmp_ne_u32_e64 s4, 0, v7
	v_lshlrev_b32_e32 v5, v9, v5
	v_sub_nc_u32_e64 v15, v15, 4 clamp
	v_lshlrev_b32_e32 v7, v13, v7
	v_add_nc_u32_e32 v12, 0x1000000, v6
	v_cmp_ne_u32_e64 s3, 0, v6
	v_lshlrev_b32_e32 v9, 23, v9
	v_lshlrev_b32_e32 v6, v11, v6
	v_lshrrev_b32_e32 v5, 4, v5
	v_add_nc_u32_e32 v16, 0x1000000, v8
	v_cmp_ne_u32_e64 s5, 0, v8
	v_lshlrev_b32_e32 v13, 23, v13
	v_lshlrev_b32_e32 v8, v15, v8
	v_lshrrev_b32_e32 v7, 4, v7
	v_ashrrev_i32_e32 v10, 8, v10
	v_lshlrev_b32_e32 v11, 23, v11
	v_lshrrev_b32_e32 v6, 4, v6
	v_sub_nc_u32_e32 v5, v5, v9
	v_ashrrev_i32_e32 v14, 8, v14
	v_lshlrev_b32_e32 v15, 23, v15
	v_lshrrev_b32_e32 v8, 4, v8
	v_sub_nc_u32_e32 v7, v7, v13
	v_ashrrev_i32_e32 v12, 8, v12
	v_and_b32_e32 v10, 0x7f800000, v10
	v_sub_nc_u32_e32 v6, v6, v11
	v_add_nc_u32_e32 v5, 0x3c000000, v5
	v_ashrrev_i32_e32 v16, 8, v16
	v_and_b32_e32 v14, 0x7f800000, v14
	v_sub_nc_u32_e32 v8, v8, v15
	v_add_nc_u32_e32 v7, 0x3c000000, v7
	v_and_b32_e32 v12, 0x7f800000, v12
	v_add_nc_u32_e32 v6, 0x3c000000, v6
	v_and_or_b32 v5, 0x7ff00000, v5, v10
	v_and_b32_e32 v16, 0x7f800000, v16
	v_add_nc_u32_e32 v8, 0x3c000000, v8
	v_and_or_b32 v7, 0x7ff00000, v7, v14
	v_and_or_b32 v6, 0x7ff00000, v6, v12
	v_cmp_ne_u32_e64 s6, 0, v5
	s_delay_alu instid0(VALU_DEP_4) | instskip(NEXT) | instid1(VALU_DEP_4)
	v_and_or_b32 v8, 0x7ff00000, v8, v16
	v_cmp_ne_u32_e64 s7, 0, v7
	s_delay_alu instid0(VALU_DEP_4) | instskip(NEXT) | instid1(VALU_DEP_4)
	v_cmp_ne_u32_e64 s8, 0, v6
	s_and_b32 s2, s2, s6
	s_delay_alu instid0(VALU_DEP_3) | instskip(SKIP_2) | instid1(SALU_CYCLE_1)
	v_cmp_ne_u32_e64 s9, 0, v8
	v_cndmask_b32_e64 v5, 0, 1, s2
	s_and_b32 s2, s4, s7
	v_cndmask_b32_e64 v6, 0, 1, s2
	s_and_b32 s2, s3, s8
	s_delay_alu instid0(VALU_DEP_2)
	v_lshlrev_b16 v5, 8, v5
	v_cndmask_b32_e64 v7, 0, 1, s2
	s_and_b32 s2, s5, s9
	v_lshlrev_b16 v6, 8, v6
	v_cndmask_b32_e64 v8, 0, 1, s2
	v_cmp_lt_u64_e64 s2, 0xffff, v[1:2]
	s_delay_alu instid0(VALU_DEP_3) | instskip(NEXT) | instid1(VALU_DEP_3)
	v_or_b32_e32 v6, v7, v6
	v_or_b32_e32 v5, v8, v5
	s_delay_alu instid0(VALU_DEP_3) | instskip(NEXT) | instid1(VALU_DEP_2)
	s_or_b32 s2, vcc_lo, s2
	v_and_b32_e32 v6, 0xffff, v6
	s_delay_alu instid0(VALU_DEP_2) | instskip(SKIP_1) | instid1(SALU_CYCLE_1)
	v_lshlrev_b32_e32 v5, 16, v5
	s_and_b32 s2, exec_lo, s2
	s_or_b32 s24, s2, s24
	s_delay_alu instid0(VALU_DEP_1)
	v_or_b32_e32 v5, v6, v5
	global_store_b32 v[3:4], v5, off
	s_and_not1_b32 exec_lo, exec_lo, s24
	s_cbranch_execnz .LBB344_3
.LBB344_4:
	s_or_b32 exec_lo, exec_lo, s22
	s_mov_b32 s2, 0
.LBB344_5:
	s_delay_alu instid0(SALU_CYCLE_1)
	s_and_not1_b32 vcc_lo, exec_lo, s2
	s_cbranch_vccnz .LBB344_25
; %bb.6:
	v_cmp_lt_i64_e64 s2, s[10:11], 1
	s_delay_alu instid0(VALU_DEP_1)
	s_and_b32 vcc_lo, exec_lo, s2
	s_cbranch_vccnz .LBB344_25
; %bb.7:
	s_load_b32 s0, s[0:1], 0xc5c
	v_add_co_u32 v1, s1, s16, v0
	s_delay_alu instid0(VALU_DEP_1) | instskip(SKIP_1) | instid1(VALU_DEP_3)
	v_add_co_ci_u32_e64 v2, null, s17, 0, s1
	v_cmp_gt_u64_e64 s1, 0x10000, s[10:11]
	v_add_co_u32 v9, vcc_lo, s12, v1
	s_delay_alu instid0(VALU_DEP_3)
	v_add_co_ci_u32_e32 v10, vcc_lo, s13, v2, vcc_lo
	v_add_co_u32 v11, vcc_lo, s14, v1
	v_add_co_ci_u32_e32 v12, vcc_lo, s15, v2, vcc_lo
                                        ; implicit-def: $vgpr31
                                        ; implicit-def: $vgpr32
                                        ; implicit-def: $vgpr33
                                        ; implicit-def: $vgpr34
	s_waitcnt lgkmcnt(0)
	s_and_b32 s0, s0, 0xffff
	s_and_b32 s1, s1, exec_lo
	s_mul_i32 s5, s0, 3
	s_cselect_b32 s3, s11, 0
	s_cselect_b32 s2, s10, 0x10000
	s_lshl_b32 s4, s0, 1
	s_lshl_b32 s1, s0, 2
	s_add_u32 s6, s16, s5
	s_addc_u32 s7, s17, 0
	v_add_co_u32 v3, s6, s6, v0
	s_delay_alu instid0(VALU_DEP_1) | instskip(SKIP_1) | instid1(VALU_DEP_2)
	v_add_co_ci_u32_e64 v4, null, s7, 0, s6
	s_add_u32 s6, s16, s4
	v_add_co_u32 v13, vcc_lo, s12, v3
	s_delay_alu instid0(VALU_DEP_2)
	v_add_co_ci_u32_e32 v14, vcc_lo, s13, v4, vcc_lo
	v_add_co_u32 v15, vcc_lo, s14, v3
	s_addc_u32 s7, s17, 0
	v_add_co_u32 v3, s6, s6, v0
	v_add_co_ci_u32_e32 v16, vcc_lo, s15, v4, vcc_lo
	v_add_co_ci_u32_e64 v4, null, s7, 0, s6
	s_delay_alu instid0(VALU_DEP_3) | instskip(SKIP_1) | instid1(VALU_DEP_3)
	v_add_co_u32 v19, vcc_lo, s12, v3
	v_add_co_u32 v17, s5, s5, v0
	v_add_co_ci_u32_e32 v20, vcc_lo, s13, v4, vcc_lo
	v_add_co_u32 v21, vcc_lo, s14, v3
	v_add_co_ci_u32_e32 v22, vcc_lo, s15, v4, vcc_lo
	v_add_co_u32 v1, vcc_lo, v1, s0
	v_add_co_ci_u32_e32 v2, vcc_lo, 0, v2, vcc_lo
	v_add_co_u32 v23, s4, s4, v0
	s_delay_alu instid0(VALU_DEP_3) | instskip(NEXT) | instid1(VALU_DEP_3)
	v_add_co_u32 v25, vcc_lo, s12, v1
	v_add_co_ci_u32_e32 v26, vcc_lo, s13, v2, vcc_lo
	v_add_co_u32 v27, vcc_lo, s14, v1
	v_add_co_u32 v29, s0, v0, s0
	v_add_co_ci_u32_e64 v18, null, 0, 0, s5
	v_add_co_ci_u32_e64 v24, null, 0, 0, s4
	v_add_co_ci_u32_e32 v28, vcc_lo, s15, v2, vcc_lo
	v_add_co_ci_u32_e64 v30, null, 0, 0, s0
	s_mov_b64 s[4:5], 0
	s_branch .LBB344_9
.LBB344_8:                              ;   in Loop: Header=BB344_9 Depth=1
	s_or_b32 exec_lo, exec_lo, s6
	s_add_u32 s4, s4, s1
	s_addc_u32 s5, s5, 0
	s_delay_alu instid0(SALU_CYCLE_1) | instskip(SKIP_1) | instid1(VALU_DEP_1)
	v_cmp_ge_i64_e64 s0, s[4:5], s[10:11]
	v_cmp_lt_u64_e64 s6, 0xffff, s[4:5]
	s_or_b32 s0, s0, s6
	s_delay_alu instid0(SALU_CYCLE_1)
	s_and_b32 vcc_lo, exec_lo, s0
	s_cbranch_vccnz .LBB344_25
.LBB344_9:                              ; =>This Inner Loop Header: Depth=1
	v_add_co_u32 v7, s0, v0, s4
	s_delay_alu instid0(VALU_DEP_1) | instskip(NEXT) | instid1(VALU_DEP_1)
	v_add_co_ci_u32_e64 v8, null, 0, s5, s0
	v_cmp_gt_i64_e32 vcc_lo, s[10:11], v[7:8]
	v_cmp_gt_u64_e64 s0, 0x10000, v[7:8]
	s_delay_alu instid0(VALU_DEP_1) | instskip(NEXT) | instid1(SALU_CYCLE_1)
	s_and_b32 s6, vcc_lo, s0
	s_and_saveexec_b32 s0, s6
	s_cbranch_execz .LBB344_11
; %bb.10:                               ;   in Loop: Header=BB344_9 Depth=1
	v_add_co_u32 v1, vcc_lo, v9, s4
	v_add_co_ci_u32_e32 v2, vcc_lo, s5, v10, vcc_lo
	global_load_u8 v34, v[1:2], off
.LBB344_11:                             ;   in Loop: Header=BB344_9 Depth=1
	s_or_b32 exec_lo, exec_lo, s0
	v_add_co_u32 v5, vcc_lo, v29, s4
	v_add_co_ci_u32_e32 v6, vcc_lo, s5, v30, vcc_lo
	s_delay_alu instid0(VALU_DEP_1) | instskip(SKIP_1) | instid1(VALU_DEP_1)
	v_cmp_gt_i64_e32 vcc_lo, s[10:11], v[5:6]
	v_cmp_gt_u64_e64 s0, 0x10000, v[5:6]
	s_and_b32 s6, vcc_lo, s0
	s_delay_alu instid0(SALU_CYCLE_1)
	s_and_saveexec_b32 s0, s6
	s_cbranch_execz .LBB344_13
; %bb.12:                               ;   in Loop: Header=BB344_9 Depth=1
	v_add_co_u32 v1, vcc_lo, v25, s4
	v_add_co_ci_u32_e32 v2, vcc_lo, s5, v26, vcc_lo
	global_load_u8 v33, v[1:2], off
.LBB344_13:                             ;   in Loop: Header=BB344_9 Depth=1
	s_or_b32 exec_lo, exec_lo, s0
	v_add_co_u32 v3, vcc_lo, v23, s4
	v_add_co_ci_u32_e32 v4, vcc_lo, s5, v24, vcc_lo
	s_delay_alu instid0(VALU_DEP_1) | instskip(SKIP_1) | instid1(VALU_DEP_1)
	v_cmp_gt_i64_e32 vcc_lo, s[10:11], v[3:4]
	v_cmp_gt_u64_e64 s0, 0x10000, v[3:4]
	s_and_b32 s6, vcc_lo, s0
	s_delay_alu instid0(SALU_CYCLE_1)
	;; [unrolled: 15-line block ×3, first 2 shown]
	s_and_saveexec_b32 s0, s6
	s_cbranch_execnz .LBB344_20
; %bb.16:                               ;   in Loop: Header=BB344_9 Depth=1
	s_or_b32 exec_lo, exec_lo, s0
	s_delay_alu instid0(SALU_CYCLE_1)
	s_mov_b32 s6, exec_lo
	v_cmpx_gt_u64_e64 s[2:3], v[7:8]
	s_cbranch_execnz .LBB344_21
.LBB344_17:                             ;   in Loop: Header=BB344_9 Depth=1
	s_or_b32 exec_lo, exec_lo, s6
	s_delay_alu instid0(SALU_CYCLE_1)
	s_mov_b32 s6, exec_lo
	v_cmpx_gt_u64_e64 s[2:3], v[5:6]
	s_cbranch_execnz .LBB344_22
.LBB344_18:                             ;   in Loop: Header=BB344_9 Depth=1
	s_or_b32 exec_lo, exec_lo, s6
	s_delay_alu instid0(SALU_CYCLE_1)
	s_mov_b32 s6, exec_lo
	v_cmpx_gt_u64_e64 s[2:3], v[3:4]
	s_cbranch_execnz .LBB344_23
.LBB344_19:                             ;   in Loop: Header=BB344_9 Depth=1
	s_or_b32 exec_lo, exec_lo, s6
	s_delay_alu instid0(SALU_CYCLE_1)
	s_mov_b32 s6, exec_lo
	v_cmpx_gt_u64_e64 s[2:3], v[1:2]
	s_cbranch_execz .LBB344_8
	s_branch .LBB344_24
.LBB344_20:                             ;   in Loop: Header=BB344_9 Depth=1
	v_add_co_u32 v35, vcc_lo, v13, s4
	v_add_co_ci_u32_e32 v36, vcc_lo, s5, v14, vcc_lo
	global_load_u8 v31, v[35:36], off
	s_or_b32 exec_lo, exec_lo, s0
	s_delay_alu instid0(SALU_CYCLE_1)
	s_mov_b32 s6, exec_lo
	v_cmpx_gt_u64_e64 s[2:3], v[7:8]
	s_cbranch_execz .LBB344_17
.LBB344_21:                             ;   in Loop: Header=BB344_9 Depth=1
	s_waitcnt vmcnt(0)
	v_lshlrev_b32_e32 v7, 24, v34
	s_delay_alu instid0(VALU_DEP_1) | instskip(NEXT) | instid1(VALU_DEP_1)
	v_and_b32_e32 v7, 0x7f000000, v7
	v_clz_i32_u32_e32 v8, v7
	v_add_nc_u32_e32 v36, 0x1000000, v7
	v_cmp_ne_u32_e32 vcc_lo, 0, v7
	s_delay_alu instid0(VALU_DEP_3) | instskip(NEXT) | instid1(VALU_DEP_3)
	v_min_u32_e32 v8, 32, v8
	v_ashrrev_i32_e32 v36, 8, v36
	s_delay_alu instid0(VALU_DEP_2) | instskip(NEXT) | instid1(VALU_DEP_1)
	v_sub_nc_u32_e64 v8, v8, 4 clamp
	v_lshlrev_b32_e32 v35, v8, v7
	v_lshlrev_b32_e32 v8, 23, v8
	s_delay_alu instid0(VALU_DEP_2) | instskip(NEXT) | instid1(VALU_DEP_1)
	v_lshrrev_b32_e32 v35, 4, v35
	v_sub_nc_u32_e32 v8, v35, v8
	v_and_b32_e32 v35, 0x7f800000, v36
	s_delay_alu instid0(VALU_DEP_2) | instskip(NEXT) | instid1(VALU_DEP_1)
	v_add_nc_u32_e32 v8, 0x3c000000, v8
	v_and_or_b32 v8, 0x7ff00000, v8, v35
	s_delay_alu instid0(VALU_DEP_1) | instskip(NEXT) | instid1(VALU_DEP_1)
	v_cmp_ne_u32_e64 s0, 0, v8
	s_and_b32 s0, vcc_lo, s0
	v_add_co_u32 v7, vcc_lo, v11, s4
	v_cndmask_b32_e64 v35, 0, 1, s0
	v_add_co_ci_u32_e32 v8, vcc_lo, s5, v12, vcc_lo
	global_store_b8 v[7:8], v35, off
	s_or_b32 exec_lo, exec_lo, s6
	s_delay_alu instid0(SALU_CYCLE_1)
	s_mov_b32 s6, exec_lo
	v_cmpx_gt_u64_e64 s[2:3], v[5:6]
	s_cbranch_execz .LBB344_18
.LBB344_22:                             ;   in Loop: Header=BB344_9 Depth=1
	s_waitcnt vmcnt(0)
	v_lshlrev_b32_e32 v5, 24, v33
	s_delay_alu instid0(VALU_DEP_1) | instskip(NEXT) | instid1(VALU_DEP_1)
	v_and_b32_e32 v5, 0x7f000000, v5
	v_clz_i32_u32_e32 v6, v5
	v_add_nc_u32_e32 v8, 0x1000000, v5
	v_cmp_ne_u32_e32 vcc_lo, 0, v5
	s_delay_alu instid0(VALU_DEP_3) | instskip(NEXT) | instid1(VALU_DEP_3)
	v_min_u32_e32 v6, 32, v6
	v_ashrrev_i32_e32 v8, 8, v8
	s_delay_alu instid0(VALU_DEP_2) | instskip(NEXT) | instid1(VALU_DEP_1)
	v_sub_nc_u32_e64 v6, v6, 4 clamp
	v_lshlrev_b32_e32 v7, v6, v5
	v_lshlrev_b32_e32 v6, 23, v6
	s_delay_alu instid0(VALU_DEP_2) | instskip(NEXT) | instid1(VALU_DEP_1)
	v_lshrrev_b32_e32 v7, 4, v7
	v_sub_nc_u32_e32 v6, v7, v6
	v_and_b32_e32 v7, 0x7f800000, v8
	s_delay_alu instid0(VALU_DEP_2) | instskip(NEXT) | instid1(VALU_DEP_1)
	v_add_nc_u32_e32 v6, 0x3c000000, v6
	v_and_or_b32 v6, 0x7ff00000, v6, v7
	s_delay_alu instid0(VALU_DEP_1) | instskip(NEXT) | instid1(VALU_DEP_1)
	v_cmp_ne_u32_e64 s0, 0, v6
	s_and_b32 s0, vcc_lo, s0
	v_add_co_u32 v5, vcc_lo, v27, s4
	v_cndmask_b32_e64 v7, 0, 1, s0
	v_add_co_ci_u32_e32 v6, vcc_lo, s5, v28, vcc_lo
	global_store_b8 v[5:6], v7, off
	s_or_b32 exec_lo, exec_lo, s6
	s_delay_alu instid0(SALU_CYCLE_1)
	s_mov_b32 s6, exec_lo
	v_cmpx_gt_u64_e64 s[2:3], v[3:4]
	s_cbranch_execz .LBB344_19
.LBB344_23:                             ;   in Loop: Header=BB344_9 Depth=1
	s_waitcnt vmcnt(0)
	v_lshlrev_b32_e32 v3, 24, v32
	s_delay_alu instid0(VALU_DEP_1) | instskip(NEXT) | instid1(VALU_DEP_1)
	v_and_b32_e32 v3, 0x7f000000, v3
	v_clz_i32_u32_e32 v4, v3
	v_add_nc_u32_e32 v6, 0x1000000, v3
	v_cmp_ne_u32_e32 vcc_lo, 0, v3
	s_delay_alu instid0(VALU_DEP_3) | instskip(NEXT) | instid1(VALU_DEP_3)
	v_min_u32_e32 v4, 32, v4
	v_ashrrev_i32_e32 v6, 8, v6
	s_delay_alu instid0(VALU_DEP_2) | instskip(NEXT) | instid1(VALU_DEP_1)
	v_sub_nc_u32_e64 v4, v4, 4 clamp
	v_lshlrev_b32_e32 v5, v4, v3
	v_lshlrev_b32_e32 v4, 23, v4
	s_delay_alu instid0(VALU_DEP_2) | instskip(NEXT) | instid1(VALU_DEP_1)
	v_lshrrev_b32_e32 v5, 4, v5
	v_sub_nc_u32_e32 v4, v5, v4
	v_and_b32_e32 v5, 0x7f800000, v6
	s_delay_alu instid0(VALU_DEP_2) | instskip(NEXT) | instid1(VALU_DEP_1)
	v_add_nc_u32_e32 v4, 0x3c000000, v4
	v_and_or_b32 v4, 0x7ff00000, v4, v5
	s_delay_alu instid0(VALU_DEP_1) | instskip(NEXT) | instid1(VALU_DEP_1)
	v_cmp_ne_u32_e64 s0, 0, v4
	s_and_b32 s0, vcc_lo, s0
	v_add_co_u32 v3, vcc_lo, v21, s4
	v_cndmask_b32_e64 v5, 0, 1, s0
	v_add_co_ci_u32_e32 v4, vcc_lo, s5, v22, vcc_lo
	global_store_b8 v[3:4], v5, off
	s_or_b32 exec_lo, exec_lo, s6
	s_delay_alu instid0(SALU_CYCLE_1)
	s_mov_b32 s6, exec_lo
	v_cmpx_gt_u64_e64 s[2:3], v[1:2]
	s_cbranch_execz .LBB344_8
.LBB344_24:                             ;   in Loop: Header=BB344_9 Depth=1
	s_waitcnt vmcnt(0)
	v_lshlrev_b32_e32 v1, 24, v31
	s_delay_alu instid0(VALU_DEP_1) | instskip(NEXT) | instid1(VALU_DEP_1)
	v_and_b32_e32 v1, 0x7f000000, v1
	v_clz_i32_u32_e32 v2, v1
	v_add_nc_u32_e32 v4, 0x1000000, v1
	v_cmp_ne_u32_e32 vcc_lo, 0, v1
	s_delay_alu instid0(VALU_DEP_3) | instskip(NEXT) | instid1(VALU_DEP_3)
	v_min_u32_e32 v2, 32, v2
	v_ashrrev_i32_e32 v4, 8, v4
	s_delay_alu instid0(VALU_DEP_2) | instskip(NEXT) | instid1(VALU_DEP_1)
	v_sub_nc_u32_e64 v2, v2, 4 clamp
	v_lshlrev_b32_e32 v3, v2, v1
	v_lshlrev_b32_e32 v2, 23, v2
	s_delay_alu instid0(VALU_DEP_2) | instskip(NEXT) | instid1(VALU_DEP_1)
	v_lshrrev_b32_e32 v3, 4, v3
	v_sub_nc_u32_e32 v2, v3, v2
	v_and_b32_e32 v3, 0x7f800000, v4
	s_delay_alu instid0(VALU_DEP_2) | instskip(NEXT) | instid1(VALU_DEP_1)
	v_add_nc_u32_e32 v2, 0x3c000000, v2
	v_and_or_b32 v2, 0x7ff00000, v2, v3
	s_delay_alu instid0(VALU_DEP_1) | instskip(NEXT) | instid1(VALU_DEP_1)
	v_cmp_ne_u32_e64 s0, 0, v2
	s_and_b32 s0, vcc_lo, s0
	v_add_co_u32 v1, vcc_lo, v15, s4
	v_cndmask_b32_e64 v3, 0, 1, s0
	v_add_co_ci_u32_e32 v2, vcc_lo, s5, v16, vcc_lo
	global_store_b8 v[1:2], v3, off
	s_branch .LBB344_8
.LBB344_25:
	s_nop 0
	s_sendmsg sendmsg(MSG_DEALLOC_VGPRS)
	s_endpgm
	.section	.rodata,"a",@progbits
	.p2align	6, 0x0
	.amdhsa_kernel _ZN2at6native12_GLOBAL__N_125multi_tensor_apply_kernelINS1_18TensorListMetadataILi2EEENS1_11CopyFunctorIbN3c1013Float8_e4m3fnELi2ELi1ELi1EEEJNS0_4CopyIbS7_EEEEEvT_T0_DpT1_
		.amdhsa_group_segment_fixed_size 0
		.amdhsa_private_segment_fixed_size 0
		.amdhsa_kernarg_size 3408
		.amdhsa_user_sgpr_count 15
		.amdhsa_user_sgpr_dispatch_ptr 0
		.amdhsa_user_sgpr_queue_ptr 0
		.amdhsa_user_sgpr_kernarg_segment_ptr 1
		.amdhsa_user_sgpr_dispatch_id 0
		.amdhsa_user_sgpr_private_segment_size 0
		.amdhsa_wavefront_size32 1
		.amdhsa_uses_dynamic_stack 0
		.amdhsa_enable_private_segment 0
		.amdhsa_system_sgpr_workgroup_id_x 1
		.amdhsa_system_sgpr_workgroup_id_y 0
		.amdhsa_system_sgpr_workgroup_id_z 0
		.amdhsa_system_sgpr_workgroup_info 0
		.amdhsa_system_vgpr_workitem_id 0
		.amdhsa_next_free_vgpr 37
		.amdhsa_next_free_sgpr 25
		.amdhsa_reserve_vcc 1
		.amdhsa_float_round_mode_32 0
		.amdhsa_float_round_mode_16_64 0
		.amdhsa_float_denorm_mode_32 3
		.amdhsa_float_denorm_mode_16_64 3
		.amdhsa_dx10_clamp 1
		.amdhsa_ieee_mode 1
		.amdhsa_fp16_overflow 0
		.amdhsa_workgroup_processor_mode 1
		.amdhsa_memory_ordered 1
		.amdhsa_forward_progress 0
		.amdhsa_shared_vgpr_count 0
		.amdhsa_exception_fp_ieee_invalid_op 0
		.amdhsa_exception_fp_denorm_src 0
		.amdhsa_exception_fp_ieee_div_zero 0
		.amdhsa_exception_fp_ieee_overflow 0
		.amdhsa_exception_fp_ieee_underflow 0
		.amdhsa_exception_fp_ieee_inexact 0
		.amdhsa_exception_int_div_zero 0
	.end_amdhsa_kernel
	.section	.text._ZN2at6native12_GLOBAL__N_125multi_tensor_apply_kernelINS1_18TensorListMetadataILi2EEENS1_11CopyFunctorIbN3c1013Float8_e4m3fnELi2ELi1ELi1EEEJNS0_4CopyIbS7_EEEEEvT_T0_DpT1_,"axG",@progbits,_ZN2at6native12_GLOBAL__N_125multi_tensor_apply_kernelINS1_18TensorListMetadataILi2EEENS1_11CopyFunctorIbN3c1013Float8_e4m3fnELi2ELi1ELi1EEEJNS0_4CopyIbS7_EEEEEvT_T0_DpT1_,comdat
.Lfunc_end344:
	.size	_ZN2at6native12_GLOBAL__N_125multi_tensor_apply_kernelINS1_18TensorListMetadataILi2EEENS1_11CopyFunctorIbN3c1013Float8_e4m3fnELi2ELi1ELi1EEEJNS0_4CopyIbS7_EEEEEvT_T0_DpT1_, .Lfunc_end344-_ZN2at6native12_GLOBAL__N_125multi_tensor_apply_kernelINS1_18TensorListMetadataILi2EEENS1_11CopyFunctorIbN3c1013Float8_e4m3fnELi2ELi1ELi1EEEJNS0_4CopyIbS7_EEEEEvT_T0_DpT1_
                                        ; -- End function
	.section	.AMDGPU.csdata,"",@progbits
; Kernel info:
; codeLenInByte = 2368
; NumSgprs: 27
; NumVgprs: 37
; ScratchSize: 0
; MemoryBound: 0
; FloatMode: 240
; IeeeMode: 1
; LDSByteSize: 0 bytes/workgroup (compile time only)
; SGPRBlocks: 3
; VGPRBlocks: 4
; NumSGPRsForWavesPerEU: 27
; NumVGPRsForWavesPerEU: 37
; Occupancy: 16
; WaveLimiterHint : 0
; COMPUTE_PGM_RSRC2:SCRATCH_EN: 0
; COMPUTE_PGM_RSRC2:USER_SGPR: 15
; COMPUTE_PGM_RSRC2:TRAP_HANDLER: 0
; COMPUTE_PGM_RSRC2:TGID_X_EN: 1
; COMPUTE_PGM_RSRC2:TGID_Y_EN: 0
; COMPUTE_PGM_RSRC2:TGID_Z_EN: 0
; COMPUTE_PGM_RSRC2:TIDIG_COMP_CNT: 0
	.section	.text._ZN2at6native12_GLOBAL__N_125multi_tensor_apply_kernelINS1_18TensorListMetadataILi2EEENS1_11CopyFunctorIbN3c1015Float8_e4m3fnuzELi2ELi1ELi1EEEJNS0_4CopyIbS7_EEEEEvT_T0_DpT1_,"axG",@progbits,_ZN2at6native12_GLOBAL__N_125multi_tensor_apply_kernelINS1_18TensorListMetadataILi2EEENS1_11CopyFunctorIbN3c1015Float8_e4m3fnuzELi2ELi1ELi1EEEJNS0_4CopyIbS7_EEEEEvT_T0_DpT1_,comdat
	.globl	_ZN2at6native12_GLOBAL__N_125multi_tensor_apply_kernelINS1_18TensorListMetadataILi2EEENS1_11CopyFunctorIbN3c1015Float8_e4m3fnuzELi2ELi1ELi1EEEJNS0_4CopyIbS7_EEEEEvT_T0_DpT1_ ; -- Begin function _ZN2at6native12_GLOBAL__N_125multi_tensor_apply_kernelINS1_18TensorListMetadataILi2EEENS1_11CopyFunctorIbN3c1015Float8_e4m3fnuzELi2ELi1ELi1EEEJNS0_4CopyIbS7_EEEEEvT_T0_DpT1_
	.p2align	8
	.type	_ZN2at6native12_GLOBAL__N_125multi_tensor_apply_kernelINS1_18TensorListMetadataILi2EEENS1_11CopyFunctorIbN3c1015Float8_e4m3fnuzELi2ELi1ELi1EEEJNS0_4CopyIbS7_EEEEEvT_T0_DpT1_,@function
_ZN2at6native12_GLOBAL__N_125multi_tensor_apply_kernelINS1_18TensorListMetadataILi2EEENS1_11CopyFunctorIbN3c1015Float8_e4m3fnuzELi2ELi1ELi1EEEJNS0_4CopyIbS7_EEEEEvT_T0_DpT1_: ; @_ZN2at6native12_GLOBAL__N_125multi_tensor_apply_kernelINS1_18TensorListMetadataILi2EEENS1_11CopyFunctorIbN3c1015Float8_e4m3fnuzELi2ELi1ELi1EEEJNS0_4CopyIbS7_EEEEEvT_T0_DpT1_
; %bb.0:
	v_mov_b32_e32 v1, s15
	s_add_u32 s2, s0, s15
	s_mul_i32 s4, s15, 3
	s_addc_u32 s3, s1, 0
	s_mul_hi_u32 s5, s15, 3
	global_load_u8 v1, v1, s[0:1] offset:1536
	s_add_u32 s2, s2, s4
	s_addc_u32 s3, s3, s5
	s_load_b32 s2, s[2:3], 0x740
	s_waitcnt vmcnt(0)
	v_readfirstlane_b32 s4, v1
	s_delay_alu instid0(VALU_DEP_1)
	s_lshl_b32 s3, s4, 3
	s_clause 0x2
	s_load_b64 s[6:7], s[0:1], s3 offset:0x0
	s_load_b64 s[8:9], s[0:1], s3 offset:0x200
	;; [unrolled: 1-line block ×3, first 2 shown]
	s_waitcnt lgkmcnt(0)
	s_ashr_i32 s3, s2, 31
	s_delay_alu instid0(SALU_CYCLE_1) | instskip(NEXT) | instid1(SALU_CYCLE_1)
	s_lshl_b64 s[10:11], s[2:3], 16
	s_add_u32 s3, s6, s10
	s_addc_u32 s14, s7, s11
	s_add_u32 s12, s8, s10
	s_addc_u32 s13, s9, s11
	s_delay_alu instid0(SALU_CYCLE_1) | instskip(NEXT) | instid1(SALU_CYCLE_1)
	s_or_b64 s[16:17], s[4:5], s[12:13]
	s_or_b32 s2, s3, s16
	s_delay_alu instid0(SALU_CYCLE_1)
	s_and_b32 s2, s2, 3
	s_sub_u32 s4, s4, s10
	s_subb_u32 s5, s5, s11
	s_cmp_eq_u32 s2, 0
	s_mov_b32 s2, -1
	s_cbranch_scc0 .LBB345_37
; %bb.1:
	v_dual_mov_b32 v2, 0 :: v_dual_lshlrev_b32 v1, 2, v0
	s_mov_b32 s15, exec_lo
	s_delay_alu instid0(VALU_DEP_1)
	v_cmpx_gt_i64_e64 s[4:5], v[1:2]
	s_cbranch_execz .LBB345_36
; %bb.2:
	s_load_b32 s2, s[0:1], 0xc5c
	s_mov_b32 s17, 0
	s_waitcnt lgkmcnt(0)
	s_and_b32 s2, s2, 0xffff
	s_delay_alu instid0(SALU_CYCLE_1)
	s_lshl_b32 s16, s2, 2
	s_branch .LBB345_4
.LBB345_3:                              ;   in Loop: Header=BB345_4 Depth=1
	s_or_b32 exec_lo, exec_lo, s22
	v_cndmask_b32_e64 v3, 0, 1, s18
	v_cndmask_b32_e64 v4, 0, 1, s20
	;; [unrolled: 1-line block ×4, first 2 shown]
	s_delay_alu instid0(VALU_DEP_4)
	v_lshlrev_b16 v7, 8, v3
	v_add_co_u32 v3, vcc_lo, s12, v1
	v_lshlrev_b16 v8, 8, v4
	v_add_co_ci_u32_e32 v4, vcc_lo, s13, v2, vcc_lo
	v_add_co_u32 v1, vcc_lo, s16, v1
	v_add_co_ci_u32_e32 v2, vcc_lo, 0, v2, vcc_lo
	v_or_b32_e32 v5, v5, v7
	v_or_b32_e32 v6, v6, v8
	s_delay_alu instid0(VALU_DEP_3) | instskip(SKIP_1) | instid1(VALU_DEP_4)
	v_cmp_le_i64_e32 vcc_lo, s[4:5], v[1:2]
	v_cmp_lt_u64_e64 s2, 0xffff, v[1:2]
	v_and_b32_e32 v5, 0xffff, v5
	s_delay_alu instid0(VALU_DEP_4) | instskip(NEXT) | instid1(VALU_DEP_3)
	v_lshlrev_b32_e32 v6, 16, v6
	s_or_b32 s2, vcc_lo, s2
	s_delay_alu instid0(VALU_DEP_1) | instskip(SKIP_1) | instid1(SALU_CYCLE_1)
	v_or_b32_e32 v5, v5, v6
	s_and_b32 s2, exec_lo, s2
	s_or_b32 s17, s2, s17
	global_store_b32 v[3:4], v5, off
	s_and_not1_b32 exec_lo, exec_lo, s17
	s_cbranch_execz .LBB345_36
.LBB345_4:                              ; =>This Inner Loop Header: Depth=1
	v_add_co_u32 v3, vcc_lo, s3, v1
	v_add_co_ci_u32_e32 v4, vcc_lo, s14, v2, vcc_lo
	s_mov_b32 s18, 0
	s_mov_b32 s19, exec_lo
                                        ; implicit-def: $sgpr2
	global_load_b32 v3, v[3:4], off
	s_waitcnt vmcnt(0)
	v_and_b32_e32 v4, 0xff, v3
	s_delay_alu instid0(VALU_DEP_1)
	v_cmpx_lt_i16_e32 0x7f, v4
	s_xor_b32 s19, exec_lo, s19
	s_cbranch_execnz .LBB345_19
; %bb.5:                                ;   in Loop: Header=BB345_4 Depth=1
	s_and_not1_saveexec_b32 s19, s19
	s_cbranch_execnz .LBB345_22
.LBB345_6:                              ;   in Loop: Header=BB345_4 Depth=1
	s_or_b32 exec_lo, exec_lo, s19
	s_and_saveexec_b32 s19, s18
	s_cbranch_execz .LBB345_8
.LBB345_7:                              ;   in Loop: Header=BB345_4 Depth=1
	v_bfe_u32 v7, v3, 3, 4
	s_and_not1_b32 s2, s2, exec_lo
	s_delay_alu instid0(VALU_DEP_1) | instskip(SKIP_1) | instid1(VALU_DEP_1)
	v_cmp_eq_u32_e32 vcc_lo, 0, v7
	v_and_b32_e32 v4, 7, v3
	v_clz_i32_u32_e32 v5, v4
	s_delay_alu instid0(VALU_DEP_1) | instskip(NEXT) | instid1(VALU_DEP_1)
	v_min_u32_e32 v5, 32, v5
	v_subrev_nc_u32_e32 v6, 28, v5
	v_sub_nc_u32_e32 v5, 29, v5
	s_delay_alu instid0(VALU_DEP_1) | instskip(NEXT) | instid1(VALU_DEP_1)
	v_dual_cndmask_b32 v5, v7, v5 :: v_dual_lshlrev_b32 v6, v6, v3
	v_and_b32_e32 v6, 7, v6
	s_delay_alu instid0(VALU_DEP_2) | instskip(NEXT) | instid1(VALU_DEP_2)
	v_lshl_add_u32 v5, v5, 23, 0x3b800000
	v_cndmask_b32_e32 v4, v4, v6, vcc_lo
	s_delay_alu instid0(VALU_DEP_1) | instskip(NEXT) | instid1(VALU_DEP_1)
	v_lshlrev_b32_e32 v4, 20, v4
	v_and_or_b32 v4, 0x7f800000, v5, v4
	s_delay_alu instid0(VALU_DEP_1) | instskip(SKIP_1) | instid1(SALU_CYCLE_1)
	v_cmp_ne_u32_e32 vcc_lo, 0, v4
	s_and_b32 s18, vcc_lo, exec_lo
	s_or_b32 s2, s2, s18
.LBB345_8:                              ;   in Loop: Header=BB345_4 Depth=1
	s_or_b32 exec_lo, exec_lo, s19
	v_lshrrev_b32_e32 v4, 8, v3
	s_mov_b32 s19, 0
	s_mov_b32 s20, exec_lo
                                        ; implicit-def: $sgpr18
	s_delay_alu instid0(VALU_DEP_1) | instskip(NEXT) | instid1(VALU_DEP_1)
	v_and_b32_e32 v5, 0xff, v4
	v_cmpx_lt_i16_e32 0x7f, v5
	s_xor_b32 s20, exec_lo, s20
	s_cbranch_execnz .LBB345_23
; %bb.9:                                ;   in Loop: Header=BB345_4 Depth=1
	s_and_not1_saveexec_b32 s20, s20
	s_cbranch_execnz .LBB345_26
.LBB345_10:                             ;   in Loop: Header=BB345_4 Depth=1
	s_or_b32 exec_lo, exec_lo, s20
	s_and_saveexec_b32 s20, s19
	s_cbranch_execz .LBB345_12
.LBB345_11:                             ;   in Loop: Header=BB345_4 Depth=1
	v_bfe_u32 v5, v3, 8, 3
	s_and_not1_b32 s18, s18, exec_lo
	s_delay_alu instid0(VALU_DEP_1) | instskip(NEXT) | instid1(VALU_DEP_1)
	v_clz_i32_u32_e32 v6, v5
	v_min_u32_e32 v6, 32, v6
	s_delay_alu instid0(VALU_DEP_1) | instskip(SKIP_1) | instid1(VALU_DEP_2)
	v_subrev_nc_u32_e32 v7, 28, v6
	v_sub_nc_u32_e32 v6, 29, v6
	v_lshlrev_b32_e32 v4, v7, v4
	v_bfe_u32 v7, v3, 11, 4
	s_delay_alu instid0(VALU_DEP_2) | instskip(NEXT) | instid1(VALU_DEP_2)
	v_and_b32_e32 v4, 7, v4
	v_cmp_eq_u32_e32 vcc_lo, 0, v7
	v_cndmask_b32_e32 v6, v7, v6, vcc_lo
	s_delay_alu instid0(VALU_DEP_3) | instskip(NEXT) | instid1(VALU_DEP_2)
	v_cndmask_b32_e32 v4, v5, v4, vcc_lo
	v_lshl_add_u32 v5, v6, 23, 0x3b800000
	s_delay_alu instid0(VALU_DEP_2) | instskip(NEXT) | instid1(VALU_DEP_1)
	v_lshlrev_b32_e32 v4, 20, v4
	v_and_or_b32 v4, 0x7f800000, v5, v4
	s_delay_alu instid0(VALU_DEP_1) | instskip(SKIP_1) | instid1(SALU_CYCLE_1)
	v_cmp_ne_u32_e32 vcc_lo, 0, v4
	s_and_b32 s19, vcc_lo, exec_lo
	s_or_b32 s18, s18, s19
.LBB345_12:                             ;   in Loop: Header=BB345_4 Depth=1
	s_or_b32 exec_lo, exec_lo, s20
	v_lshrrev_b32_e32 v4, 16, v3
	s_mov_b32 s20, 0
	s_mov_b32 s21, exec_lo
                                        ; implicit-def: $sgpr19
	s_delay_alu instid0(VALU_DEP_1) | instskip(NEXT) | instid1(VALU_DEP_1)
	v_and_b32_e32 v5, 0xff, v4
	v_cmpx_lt_i16_e32 0x7f, v5
	s_xor_b32 s21, exec_lo, s21
	s_cbranch_execnz .LBB345_27
; %bb.13:                               ;   in Loop: Header=BB345_4 Depth=1
	s_and_not1_saveexec_b32 s21, s21
	s_cbranch_execnz .LBB345_30
.LBB345_14:                             ;   in Loop: Header=BB345_4 Depth=1
	s_or_b32 exec_lo, exec_lo, s21
	s_and_saveexec_b32 s21, s20
	s_cbranch_execz .LBB345_16
.LBB345_15:                             ;   in Loop: Header=BB345_4 Depth=1
	v_bfe_u32 v5, v3, 16, 3
	s_and_not1_b32 s19, s19, exec_lo
	s_delay_alu instid0(VALU_DEP_1) | instskip(NEXT) | instid1(VALU_DEP_1)
	v_clz_i32_u32_e32 v6, v5
	v_min_u32_e32 v6, 32, v6
	s_delay_alu instid0(VALU_DEP_1) | instskip(SKIP_1) | instid1(VALU_DEP_2)
	v_subrev_nc_u32_e32 v7, 28, v6
	v_sub_nc_u32_e32 v6, 29, v6
	v_lshlrev_b32_e32 v4, v7, v4
	v_bfe_u32 v7, v3, 19, 4
	s_delay_alu instid0(VALU_DEP_2) | instskip(NEXT) | instid1(VALU_DEP_2)
	v_and_b32_e32 v4, 7, v4
	v_cmp_eq_u32_e32 vcc_lo, 0, v7
	v_cndmask_b32_e32 v6, v7, v6, vcc_lo
	s_delay_alu instid0(VALU_DEP_3) | instskip(NEXT) | instid1(VALU_DEP_2)
	v_cndmask_b32_e32 v4, v5, v4, vcc_lo
	v_lshl_add_u32 v5, v6, 23, 0x3b800000
	s_delay_alu instid0(VALU_DEP_2) | instskip(NEXT) | instid1(VALU_DEP_1)
	v_lshlrev_b32_e32 v4, 20, v4
	v_and_or_b32 v4, 0x7f800000, v5, v4
	s_delay_alu instid0(VALU_DEP_1) | instskip(SKIP_1) | instid1(SALU_CYCLE_1)
	v_cmp_ne_u32_e32 vcc_lo, 0, v4
	s_and_b32 s20, vcc_lo, exec_lo
	s_or_b32 s19, s19, s20
.LBB345_16:                             ;   in Loop: Header=BB345_4 Depth=1
	s_or_b32 exec_lo, exec_lo, s21
	v_lshrrev_b32_e32 v4, 24, v3
	s_mov_b32 s21, 0
	s_mov_b32 s22, exec_lo
                                        ; implicit-def: $sgpr20
	s_delay_alu instid0(VALU_DEP_1)
	v_cmpx_lt_i16_e32 0x7f, v4
	s_xor_b32 s22, exec_lo, s22
	s_cbranch_execnz .LBB345_31
; %bb.17:                               ;   in Loop: Header=BB345_4 Depth=1
	s_and_not1_saveexec_b32 s22, s22
	s_cbranch_execnz .LBB345_34
.LBB345_18:                             ;   in Loop: Header=BB345_4 Depth=1
	s_or_b32 exec_lo, exec_lo, s22
	s_and_saveexec_b32 s22, s21
	s_cbranch_execz .LBB345_3
	s_branch .LBB345_35
.LBB345_19:                             ;   in Loop: Header=BB345_4 Depth=1
	s_mov_b32 s18, -1
	s_mov_b32 s20, exec_lo
                                        ; implicit-def: $sgpr2
	v_cmpx_eq_u16_e32 0x80, v4
; %bb.20:                               ;   in Loop: Header=BB345_4 Depth=1
	s_mov_b32 s2, -1
	s_xor_b32 s18, exec_lo, -1
; %bb.21:                               ;   in Loop: Header=BB345_4 Depth=1
	s_or_b32 exec_lo, exec_lo, s20
	s_delay_alu instid0(SALU_CYCLE_1)
	s_and_b32 s18, s18, exec_lo
                                        ; implicit-def: $vgpr4
	s_and_not1_saveexec_b32 s19, s19
	s_cbranch_execz .LBB345_6
.LBB345_22:                             ;   in Loop: Header=BB345_4 Depth=1
	v_cmp_ne_u16_e32 vcc_lo, 0, v4
	s_and_not1_b32 s18, s18, exec_lo
	s_and_not1_b32 s2, s2, exec_lo
	s_and_b32 s20, vcc_lo, exec_lo
	s_delay_alu instid0(SALU_CYCLE_1)
	s_or_b32 s18, s18, s20
	s_or_b32 exec_lo, exec_lo, s19
	s_and_saveexec_b32 s19, s18
	s_cbranch_execnz .LBB345_7
	s_branch .LBB345_8
.LBB345_23:                             ;   in Loop: Header=BB345_4 Depth=1
	s_mov_b32 s19, -1
	s_mov_b32 s21, exec_lo
                                        ; implicit-def: $sgpr18
	v_cmpx_eq_u16_e32 0x80, v5
; %bb.24:                               ;   in Loop: Header=BB345_4 Depth=1
	s_mov_b32 s18, -1
	s_xor_b32 s19, exec_lo, -1
; %bb.25:                               ;   in Loop: Header=BB345_4 Depth=1
	s_or_b32 exec_lo, exec_lo, s21
	s_delay_alu instid0(SALU_CYCLE_1)
	s_and_b32 s19, s19, exec_lo
                                        ; implicit-def: $vgpr5
	s_and_not1_saveexec_b32 s20, s20
	s_cbranch_execz .LBB345_10
.LBB345_26:                             ;   in Loop: Header=BB345_4 Depth=1
	v_cmp_ne_u16_e32 vcc_lo, 0, v5
	s_and_not1_b32 s19, s19, exec_lo
	s_and_not1_b32 s18, s18, exec_lo
	s_and_b32 s21, vcc_lo, exec_lo
	s_delay_alu instid0(SALU_CYCLE_1)
	s_or_b32 s19, s19, s21
	s_or_b32 exec_lo, exec_lo, s20
	s_and_saveexec_b32 s20, s19
	s_cbranch_execnz .LBB345_11
	s_branch .LBB345_12
.LBB345_27:                             ;   in Loop: Header=BB345_4 Depth=1
	s_mov_b32 s20, -1
	s_mov_b32 s22, exec_lo
                                        ; implicit-def: $sgpr19
	v_cmpx_eq_u16_e32 0x80, v5
; %bb.28:                               ;   in Loop: Header=BB345_4 Depth=1
	s_mov_b32 s19, -1
	s_xor_b32 s20, exec_lo, -1
; %bb.29:                               ;   in Loop: Header=BB345_4 Depth=1
	s_or_b32 exec_lo, exec_lo, s22
	s_delay_alu instid0(SALU_CYCLE_1)
	s_and_b32 s20, s20, exec_lo
                                        ; implicit-def: $vgpr5
	s_and_not1_saveexec_b32 s21, s21
	s_cbranch_execz .LBB345_14
.LBB345_30:                             ;   in Loop: Header=BB345_4 Depth=1
	v_cmp_ne_u16_e32 vcc_lo, 0, v5
	s_and_not1_b32 s20, s20, exec_lo
	s_and_not1_b32 s19, s19, exec_lo
	s_and_b32 s22, vcc_lo, exec_lo
	s_delay_alu instid0(SALU_CYCLE_1)
	s_or_b32 s20, s20, s22
	s_or_b32 exec_lo, exec_lo, s21
	s_and_saveexec_b32 s21, s20
	s_cbranch_execnz .LBB345_15
	s_branch .LBB345_16
.LBB345_31:                             ;   in Loop: Header=BB345_4 Depth=1
	s_mov_b32 s21, -1
	s_mov_b32 s23, exec_lo
                                        ; implicit-def: $sgpr20
	v_cmpx_eq_u16_e32 0x80, v4
; %bb.32:                               ;   in Loop: Header=BB345_4 Depth=1
	s_mov_b32 s20, -1
	s_xor_b32 s21, exec_lo, -1
; %bb.33:                               ;   in Loop: Header=BB345_4 Depth=1
	s_or_b32 exec_lo, exec_lo, s23
	s_delay_alu instid0(SALU_CYCLE_1)
	s_and_b32 s21, s21, exec_lo
	s_and_not1_saveexec_b32 s22, s22
	s_cbranch_execz .LBB345_18
.LBB345_34:                             ;   in Loop: Header=BB345_4 Depth=1
	v_cmp_ne_u16_e32 vcc_lo, 0, v4
	s_and_not1_b32 s21, s21, exec_lo
	s_and_not1_b32 s20, s20, exec_lo
	s_and_b32 s23, vcc_lo, exec_lo
	s_delay_alu instid0(SALU_CYCLE_1)
	s_or_b32 s21, s21, s23
	s_or_b32 exec_lo, exec_lo, s22
	s_and_saveexec_b32 s22, s21
	s_cbranch_execz .LBB345_3
.LBB345_35:                             ;   in Loop: Header=BB345_4 Depth=1
	v_bfe_u32 v5, v3, 24, 3
	v_bfe_u32 v3, v3, 27, 4
	s_and_not1_b32 s20, s20, exec_lo
	s_delay_alu instid0(VALU_DEP_2) | instskip(NEXT) | instid1(VALU_DEP_2)
	v_clz_i32_u32_e32 v6, v5
	v_cmp_eq_u32_e32 vcc_lo, 0, v3
	s_delay_alu instid0(VALU_DEP_2) | instskip(NEXT) | instid1(VALU_DEP_1)
	v_min_u32_e32 v6, 32, v6
	v_subrev_nc_u32_e32 v7, 28, v6
	v_sub_nc_u32_e32 v6, 29, v6
	s_delay_alu instid0(VALU_DEP_2) | instskip(NEXT) | instid1(VALU_DEP_1)
	v_lshlrev_b32_e32 v4, v7, v4
	v_dual_cndmask_b32 v3, v3, v6 :: v_dual_and_b32 v4, 7, v4
	s_delay_alu instid0(VALU_DEP_1) | instskip(NEXT) | instid1(VALU_DEP_2)
	v_lshl_add_u32 v3, v3, 23, 0x3b800000
	v_cndmask_b32_e32 v4, v5, v4, vcc_lo
	s_delay_alu instid0(VALU_DEP_1) | instskip(NEXT) | instid1(VALU_DEP_1)
	v_lshlrev_b32_e32 v4, 20, v4
	v_and_or_b32 v3, 0x7f800000, v3, v4
	s_delay_alu instid0(VALU_DEP_1) | instskip(SKIP_1) | instid1(SALU_CYCLE_1)
	v_cmp_ne_u32_e32 vcc_lo, 0, v3
	s_and_b32 s21, vcc_lo, exec_lo
	s_or_b32 s20, s20, s21
	s_branch .LBB345_3
.LBB345_36:
	s_or_b32 exec_lo, exec_lo, s15
	s_mov_b32 s2, 0
.LBB345_37:
	s_delay_alu instid0(SALU_CYCLE_1)
	s_and_not1_b32 vcc_lo, exec_lo, s2
	s_cbranch_vccnz .LBB345_89
; %bb.38:
	v_cmp_lt_i64_e64 s2, s[4:5], 1
	s_delay_alu instid0(VALU_DEP_1)
	s_and_b32 vcc_lo, exec_lo, s2
	s_cbranch_vccnz .LBB345_89
; %bb.39:
	s_load_b32 s0, s[0:1], 0xc5c
	v_add_co_u32 v1, s1, s10, v0
	s_delay_alu instid0(VALU_DEP_1) | instskip(SKIP_1) | instid1(VALU_DEP_3)
	v_add_co_ci_u32_e64 v2, null, s11, 0, s1
	v_cmp_gt_u64_e64 s1, 0x10000, s[4:5]
	v_add_co_u32 v9, vcc_lo, s6, v1
	s_delay_alu instid0(VALU_DEP_3)
	v_add_co_ci_u32_e32 v10, vcc_lo, s7, v2, vcc_lo
	v_add_co_u32 v11, vcc_lo, s8, v1
	v_add_co_ci_u32_e32 v12, vcc_lo, s9, v2, vcc_lo
                                        ; implicit-def: $vgpr31
                                        ; implicit-def: $vgpr32
                                        ; implicit-def: $vgpr33
                                        ; implicit-def: $vgpr34
	s_waitcnt lgkmcnt(0)
	s_and_b32 s0, s0, 0xffff
	s_and_b32 s1, s1, exec_lo
	s_mul_i32 s13, s0, 3
	s_cselect_b32 s3, s5, 0
	s_cselect_b32 s2, s4, 0x10000
	s_lshl_b32 s12, s0, 1
	s_lshl_b32 s1, s0, 2
	s_add_u32 s14, s10, s13
	s_addc_u32 s15, s11, 0
	v_add_co_u32 v3, s14, s14, v0
	s_delay_alu instid0(VALU_DEP_1) | instskip(SKIP_1) | instid1(VALU_DEP_2)
	v_add_co_ci_u32_e64 v4, null, s15, 0, s14
	s_add_u32 s10, s10, s12
	v_add_co_u32 v13, vcc_lo, s6, v3
	s_delay_alu instid0(VALU_DEP_2)
	v_add_co_ci_u32_e32 v14, vcc_lo, s7, v4, vcc_lo
	v_add_co_u32 v15, vcc_lo, s8, v3
	s_addc_u32 s11, s11, 0
	v_add_co_u32 v3, s10, s10, v0
	v_add_co_ci_u32_e32 v16, vcc_lo, s9, v4, vcc_lo
	v_add_co_ci_u32_e64 v4, null, s11, 0, s10
	s_delay_alu instid0(VALU_DEP_3) | instskip(SKIP_1) | instid1(VALU_DEP_3)
	v_add_co_u32 v19, vcc_lo, s6, v3
	v_add_co_u32 v17, s10, s13, v0
	v_add_co_ci_u32_e32 v20, vcc_lo, s7, v4, vcc_lo
	v_add_co_u32 v21, vcc_lo, s8, v3
	v_add_co_ci_u32_e32 v22, vcc_lo, s9, v4, vcc_lo
	v_add_co_u32 v1, vcc_lo, v1, s0
	v_add_co_ci_u32_e32 v2, vcc_lo, 0, v2, vcc_lo
	v_add_co_ci_u32_e64 v18, null, 0, 0, s10
	s_delay_alu instid0(VALU_DEP_3) | instskip(NEXT) | instid1(VALU_DEP_3)
	v_add_co_u32 v25, vcc_lo, s6, v1
	v_add_co_ci_u32_e32 v26, vcc_lo, s7, v2, vcc_lo
	v_add_co_u32 v23, s10, s12, v0
	v_add_co_u32 v27, vcc_lo, s8, v1
	v_add_co_u32 v29, s0, v0, s0
	v_add_co_ci_u32_e64 v24, null, 0, 0, s10
	v_add_co_ci_u32_e32 v28, vcc_lo, s9, v2, vcc_lo
	v_add_co_ci_u32_e64 v30, null, 0, 0, s0
	s_mov_b64 s[6:7], 0
	s_branch .LBB345_41
.LBB345_40:                             ;   in Loop: Header=BB345_41 Depth=1
	s_or_b32 exec_lo, exec_lo, s0
	s_add_u32 s6, s6, s1
	s_addc_u32 s7, s7, 0
	s_delay_alu instid0(SALU_CYCLE_1) | instskip(SKIP_1) | instid1(VALU_DEP_1)
	v_cmp_ge_i64_e64 s0, s[6:7], s[4:5]
	v_cmp_lt_u64_e64 s8, 0xffff, s[6:7]
	s_or_b32 s0, s0, s8
	s_delay_alu instid0(SALU_CYCLE_1)
	s_and_b32 vcc_lo, exec_lo, s0
	s_cbranch_vccnz .LBB345_89
.LBB345_41:                             ; =>This Inner Loop Header: Depth=1
	v_add_co_u32 v1, s0, v0, s6
	s_delay_alu instid0(VALU_DEP_1) | instskip(NEXT) | instid1(VALU_DEP_1)
	v_add_co_ci_u32_e64 v2, null, 0, s7, s0
	v_cmp_gt_i64_e32 vcc_lo, s[4:5], v[1:2]
	v_cmp_gt_u64_e64 s0, 0x10000, v[1:2]
	s_delay_alu instid0(VALU_DEP_1) | instskip(NEXT) | instid1(SALU_CYCLE_1)
	s_and_b32 s8, vcc_lo, s0
	s_and_saveexec_b32 s0, s8
	s_cbranch_execz .LBB345_43
; %bb.42:                               ;   in Loop: Header=BB345_41 Depth=1
	v_add_co_u32 v3, vcc_lo, v9, s6
	v_add_co_ci_u32_e32 v4, vcc_lo, s7, v10, vcc_lo
	global_load_u8 v34, v[3:4], off
.LBB345_43:                             ;   in Loop: Header=BB345_41 Depth=1
	s_or_b32 exec_lo, exec_lo, s0
	v_add_co_u32 v3, vcc_lo, v29, s6
	v_add_co_ci_u32_e32 v4, vcc_lo, s7, v30, vcc_lo
	s_delay_alu instid0(VALU_DEP_1) | instskip(SKIP_1) | instid1(VALU_DEP_1)
	v_cmp_gt_i64_e32 vcc_lo, s[4:5], v[3:4]
	v_cmp_gt_u64_e64 s0, 0x10000, v[3:4]
	s_and_b32 s8, vcc_lo, s0
	s_delay_alu instid0(SALU_CYCLE_1)
	s_and_saveexec_b32 s0, s8
	s_cbranch_execz .LBB345_45
; %bb.44:                               ;   in Loop: Header=BB345_41 Depth=1
	v_add_co_u32 v5, vcc_lo, v25, s6
	v_add_co_ci_u32_e32 v6, vcc_lo, s7, v26, vcc_lo
	global_load_u8 v33, v[5:6], off
.LBB345_45:                             ;   in Loop: Header=BB345_41 Depth=1
	s_or_b32 exec_lo, exec_lo, s0
	v_add_co_u32 v5, vcc_lo, v23, s6
	v_add_co_ci_u32_e32 v6, vcc_lo, s7, v24, vcc_lo
	s_delay_alu instid0(VALU_DEP_1) | instskip(SKIP_1) | instid1(VALU_DEP_1)
	v_cmp_gt_i64_e32 vcc_lo, s[4:5], v[5:6]
	v_cmp_gt_u64_e64 s0, 0x10000, v[5:6]
	s_and_b32 s8, vcc_lo, s0
	s_delay_alu instid0(SALU_CYCLE_1)
	;; [unrolled: 15-line block ×3, first 2 shown]
	s_and_saveexec_b32 s0, s8
	s_cbranch_execz .LBB345_49
; %bb.48:                               ;   in Loop: Header=BB345_41 Depth=1
	v_add_co_u32 v35, vcc_lo, v13, s6
	v_add_co_ci_u32_e32 v36, vcc_lo, s7, v14, vcc_lo
	global_load_u8 v31, v[35:36], off
.LBB345_49:                             ;   in Loop: Header=BB345_41 Depth=1
	s_or_b32 exec_lo, exec_lo, s0
	s_waitcnt vmcnt(0)
	v_and_b32_e32 v35, 0xff, v34
	s_mov_b32 s8, 0
	s_mov_b32 s9, exec_lo
                                        ; implicit-def: $sgpr0
	s_delay_alu instid0(VALU_DEP_1)
	v_cmpx_lt_i16_e32 0x7f, v35
	s_xor_b32 s9, exec_lo, s9
	s_cbranch_execnz .LBB345_69
; %bb.50:                               ;   in Loop: Header=BB345_41 Depth=1
	s_and_not1_saveexec_b32 s9, s9
	s_cbranch_execnz .LBB345_72
.LBB345_51:                             ;   in Loop: Header=BB345_41 Depth=1
	s_or_b32 exec_lo, exec_lo, s9
	s_and_saveexec_b32 s9, s8
	s_cbranch_execz .LBB345_53
.LBB345_52:                             ;   in Loop: Header=BB345_41 Depth=1
	v_lshrrev_b16 v38, 3, v34
	s_and_not1_b32 s0, s0, exec_lo
	s_delay_alu instid0(VALU_DEP_1) | instskip(NEXT) | instid1(VALU_DEP_1)
	v_and_b32_e32 v38, 15, v38
	v_cmp_eq_u32_e32 vcc_lo, 0, v38
	v_and_b32_e32 v35, 7, v34
	s_delay_alu instid0(VALU_DEP_1) | instskip(NEXT) | instid1(VALU_DEP_1)
	v_clz_i32_u32_e32 v36, v35
	v_min_u32_e32 v36, 32, v36
	s_delay_alu instid0(VALU_DEP_1) | instskip(SKIP_1) | instid1(VALU_DEP_1)
	v_subrev_nc_u32_e32 v37, 28, v36
	v_sub_nc_u32_e32 v36, 29, v36
	v_dual_cndmask_b32 v36, v38, v36 :: v_dual_lshlrev_b32 v37, v37, v34
	s_delay_alu instid0(VALU_DEP_1) | instskip(NEXT) | instid1(VALU_DEP_2)
	v_and_b32_e32 v37, 7, v37
	v_lshl_add_u32 v36, v36, 23, 0x3b800000
	s_delay_alu instid0(VALU_DEP_2) | instskip(NEXT) | instid1(VALU_DEP_1)
	v_cndmask_b32_e32 v35, v35, v37, vcc_lo
	v_lshlrev_b32_e32 v35, 20, v35
	s_delay_alu instid0(VALU_DEP_1) | instskip(NEXT) | instid1(VALU_DEP_1)
	v_and_or_b32 v35, 0x7f800000, v36, v35
	v_cmp_ne_u32_e32 vcc_lo, 0, v35
	s_and_b32 s8, vcc_lo, exec_lo
	s_delay_alu instid0(SALU_CYCLE_1)
	s_or_b32 s0, s0, s8
.LBB345_53:                             ;   in Loop: Header=BB345_41 Depth=1
	s_or_b32 exec_lo, exec_lo, s9
	v_and_b32_e32 v35, 0xff, v33
	s_mov_b32 s9, 0
	s_mov_b32 s10, exec_lo
                                        ; implicit-def: $sgpr8
	s_delay_alu instid0(VALU_DEP_1)
	v_cmpx_lt_i16_e32 0x7f, v35
	s_xor_b32 s10, exec_lo, s10
	s_cbranch_execnz .LBB345_73
; %bb.54:                               ;   in Loop: Header=BB345_41 Depth=1
	s_and_not1_saveexec_b32 s10, s10
	s_cbranch_execnz .LBB345_76
.LBB345_55:                             ;   in Loop: Header=BB345_41 Depth=1
	s_or_b32 exec_lo, exec_lo, s10
	s_and_saveexec_b32 s10, s9
	s_cbranch_execz .LBB345_57
.LBB345_56:                             ;   in Loop: Header=BB345_41 Depth=1
	v_lshrrev_b16 v38, 3, v33
	s_and_not1_b32 s8, s8, exec_lo
	s_delay_alu instid0(VALU_DEP_1) | instskip(NEXT) | instid1(VALU_DEP_1)
	v_and_b32_e32 v38, 15, v38
	v_cmp_eq_u32_e32 vcc_lo, 0, v38
	v_and_b32_e32 v35, 7, v33
	s_delay_alu instid0(VALU_DEP_1) | instskip(NEXT) | instid1(VALU_DEP_1)
	v_clz_i32_u32_e32 v36, v35
	v_min_u32_e32 v36, 32, v36
	s_delay_alu instid0(VALU_DEP_1) | instskip(SKIP_1) | instid1(VALU_DEP_1)
	v_subrev_nc_u32_e32 v37, 28, v36
	v_sub_nc_u32_e32 v36, 29, v36
	v_dual_cndmask_b32 v36, v38, v36 :: v_dual_lshlrev_b32 v37, v37, v33
	s_delay_alu instid0(VALU_DEP_1) | instskip(NEXT) | instid1(VALU_DEP_2)
	v_and_b32_e32 v37, 7, v37
	v_lshl_add_u32 v36, v36, 23, 0x3b800000
	s_delay_alu instid0(VALU_DEP_2) | instskip(NEXT) | instid1(VALU_DEP_1)
	v_cndmask_b32_e32 v35, v35, v37, vcc_lo
	v_lshlrev_b32_e32 v35, 20, v35
	s_delay_alu instid0(VALU_DEP_1) | instskip(NEXT) | instid1(VALU_DEP_1)
	v_and_or_b32 v35, 0x7f800000, v36, v35
	v_cmp_ne_u32_e32 vcc_lo, 0, v35
	s_and_b32 s9, vcc_lo, exec_lo
	s_delay_alu instid0(SALU_CYCLE_1)
	s_or_b32 s8, s8, s9
.LBB345_57:                             ;   in Loop: Header=BB345_41 Depth=1
	s_or_b32 exec_lo, exec_lo, s10
	v_and_b32_e32 v35, 0xff, v32
	s_mov_b32 s10, 0
	s_mov_b32 s11, exec_lo
                                        ; implicit-def: $sgpr9
	s_delay_alu instid0(VALU_DEP_1)
	v_cmpx_lt_i16_e32 0x7f, v35
	s_xor_b32 s11, exec_lo, s11
	s_cbranch_execnz .LBB345_77
; %bb.58:                               ;   in Loop: Header=BB345_41 Depth=1
	s_and_not1_saveexec_b32 s11, s11
	s_cbranch_execnz .LBB345_80
.LBB345_59:                             ;   in Loop: Header=BB345_41 Depth=1
	s_or_b32 exec_lo, exec_lo, s11
	s_and_saveexec_b32 s11, s10
	s_cbranch_execz .LBB345_61
.LBB345_60:                             ;   in Loop: Header=BB345_41 Depth=1
	v_and_b32_e32 v35, 7, v32
	v_lshrrev_b16 v38, 3, v32
	s_and_not1_b32 s9, s9, exec_lo
	s_delay_alu instid0(VALU_DEP_2) | instskip(NEXT) | instid1(VALU_DEP_1)
	v_clz_i32_u32_e32 v36, v35
	v_min_u32_e32 v36, 32, v36
	s_delay_alu instid0(VALU_DEP_1) | instskip(SKIP_1) | instid1(VALU_DEP_2)
	v_subrev_nc_u32_e32 v37, 28, v36
	v_sub_nc_u32_e32 v36, 29, v36
	v_lshlrev_b32_e32 v37, v37, v32
	s_delay_alu instid0(VALU_DEP_1) | instskip(SKIP_1) | instid1(VALU_DEP_1)
	v_and_b32_e32 v37, 7, v37
	v_and_b32_e32 v38, 15, v38
	v_cmp_eq_u32_e32 vcc_lo, 0, v38
	s_delay_alu instid0(VALU_DEP_3) | instskip(NEXT) | instid1(VALU_DEP_1)
	v_dual_cndmask_b32 v35, v35, v37 :: v_dual_cndmask_b32 v36, v38, v36
	v_lshlrev_b32_e32 v35, 20, v35
	s_delay_alu instid0(VALU_DEP_2) | instskip(NEXT) | instid1(VALU_DEP_1)
	v_lshl_add_u32 v36, v36, 23, 0x3b800000
	v_and_or_b32 v35, 0x7f800000, v36, v35
	s_delay_alu instid0(VALU_DEP_1) | instskip(SKIP_1) | instid1(SALU_CYCLE_1)
	v_cmp_ne_u32_e32 vcc_lo, 0, v35
	s_and_b32 s10, vcc_lo, exec_lo
	s_or_b32 s9, s9, s10
.LBB345_61:                             ;   in Loop: Header=BB345_41 Depth=1
	s_or_b32 exec_lo, exec_lo, s11
	v_and_b32_e32 v35, 0xff, v31
	s_mov_b32 s11, 0
	s_mov_b32 s12, exec_lo
                                        ; implicit-def: $sgpr10
	s_delay_alu instid0(VALU_DEP_1)
	v_cmpx_lt_i16_e32 0x7f, v35
	s_xor_b32 s12, exec_lo, s12
	s_cbranch_execnz .LBB345_81
; %bb.62:                               ;   in Loop: Header=BB345_41 Depth=1
	s_and_not1_saveexec_b32 s12, s12
	s_cbranch_execnz .LBB345_84
.LBB345_63:                             ;   in Loop: Header=BB345_41 Depth=1
	s_or_b32 exec_lo, exec_lo, s12
	s_and_saveexec_b32 s12, s11
	s_cbranch_execz .LBB345_65
.LBB345_64:                             ;   in Loop: Header=BB345_41 Depth=1
	v_lshrrev_b16 v38, 3, v31
	s_and_not1_b32 s10, s10, exec_lo
	s_delay_alu instid0(VALU_DEP_1) | instskip(NEXT) | instid1(VALU_DEP_1)
	v_and_b32_e32 v38, 15, v38
	v_cmp_eq_u32_e32 vcc_lo, 0, v38
	v_and_b32_e32 v35, 7, v31
	s_delay_alu instid0(VALU_DEP_1) | instskip(NEXT) | instid1(VALU_DEP_1)
	v_clz_i32_u32_e32 v36, v35
	v_min_u32_e32 v36, 32, v36
	s_delay_alu instid0(VALU_DEP_1) | instskip(SKIP_1) | instid1(VALU_DEP_1)
	v_subrev_nc_u32_e32 v37, 28, v36
	v_sub_nc_u32_e32 v36, 29, v36
	v_dual_cndmask_b32 v36, v38, v36 :: v_dual_lshlrev_b32 v37, v37, v31
	s_delay_alu instid0(VALU_DEP_1) | instskip(NEXT) | instid1(VALU_DEP_2)
	v_and_b32_e32 v37, 7, v37
	v_lshl_add_u32 v36, v36, 23, 0x3b800000
	s_delay_alu instid0(VALU_DEP_2) | instskip(NEXT) | instid1(VALU_DEP_1)
	v_cndmask_b32_e32 v35, v35, v37, vcc_lo
	v_lshlrev_b32_e32 v35, 20, v35
	s_delay_alu instid0(VALU_DEP_1) | instskip(NEXT) | instid1(VALU_DEP_1)
	v_and_or_b32 v35, 0x7f800000, v36, v35
	v_cmp_ne_u32_e32 vcc_lo, 0, v35
	s_and_b32 s11, vcc_lo, exec_lo
	s_delay_alu instid0(SALU_CYCLE_1)
	s_or_b32 s10, s10, s11
.LBB345_65:                             ;   in Loop: Header=BB345_41 Depth=1
	s_or_b32 exec_lo, exec_lo, s12
	s_delay_alu instid0(SALU_CYCLE_1)
	s_mov_b32 s11, exec_lo
	v_cmpx_gt_u64_e64 s[2:3], v[1:2]
	s_xor_b32 s11, exec_lo, s11
	s_cbranch_execnz .LBB345_85
; %bb.66:                               ;   in Loop: Header=BB345_41 Depth=1
	s_or_b32 exec_lo, exec_lo, s11
	s_delay_alu instid0(SALU_CYCLE_1)
	s_mov_b32 s0, exec_lo
	v_cmpx_gt_u64_e64 s[2:3], v[3:4]
	s_cbranch_execnz .LBB345_86
.LBB345_67:                             ;   in Loop: Header=BB345_41 Depth=1
	s_or_b32 exec_lo, exec_lo, s0
	s_delay_alu instid0(SALU_CYCLE_1)
	s_mov_b32 s0, exec_lo
	v_cmpx_gt_u64_e64 s[2:3], v[5:6]
	s_cbranch_execnz .LBB345_87
.LBB345_68:                             ;   in Loop: Header=BB345_41 Depth=1
	s_or_b32 exec_lo, exec_lo, s0
	s_delay_alu instid0(SALU_CYCLE_1)
	s_mov_b32 s0, exec_lo
	v_cmpx_gt_u64_e64 s[2:3], v[7:8]
	s_cbranch_execz .LBB345_40
	s_branch .LBB345_88
.LBB345_69:                             ;   in Loop: Header=BB345_41 Depth=1
	s_mov_b32 s8, -1
	s_mov_b32 s10, exec_lo
                                        ; implicit-def: $sgpr0
	v_cmpx_eq_u16_e32 0x80, v35
; %bb.70:                               ;   in Loop: Header=BB345_41 Depth=1
	s_mov_b32 s0, -1
	s_xor_b32 s8, exec_lo, -1
; %bb.71:                               ;   in Loop: Header=BB345_41 Depth=1
	s_or_b32 exec_lo, exec_lo, s10
	s_delay_alu instid0(SALU_CYCLE_1)
	s_and_b32 s8, s8, exec_lo
                                        ; implicit-def: $vgpr35
	s_and_not1_saveexec_b32 s9, s9
	s_cbranch_execz .LBB345_51
.LBB345_72:                             ;   in Loop: Header=BB345_41 Depth=1
	v_cmp_ne_u16_e32 vcc_lo, 0, v35
	s_and_not1_b32 s8, s8, exec_lo
	s_and_not1_b32 s0, s0, exec_lo
	s_and_b32 s10, vcc_lo, exec_lo
	s_delay_alu instid0(SALU_CYCLE_1)
	s_or_b32 s8, s8, s10
	s_or_b32 exec_lo, exec_lo, s9
	s_and_saveexec_b32 s9, s8
	s_cbranch_execnz .LBB345_52
	s_branch .LBB345_53
.LBB345_73:                             ;   in Loop: Header=BB345_41 Depth=1
	s_mov_b32 s9, -1
	s_mov_b32 s11, exec_lo
                                        ; implicit-def: $sgpr8
	v_cmpx_eq_u16_e32 0x80, v35
; %bb.74:                               ;   in Loop: Header=BB345_41 Depth=1
	s_mov_b32 s8, -1
	s_xor_b32 s9, exec_lo, -1
; %bb.75:                               ;   in Loop: Header=BB345_41 Depth=1
	s_or_b32 exec_lo, exec_lo, s11
	s_delay_alu instid0(SALU_CYCLE_1)
	s_and_b32 s9, s9, exec_lo
                                        ; implicit-def: $vgpr35
	s_and_not1_saveexec_b32 s10, s10
	s_cbranch_execz .LBB345_55
.LBB345_76:                             ;   in Loop: Header=BB345_41 Depth=1
	v_cmp_ne_u16_e32 vcc_lo, 0, v35
	s_and_not1_b32 s9, s9, exec_lo
	s_and_not1_b32 s8, s8, exec_lo
	s_and_b32 s11, vcc_lo, exec_lo
	s_delay_alu instid0(SALU_CYCLE_1)
	s_or_b32 s9, s9, s11
	s_or_b32 exec_lo, exec_lo, s10
	s_and_saveexec_b32 s10, s9
	s_cbranch_execnz .LBB345_56
	s_branch .LBB345_57
.LBB345_77:                             ;   in Loop: Header=BB345_41 Depth=1
	s_mov_b32 s10, -1
	s_mov_b32 s12, exec_lo
                                        ; implicit-def: $sgpr9
	v_cmpx_eq_u16_e32 0x80, v35
; %bb.78:                               ;   in Loop: Header=BB345_41 Depth=1
	s_mov_b32 s9, -1
	s_xor_b32 s10, exec_lo, -1
; %bb.79:                               ;   in Loop: Header=BB345_41 Depth=1
	s_or_b32 exec_lo, exec_lo, s12
	s_delay_alu instid0(SALU_CYCLE_1)
	s_and_b32 s10, s10, exec_lo
                                        ; implicit-def: $vgpr35
	s_and_not1_saveexec_b32 s11, s11
	s_cbranch_execz .LBB345_59
.LBB345_80:                             ;   in Loop: Header=BB345_41 Depth=1
	v_cmp_ne_u16_e32 vcc_lo, 0, v35
	s_and_not1_b32 s10, s10, exec_lo
	s_and_not1_b32 s9, s9, exec_lo
	s_and_b32 s12, vcc_lo, exec_lo
	s_delay_alu instid0(SALU_CYCLE_1)
	s_or_b32 s10, s10, s12
	s_or_b32 exec_lo, exec_lo, s11
	s_and_saveexec_b32 s11, s10
	s_cbranch_execnz .LBB345_60
	s_branch .LBB345_61
.LBB345_81:                             ;   in Loop: Header=BB345_41 Depth=1
	s_mov_b32 s11, -1
	s_mov_b32 s13, exec_lo
                                        ; implicit-def: $sgpr10
	v_cmpx_eq_u16_e32 0x80, v35
; %bb.82:                               ;   in Loop: Header=BB345_41 Depth=1
	s_mov_b32 s10, -1
	s_xor_b32 s11, exec_lo, -1
; %bb.83:                               ;   in Loop: Header=BB345_41 Depth=1
	s_or_b32 exec_lo, exec_lo, s13
	s_delay_alu instid0(SALU_CYCLE_1)
	s_and_b32 s11, s11, exec_lo
                                        ; implicit-def: $vgpr35
	s_and_not1_saveexec_b32 s12, s12
	s_cbranch_execz .LBB345_63
.LBB345_84:                             ;   in Loop: Header=BB345_41 Depth=1
	v_cmp_ne_u16_e32 vcc_lo, 0, v35
	s_and_not1_b32 s11, s11, exec_lo
	s_and_not1_b32 s10, s10, exec_lo
	s_and_b32 s13, vcc_lo, exec_lo
	s_delay_alu instid0(SALU_CYCLE_1)
	s_or_b32 s11, s11, s13
	s_or_b32 exec_lo, exec_lo, s12
	s_and_saveexec_b32 s12, s11
	s_cbranch_execnz .LBB345_64
	s_branch .LBB345_65
.LBB345_85:                             ;   in Loop: Header=BB345_41 Depth=1
	v_add_co_u32 v1, vcc_lo, v11, s6
	v_cndmask_b32_e64 v35, 0, 1, s0
	v_add_co_ci_u32_e32 v2, vcc_lo, s7, v12, vcc_lo
	global_store_b8 v[1:2], v35, off
	s_or_b32 exec_lo, exec_lo, s11
	s_delay_alu instid0(SALU_CYCLE_1)
	s_mov_b32 s0, exec_lo
	v_cmpx_gt_u64_e64 s[2:3], v[3:4]
	s_cbranch_execz .LBB345_67
.LBB345_86:                             ;   in Loop: Header=BB345_41 Depth=1
	v_add_co_u32 v1, vcc_lo, v27, s6
	v_cndmask_b32_e64 v3, 0, 1, s8
	v_add_co_ci_u32_e32 v2, vcc_lo, s7, v28, vcc_lo
	global_store_b8 v[1:2], v3, off
	s_or_b32 exec_lo, exec_lo, s0
	s_delay_alu instid0(SALU_CYCLE_1)
	s_mov_b32 s0, exec_lo
	v_cmpx_gt_u64_e64 s[2:3], v[5:6]
	s_cbranch_execz .LBB345_68
.LBB345_87:                             ;   in Loop: Header=BB345_41 Depth=1
	v_add_co_u32 v1, vcc_lo, v21, s6
	v_cndmask_b32_e64 v3, 0, 1, s9
	v_add_co_ci_u32_e32 v2, vcc_lo, s7, v22, vcc_lo
	global_store_b8 v[1:2], v3, off
	s_or_b32 exec_lo, exec_lo, s0
	s_delay_alu instid0(SALU_CYCLE_1)
	s_mov_b32 s0, exec_lo
	v_cmpx_gt_u64_e64 s[2:3], v[7:8]
	s_cbranch_execz .LBB345_40
.LBB345_88:                             ;   in Loop: Header=BB345_41 Depth=1
	v_add_co_u32 v1, vcc_lo, v15, s6
	v_cndmask_b32_e64 v3, 0, 1, s10
	v_add_co_ci_u32_e32 v2, vcc_lo, s7, v16, vcc_lo
	global_store_b8 v[1:2], v3, off
	s_branch .LBB345_40
.LBB345_89:
	s_nop 0
	s_sendmsg sendmsg(MSG_DEALLOC_VGPRS)
	s_endpgm
	.section	.rodata,"a",@progbits
	.p2align	6, 0x0
	.amdhsa_kernel _ZN2at6native12_GLOBAL__N_125multi_tensor_apply_kernelINS1_18TensorListMetadataILi2EEENS1_11CopyFunctorIbN3c1015Float8_e4m3fnuzELi2ELi1ELi1EEEJNS0_4CopyIbS7_EEEEEvT_T0_DpT1_
		.amdhsa_group_segment_fixed_size 0
		.amdhsa_private_segment_fixed_size 0
		.amdhsa_kernarg_size 3408
		.amdhsa_user_sgpr_count 15
		.amdhsa_user_sgpr_dispatch_ptr 0
		.amdhsa_user_sgpr_queue_ptr 0
		.amdhsa_user_sgpr_kernarg_segment_ptr 1
		.amdhsa_user_sgpr_dispatch_id 0
		.amdhsa_user_sgpr_private_segment_size 0
		.amdhsa_wavefront_size32 1
		.amdhsa_uses_dynamic_stack 0
		.amdhsa_enable_private_segment 0
		.amdhsa_system_sgpr_workgroup_id_x 1
		.amdhsa_system_sgpr_workgroup_id_y 0
		.amdhsa_system_sgpr_workgroup_id_z 0
		.amdhsa_system_sgpr_workgroup_info 0
		.amdhsa_system_vgpr_workitem_id 0
		.amdhsa_next_free_vgpr 39
		.amdhsa_next_free_sgpr 24
		.amdhsa_reserve_vcc 1
		.amdhsa_float_round_mode_32 0
		.amdhsa_float_round_mode_16_64 0
		.amdhsa_float_denorm_mode_32 3
		.amdhsa_float_denorm_mode_16_64 3
		.amdhsa_dx10_clamp 1
		.amdhsa_ieee_mode 1
		.amdhsa_fp16_overflow 0
		.amdhsa_workgroup_processor_mode 1
		.amdhsa_memory_ordered 1
		.amdhsa_forward_progress 0
		.amdhsa_shared_vgpr_count 0
		.amdhsa_exception_fp_ieee_invalid_op 0
		.amdhsa_exception_fp_denorm_src 0
		.amdhsa_exception_fp_ieee_div_zero 0
		.amdhsa_exception_fp_ieee_overflow 0
		.amdhsa_exception_fp_ieee_underflow 0
		.amdhsa_exception_fp_ieee_inexact 0
		.amdhsa_exception_int_div_zero 0
	.end_amdhsa_kernel
	.section	.text._ZN2at6native12_GLOBAL__N_125multi_tensor_apply_kernelINS1_18TensorListMetadataILi2EEENS1_11CopyFunctorIbN3c1015Float8_e4m3fnuzELi2ELi1ELi1EEEJNS0_4CopyIbS7_EEEEEvT_T0_DpT1_,"axG",@progbits,_ZN2at6native12_GLOBAL__N_125multi_tensor_apply_kernelINS1_18TensorListMetadataILi2EEENS1_11CopyFunctorIbN3c1015Float8_e4m3fnuzELi2ELi1ELi1EEEJNS0_4CopyIbS7_EEEEEvT_T0_DpT1_,comdat
.Lfunc_end345:
	.size	_ZN2at6native12_GLOBAL__N_125multi_tensor_apply_kernelINS1_18TensorListMetadataILi2EEENS1_11CopyFunctorIbN3c1015Float8_e4m3fnuzELi2ELi1ELi1EEEJNS0_4CopyIbS7_EEEEEvT_T0_DpT1_, .Lfunc_end345-_ZN2at6native12_GLOBAL__N_125multi_tensor_apply_kernelINS1_18TensorListMetadataILi2EEENS1_11CopyFunctorIbN3c1015Float8_e4m3fnuzELi2ELi1ELi1EEEJNS0_4CopyIbS7_EEEEEvT_T0_DpT1_
                                        ; -- End function
	.section	.AMDGPU.csdata,"",@progbits
; Kernel info:
; codeLenInByte = 3532
; NumSgprs: 26
; NumVgprs: 39
; ScratchSize: 0
; MemoryBound: 0
; FloatMode: 240
; IeeeMode: 1
; LDSByteSize: 0 bytes/workgroup (compile time only)
; SGPRBlocks: 3
; VGPRBlocks: 4
; NumSGPRsForWavesPerEU: 26
; NumVGPRsForWavesPerEU: 39
; Occupancy: 16
; WaveLimiterHint : 0
; COMPUTE_PGM_RSRC2:SCRATCH_EN: 0
; COMPUTE_PGM_RSRC2:USER_SGPR: 15
; COMPUTE_PGM_RSRC2:TRAP_HANDLER: 0
; COMPUTE_PGM_RSRC2:TGID_X_EN: 1
; COMPUTE_PGM_RSRC2:TGID_Y_EN: 0
; COMPUTE_PGM_RSRC2:TGID_Z_EN: 0
; COMPUTE_PGM_RSRC2:TIDIG_COMP_CNT: 0
	.section	.text._ZN2at6native12_GLOBAL__N_125multi_tensor_apply_kernelINS1_18TensorListMetadataILi2EEENS1_11CopyFunctorIbN3c1011Float8_e5m2ELi2ELi1ELi1EEEJNS0_4CopyIbS7_EEEEEvT_T0_DpT1_,"axG",@progbits,_ZN2at6native12_GLOBAL__N_125multi_tensor_apply_kernelINS1_18TensorListMetadataILi2EEENS1_11CopyFunctorIbN3c1011Float8_e5m2ELi2ELi1ELi1EEEJNS0_4CopyIbS7_EEEEEvT_T0_DpT1_,comdat
	.globl	_ZN2at6native12_GLOBAL__N_125multi_tensor_apply_kernelINS1_18TensorListMetadataILi2EEENS1_11CopyFunctorIbN3c1011Float8_e5m2ELi2ELi1ELi1EEEJNS0_4CopyIbS7_EEEEEvT_T0_DpT1_ ; -- Begin function _ZN2at6native12_GLOBAL__N_125multi_tensor_apply_kernelINS1_18TensorListMetadataILi2EEENS1_11CopyFunctorIbN3c1011Float8_e5m2ELi2ELi1ELi1EEEJNS0_4CopyIbS7_EEEEEvT_T0_DpT1_
	.p2align	8
	.type	_ZN2at6native12_GLOBAL__N_125multi_tensor_apply_kernelINS1_18TensorListMetadataILi2EEENS1_11CopyFunctorIbN3c1011Float8_e5m2ELi2ELi1ELi1EEEJNS0_4CopyIbS7_EEEEEvT_T0_DpT1_,@function
_ZN2at6native12_GLOBAL__N_125multi_tensor_apply_kernelINS1_18TensorListMetadataILi2EEENS1_11CopyFunctorIbN3c1011Float8_e5m2ELi2ELi1ELi1EEEJNS0_4CopyIbS7_EEEEEvT_T0_DpT1_: ; @_ZN2at6native12_GLOBAL__N_125multi_tensor_apply_kernelINS1_18TensorListMetadataILi2EEENS1_11CopyFunctorIbN3c1011Float8_e5m2ELi2ELi1ELi1EEEJNS0_4CopyIbS7_EEEEEvT_T0_DpT1_
; %bb.0:
	v_mov_b32_e32 v1, s15
	s_add_u32 s2, s0, s15
	s_mul_i32 s4, s15, 3
	s_addc_u32 s3, s1, 0
	s_mul_hi_u32 s5, s15, 3
	global_load_u8 v1, v1, s[0:1] offset:1536
	s_add_u32 s2, s2, s4
	s_addc_u32 s3, s3, s5
	s_load_b32 s2, s[2:3], 0x740
	s_waitcnt vmcnt(0)
	v_readfirstlane_b32 s4, v1
	s_delay_alu instid0(VALU_DEP_1)
	s_lshl_b32 s3, s4, 3
	s_clause 0x2
	s_load_b64 s[6:7], s[0:1], s3 offset:0x0
	s_load_b64 s[8:9], s[0:1], s3 offset:0x200
	;; [unrolled: 1-line block ×3, first 2 shown]
	s_waitcnt lgkmcnt(0)
	s_ashr_i32 s3, s2, 31
	s_delay_alu instid0(SALU_CYCLE_1) | instskip(NEXT) | instid1(SALU_CYCLE_1)
	s_lshl_b64 s[10:11], s[2:3], 16
	s_add_u32 s14, s6, s10
	s_addc_u32 s15, s7, s11
	s_add_u32 s12, s8, s10
	s_addc_u32 s13, s9, s11
	s_delay_alu instid0(SALU_CYCLE_1) | instskip(NEXT) | instid1(SALU_CYCLE_1)
	s_or_b64 s[2:3], s[4:5], s[12:13]
	s_or_b32 s2, s14, s2
	s_delay_alu instid0(SALU_CYCLE_1)
	s_and_b32 s2, s2, 3
	s_sub_u32 s4, s4, s10
	s_subb_u32 s5, s5, s11
	s_cmp_eq_u32 s2, 0
	s_mov_b32 s2, -1
	s_cbranch_scc0 .LBB346_5
; %bb.1:
	v_dual_mov_b32 v2, 0 :: v_dual_lshlrev_b32 v1, 2, v0
	s_mov_b32 s16, exec_lo
	s_delay_alu instid0(VALU_DEP_1)
	v_cmpx_gt_i64_e64 s[4:5], v[1:2]
	s_cbranch_execz .LBB346_4
; %bb.2:
	s_load_b32 s2, s[0:1], 0xc5c
	s_mov_b32 s17, 0
	s_mov_b32 s19, 0xfe00000
	s_waitcnt lgkmcnt(0)
	s_and_b32 s2, s2, 0xffff
	s_delay_alu instid0(SALU_CYCLE_1)
	s_lshl_b32 s18, s2, 2
.LBB346_3:                              ; =>This Inner Loop Header: Depth=1
	v_add_co_u32 v3, vcc_lo, s14, v1
	v_add_co_ci_u32_e32 v4, vcc_lo, s15, v2, vcc_lo
	global_load_b32 v5, v[3:4], off
	v_add_co_u32 v3, vcc_lo, s12, v1
	v_add_co_ci_u32_e32 v4, vcc_lo, s13, v2, vcc_lo
	v_add_co_u32 v1, vcc_lo, s18, v1
	v_add_co_ci_u32_e32 v2, vcc_lo, 0, v2, vcc_lo
	s_delay_alu instid0(VALU_DEP_1)
	v_cmp_le_i64_e32 vcc_lo, s[4:5], v[1:2]
	s_waitcnt vmcnt(0)
	v_and_or_b32 v11, 0x7f00, v5, 0.5
	v_lshlrev_b32_e32 v8, 25, v5
	v_lshrrev_b32_e32 v6, 16, v5
	v_lshlrev_b32_e32 v10, 13, v5
	v_lshrrev_b32_e32 v12, 8, v5
	v_add_f32_e32 v11, -0.5, v11
	v_lshrrev_b32_e32 v13, 4, v8
	s_delay_alu instid0(VALU_DEP_4)
	v_and_or_b32 v10, v10, s19, 0x70000000
	v_lshlrev_b32_e32 v7, 8, v5
	v_and_or_b32 v12, 0x7f00, v12, 0.5
	v_lshlrev_b32_e32 v9, 17, v5
	v_or_b32_e32 v13, 0x70000000, v13
	v_lshlrev_b32_e32 v14, 25, v6
	v_and_or_b32 v6, 0x7f00, v6, 0.5
	v_dual_mul_f32 v10, 0x7800000, v10 :: v_dual_lshlrev_b32 v5, 1, v5
	v_and_or_b32 v7, 0x7f00, v7, 0.5
	v_add_f32_e32 v12, -0.5, v12
	s_delay_alu instid0(VALU_DEP_3) | instskip(SKIP_1) | instid1(VALU_DEP_4)
	v_dual_add_f32 v6, -0.5, v6 :: v_dual_and_b32 v5, 0xfe000000, v5
	v_cmp_gt_u32_e64 s2, 0x8000000, v9
	v_add_f32_e32 v7, -0.5, v7
	v_mul_f32_e32 v9, 0x7800000, v13
	v_lshrrev_b32_e32 v15, 4, v14
	v_lshrrev_b32_e32 v16, 4, v5
	v_cndmask_b32_e64 v10, v10, v11, s2
	v_cmp_gt_u32_e64 s2, 0x8000000, v8
	s_delay_alu instid0(VALU_DEP_4) | instskip(NEXT) | instid1(VALU_DEP_4)
	v_or_b32_e32 v11, 0x70000000, v15
	v_or_b32_e32 v13, 0x70000000, v16
	s_delay_alu instid0(VALU_DEP_3) | instskip(SKIP_1) | instid1(VALU_DEP_4)
	v_cndmask_b32_e64 v7, v9, v7, s2
	v_cmp_neq_f32_e64 s2, 0, v10
	v_mul_f32_e32 v10, 0x7800000, v11
	s_delay_alu instid0(VALU_DEP_4) | instskip(NEXT) | instid1(VALU_DEP_4)
	v_mul_f32_e32 v8, 0x7800000, v13
	v_cmp_neq_f32_e64 s3, 0, v7
	s_delay_alu instid0(VALU_DEP_4) | instskip(SKIP_1) | instid1(VALU_DEP_3)
	v_cndmask_b32_e64 v9, 0, 1, s2
	v_cmp_gt_u32_e64 s2, 0x8000000, v5
	v_cndmask_b32_e64 v7, 0, 1, s3
	s_delay_alu instid0(VALU_DEP_2) | instskip(SKIP_2) | instid1(VALU_DEP_2)
	v_cndmask_b32_e64 v5, v8, v6, s2
	v_cmp_gt_u32_e64 s2, 0x8000000, v14
	v_lshlrev_b16 v8, 8, v9
	v_cndmask_b32_e64 v6, v10, v12, s2
	s_delay_alu instid0(VALU_DEP_4) | instskip(NEXT) | instid1(VALU_DEP_3)
	v_cmp_neq_f32_e64 s2, 0, v5
	v_or_b32_e32 v7, v7, v8
	s_delay_alu instid0(VALU_DEP_2) | instskip(NEXT) | instid1(VALU_DEP_4)
	v_cndmask_b32_e64 v5, 0, 1, s2
	v_cmp_neq_f32_e64 s2, 0, v6
	s_delay_alu instid0(VALU_DEP_2) | instskip(NEXT) | instid1(VALU_DEP_2)
	v_lshlrev_b16 v5, 8, v5
	v_cndmask_b32_e64 v6, 0, 1, s2
	v_cmp_lt_u64_e64 s2, 0xffff, v[1:2]
	s_delay_alu instid0(VALU_DEP_2) | instskip(SKIP_1) | instid1(VALU_DEP_3)
	v_or_b32_e32 v5, v6, v5
	v_and_b32_e32 v6, 0xffff, v7
	s_or_b32 s2, vcc_lo, s2
	s_delay_alu instid0(SALU_CYCLE_1) | instskip(NEXT) | instid1(VALU_DEP_2)
	s_and_b32 s2, exec_lo, s2
	v_lshlrev_b32_e32 v5, 16, v5
	s_or_b32 s17, s2, s17
	s_delay_alu instid0(VALU_DEP_1)
	v_or_b32_e32 v5, v6, v5
	global_store_b32 v[3:4], v5, off
	s_and_not1_b32 exec_lo, exec_lo, s17
	s_cbranch_execnz .LBB346_3
.LBB346_4:
	s_or_b32 exec_lo, exec_lo, s16
	s_mov_b32 s2, 0
.LBB346_5:
	s_delay_alu instid0(SALU_CYCLE_1)
	s_and_not1_b32 vcc_lo, exec_lo, s2
	s_cbranch_vccnz .LBB346_25
; %bb.6:
	v_cmp_lt_i64_e64 s2, s[4:5], 1
	s_delay_alu instid0(VALU_DEP_1)
	s_and_b32 vcc_lo, exec_lo, s2
	s_cbranch_vccnz .LBB346_25
; %bb.7:
	s_load_b32 s0, s[0:1], 0xc5c
	v_add_co_u32 v1, s1, s10, v0
	s_delay_alu instid0(VALU_DEP_1) | instskip(SKIP_1) | instid1(VALU_DEP_3)
	v_add_co_ci_u32_e64 v2, null, s11, 0, s1
	v_cmp_gt_u64_e64 s1, 0x10000, s[4:5]
	v_add_co_u32 v9, vcc_lo, s6, v1
	s_delay_alu instid0(VALU_DEP_3)
	v_add_co_ci_u32_e32 v10, vcc_lo, s7, v2, vcc_lo
	v_add_co_u32 v11, vcc_lo, s8, v1
	v_add_co_ci_u32_e32 v12, vcc_lo, s9, v2, vcc_lo
                                        ; implicit-def: $vgpr31
                                        ; implicit-def: $vgpr32
                                        ; implicit-def: $vgpr33
                                        ; implicit-def: $vgpr34
	s_waitcnt lgkmcnt(0)
	s_and_b32 s0, s0, 0xffff
	s_and_b32 s1, s1, exec_lo
	s_mul_i32 s13, s0, 3
	s_cselect_b32 s3, s5, 0
	s_cselect_b32 s2, s4, 0x10000
	s_lshl_b32 s12, s0, 1
	s_lshl_b32 s1, s0, 2
	s_add_u32 s14, s10, s13
	s_addc_u32 s15, s11, 0
	v_add_co_u32 v3, s14, s14, v0
	s_delay_alu instid0(VALU_DEP_1) | instskip(SKIP_1) | instid1(VALU_DEP_2)
	v_add_co_ci_u32_e64 v4, null, s15, 0, s14
	s_add_u32 s10, s10, s12
	v_add_co_u32 v13, vcc_lo, s6, v3
	s_delay_alu instid0(VALU_DEP_2)
	v_add_co_ci_u32_e32 v14, vcc_lo, s7, v4, vcc_lo
	v_add_co_u32 v15, vcc_lo, s8, v3
	s_addc_u32 s11, s11, 0
	v_add_co_u32 v3, s10, s10, v0
	v_add_co_ci_u32_e32 v16, vcc_lo, s9, v4, vcc_lo
	v_add_co_ci_u32_e64 v4, null, s11, 0, s10
	s_delay_alu instid0(VALU_DEP_3) | instskip(SKIP_1) | instid1(VALU_DEP_3)
	v_add_co_u32 v19, vcc_lo, s6, v3
	v_add_co_u32 v17, s10, s13, v0
	v_add_co_ci_u32_e32 v20, vcc_lo, s7, v4, vcc_lo
	v_add_co_u32 v21, vcc_lo, s8, v3
	v_add_co_ci_u32_e32 v22, vcc_lo, s9, v4, vcc_lo
	v_add_co_u32 v1, vcc_lo, v1, s0
	v_add_co_ci_u32_e32 v2, vcc_lo, 0, v2, vcc_lo
	v_add_co_ci_u32_e64 v18, null, 0, 0, s10
	s_delay_alu instid0(VALU_DEP_3) | instskip(NEXT) | instid1(VALU_DEP_3)
	v_add_co_u32 v25, vcc_lo, s6, v1
	v_add_co_ci_u32_e32 v26, vcc_lo, s7, v2, vcc_lo
	v_add_co_u32 v23, s10, s12, v0
	v_add_co_u32 v27, vcc_lo, s8, v1
	v_add_co_u32 v29, s0, v0, s0
	v_add_co_ci_u32_e64 v24, null, 0, 0, s10
	v_add_co_ci_u32_e32 v28, vcc_lo, s9, v2, vcc_lo
	v_add_co_ci_u32_e64 v30, null, 0, 0, s0
	s_mov_b64 s[6:7], 0
	s_branch .LBB346_9
.LBB346_8:                              ;   in Loop: Header=BB346_9 Depth=1
	s_or_b32 exec_lo, exec_lo, s0
	s_add_u32 s6, s6, s1
	s_addc_u32 s7, s7, 0
	s_delay_alu instid0(SALU_CYCLE_1) | instskip(SKIP_1) | instid1(VALU_DEP_1)
	v_cmp_ge_i64_e64 s0, s[6:7], s[4:5]
	v_cmp_lt_u64_e64 s8, 0xffff, s[6:7]
	s_or_b32 s0, s0, s8
	s_delay_alu instid0(SALU_CYCLE_1)
	s_and_b32 vcc_lo, exec_lo, s0
	s_cbranch_vccnz .LBB346_25
.LBB346_9:                              ; =>This Inner Loop Header: Depth=1
	v_add_co_u32 v7, s0, v0, s6
	s_delay_alu instid0(VALU_DEP_1) | instskip(NEXT) | instid1(VALU_DEP_1)
	v_add_co_ci_u32_e64 v8, null, 0, s7, s0
	v_cmp_gt_i64_e32 vcc_lo, s[4:5], v[7:8]
	v_cmp_gt_u64_e64 s0, 0x10000, v[7:8]
	s_delay_alu instid0(VALU_DEP_1) | instskip(NEXT) | instid1(SALU_CYCLE_1)
	s_and_b32 s8, vcc_lo, s0
	s_and_saveexec_b32 s0, s8
	s_cbranch_execz .LBB346_11
; %bb.10:                               ;   in Loop: Header=BB346_9 Depth=1
	v_add_co_u32 v1, vcc_lo, v9, s6
	v_add_co_ci_u32_e32 v2, vcc_lo, s7, v10, vcc_lo
	global_load_u8 v34, v[1:2], off
.LBB346_11:                             ;   in Loop: Header=BB346_9 Depth=1
	s_or_b32 exec_lo, exec_lo, s0
	v_add_co_u32 v5, vcc_lo, v29, s6
	v_add_co_ci_u32_e32 v6, vcc_lo, s7, v30, vcc_lo
	s_delay_alu instid0(VALU_DEP_1) | instskip(SKIP_1) | instid1(VALU_DEP_1)
	v_cmp_gt_i64_e32 vcc_lo, s[4:5], v[5:6]
	v_cmp_gt_u64_e64 s0, 0x10000, v[5:6]
	s_and_b32 s8, vcc_lo, s0
	s_delay_alu instid0(SALU_CYCLE_1)
	s_and_saveexec_b32 s0, s8
	s_cbranch_execz .LBB346_13
; %bb.12:                               ;   in Loop: Header=BB346_9 Depth=1
	v_add_co_u32 v1, vcc_lo, v25, s6
	v_add_co_ci_u32_e32 v2, vcc_lo, s7, v26, vcc_lo
	global_load_u8 v33, v[1:2], off
.LBB346_13:                             ;   in Loop: Header=BB346_9 Depth=1
	s_or_b32 exec_lo, exec_lo, s0
	v_add_co_u32 v3, vcc_lo, v23, s6
	v_add_co_ci_u32_e32 v4, vcc_lo, s7, v24, vcc_lo
	s_delay_alu instid0(VALU_DEP_1) | instskip(SKIP_1) | instid1(VALU_DEP_1)
	v_cmp_gt_i64_e32 vcc_lo, s[4:5], v[3:4]
	v_cmp_gt_u64_e64 s0, 0x10000, v[3:4]
	s_and_b32 s8, vcc_lo, s0
	s_delay_alu instid0(SALU_CYCLE_1)
	;; [unrolled: 15-line block ×3, first 2 shown]
	s_and_saveexec_b32 s0, s8
	s_cbranch_execnz .LBB346_20
; %bb.16:                               ;   in Loop: Header=BB346_9 Depth=1
	s_or_b32 exec_lo, exec_lo, s0
	s_delay_alu instid0(SALU_CYCLE_1)
	s_mov_b32 s0, exec_lo
	v_cmpx_gt_u64_e64 s[2:3], v[7:8]
	s_cbranch_execnz .LBB346_21
.LBB346_17:                             ;   in Loop: Header=BB346_9 Depth=1
	s_or_b32 exec_lo, exec_lo, s0
	s_delay_alu instid0(SALU_CYCLE_1)
	s_mov_b32 s0, exec_lo
	v_cmpx_gt_u64_e64 s[2:3], v[5:6]
	s_cbranch_execnz .LBB346_22
.LBB346_18:                             ;   in Loop: Header=BB346_9 Depth=1
	s_or_b32 exec_lo, exec_lo, s0
	s_delay_alu instid0(SALU_CYCLE_1)
	s_mov_b32 s0, exec_lo
	v_cmpx_gt_u64_e64 s[2:3], v[3:4]
	s_cbranch_execnz .LBB346_23
.LBB346_19:                             ;   in Loop: Header=BB346_9 Depth=1
	s_or_b32 exec_lo, exec_lo, s0
	s_delay_alu instid0(SALU_CYCLE_1)
	s_mov_b32 s0, exec_lo
	v_cmpx_gt_u64_e64 s[2:3], v[1:2]
	s_cbranch_execz .LBB346_8
	s_branch .LBB346_24
.LBB346_20:                             ;   in Loop: Header=BB346_9 Depth=1
	v_add_co_u32 v35, vcc_lo, v13, s6
	v_add_co_ci_u32_e32 v36, vcc_lo, s7, v14, vcc_lo
	global_load_u8 v31, v[35:36], off
	s_or_b32 exec_lo, exec_lo, s0
	s_delay_alu instid0(SALU_CYCLE_1)
	s_mov_b32 s0, exec_lo
	v_cmpx_gt_u64_e64 s[2:3], v[7:8]
	s_cbranch_execz .LBB346_17
.LBB346_21:                             ;   in Loop: Header=BB346_9 Depth=1
	s_waitcnt vmcnt(0)
	v_lshlrev_b32_e32 v8, 8, v34
	s_delay_alu instid0(VALU_DEP_1) | instskip(NEXT) | instid1(VALU_DEP_1)
	v_and_or_b32 v8, 0x7f00, v8, 0.5
	v_dual_add_f32 v8, -0.5, v8 :: v_dual_lshlrev_b32 v7, 25, v34
	s_delay_alu instid0(VALU_DEP_1) | instskip(SKIP_1) | instid1(VALU_DEP_2)
	v_lshrrev_b32_e32 v35, 4, v7
	v_cmp_gt_u32_e32 vcc_lo, 0x8000000, v7
	v_or_b32_e32 v35, 0x70000000, v35
	s_delay_alu instid0(VALU_DEP_1) | instskip(NEXT) | instid1(VALU_DEP_1)
	v_mul_f32_e32 v35, 0x7800000, v35
	v_cndmask_b32_e32 v7, v35, v8, vcc_lo
	s_delay_alu instid0(VALU_DEP_1)
	v_cmp_neq_f32_e32 vcc_lo, 0, v7
	v_cndmask_b32_e64 v35, 0, 1, vcc_lo
	v_add_co_u32 v7, vcc_lo, v11, s6
	v_add_co_ci_u32_e32 v8, vcc_lo, s7, v12, vcc_lo
	global_store_b8 v[7:8], v35, off
	s_or_b32 exec_lo, exec_lo, s0
	s_delay_alu instid0(SALU_CYCLE_1)
	s_mov_b32 s0, exec_lo
	v_cmpx_gt_u64_e64 s[2:3], v[5:6]
	s_cbranch_execz .LBB346_18
.LBB346_22:                             ;   in Loop: Header=BB346_9 Depth=1
	s_waitcnt vmcnt(0)
	v_lshlrev_b32_e32 v6, 8, v33
	s_delay_alu instid0(VALU_DEP_1) | instskip(NEXT) | instid1(VALU_DEP_1)
	v_and_or_b32 v6, 0x7f00, v6, 0.5
	v_dual_add_f32 v6, -0.5, v6 :: v_dual_lshlrev_b32 v5, 25, v33
	s_delay_alu instid0(VALU_DEP_1) | instskip(SKIP_1) | instid1(VALU_DEP_2)
	v_lshrrev_b32_e32 v7, 4, v5
	v_cmp_gt_u32_e32 vcc_lo, 0x8000000, v5
	v_or_b32_e32 v7, 0x70000000, v7
	s_delay_alu instid0(VALU_DEP_1) | instskip(NEXT) | instid1(VALU_DEP_1)
	v_mul_f32_e32 v7, 0x7800000, v7
	v_cndmask_b32_e32 v5, v7, v6, vcc_lo
	s_delay_alu instid0(VALU_DEP_1)
	v_cmp_neq_f32_e32 vcc_lo, 0, v5
	v_cndmask_b32_e64 v7, 0, 1, vcc_lo
	v_add_co_u32 v5, vcc_lo, v27, s6
	v_add_co_ci_u32_e32 v6, vcc_lo, s7, v28, vcc_lo
	global_store_b8 v[5:6], v7, off
	s_or_b32 exec_lo, exec_lo, s0
	s_delay_alu instid0(SALU_CYCLE_1)
	s_mov_b32 s0, exec_lo
	v_cmpx_gt_u64_e64 s[2:3], v[3:4]
	s_cbranch_execz .LBB346_19
.LBB346_23:                             ;   in Loop: Header=BB346_9 Depth=1
	s_waitcnt vmcnt(0)
	v_lshlrev_b32_e32 v3, 25, v32
	s_delay_alu instid0(VALU_DEP_1) | instskip(SKIP_1) | instid1(VALU_DEP_2)
	v_lshrrev_b32_e32 v5, 4, v3
	v_cmp_gt_u32_e32 vcc_lo, 0x8000000, v3
	v_or_b32_e32 v5, 0x70000000, v5
	s_delay_alu instid0(VALU_DEP_1) | instskip(NEXT) | instid1(VALU_DEP_1)
	v_dual_mul_f32 v5, 0x7800000, v5 :: v_dual_lshlrev_b32 v4, 8, v32
	v_and_or_b32 v4, 0x7f00, v4, 0.5
	s_delay_alu instid0(VALU_DEP_1) | instskip(NEXT) | instid1(VALU_DEP_1)
	v_add_f32_e32 v4, -0.5, v4
	v_cndmask_b32_e32 v3, v5, v4, vcc_lo
	s_delay_alu instid0(VALU_DEP_1)
	v_cmp_neq_f32_e32 vcc_lo, 0, v3
	v_cndmask_b32_e64 v5, 0, 1, vcc_lo
	v_add_co_u32 v3, vcc_lo, v21, s6
	v_add_co_ci_u32_e32 v4, vcc_lo, s7, v22, vcc_lo
	global_store_b8 v[3:4], v5, off
	s_or_b32 exec_lo, exec_lo, s0
	s_delay_alu instid0(SALU_CYCLE_1)
	s_mov_b32 s0, exec_lo
	v_cmpx_gt_u64_e64 s[2:3], v[1:2]
	s_cbranch_execz .LBB346_8
.LBB346_24:                             ;   in Loop: Header=BB346_9 Depth=1
	s_waitcnt vmcnt(0)
	v_lshlrev_b32_e32 v2, 8, v31
	s_delay_alu instid0(VALU_DEP_1) | instskip(NEXT) | instid1(VALU_DEP_1)
	v_and_or_b32 v2, 0x7f00, v2, 0.5
	v_dual_add_f32 v2, -0.5, v2 :: v_dual_lshlrev_b32 v1, 25, v31
	s_delay_alu instid0(VALU_DEP_1) | instskip(SKIP_1) | instid1(VALU_DEP_2)
	v_lshrrev_b32_e32 v3, 4, v1
	v_cmp_gt_u32_e32 vcc_lo, 0x8000000, v1
	v_or_b32_e32 v3, 0x70000000, v3
	s_delay_alu instid0(VALU_DEP_1) | instskip(NEXT) | instid1(VALU_DEP_1)
	v_mul_f32_e32 v3, 0x7800000, v3
	v_cndmask_b32_e32 v1, v3, v2, vcc_lo
	s_delay_alu instid0(VALU_DEP_1)
	v_cmp_neq_f32_e32 vcc_lo, 0, v1
	v_cndmask_b32_e64 v3, 0, 1, vcc_lo
	v_add_co_u32 v1, vcc_lo, v15, s6
	v_add_co_ci_u32_e32 v2, vcc_lo, s7, v16, vcc_lo
	global_store_b8 v[1:2], v3, off
	s_branch .LBB346_8
.LBB346_25:
	s_nop 0
	s_sendmsg sendmsg(MSG_DEALLOC_VGPRS)
	s_endpgm
	.section	.rodata,"a",@progbits
	.p2align	6, 0x0
	.amdhsa_kernel _ZN2at6native12_GLOBAL__N_125multi_tensor_apply_kernelINS1_18TensorListMetadataILi2EEENS1_11CopyFunctorIbN3c1011Float8_e5m2ELi2ELi1ELi1EEEJNS0_4CopyIbS7_EEEEEvT_T0_DpT1_
		.amdhsa_group_segment_fixed_size 0
		.amdhsa_private_segment_fixed_size 0
		.amdhsa_kernarg_size 3408
		.amdhsa_user_sgpr_count 15
		.amdhsa_user_sgpr_dispatch_ptr 0
		.amdhsa_user_sgpr_queue_ptr 0
		.amdhsa_user_sgpr_kernarg_segment_ptr 1
		.amdhsa_user_sgpr_dispatch_id 0
		.amdhsa_user_sgpr_private_segment_size 0
		.amdhsa_wavefront_size32 1
		.amdhsa_uses_dynamic_stack 0
		.amdhsa_enable_private_segment 0
		.amdhsa_system_sgpr_workgroup_id_x 1
		.amdhsa_system_sgpr_workgroup_id_y 0
		.amdhsa_system_sgpr_workgroup_id_z 0
		.amdhsa_system_sgpr_workgroup_info 0
		.amdhsa_system_vgpr_workitem_id 0
		.amdhsa_next_free_vgpr 37
		.amdhsa_next_free_sgpr 20
		.amdhsa_reserve_vcc 1
		.amdhsa_float_round_mode_32 0
		.amdhsa_float_round_mode_16_64 0
		.amdhsa_float_denorm_mode_32 3
		.amdhsa_float_denorm_mode_16_64 3
		.amdhsa_dx10_clamp 1
		.amdhsa_ieee_mode 1
		.amdhsa_fp16_overflow 0
		.amdhsa_workgroup_processor_mode 1
		.amdhsa_memory_ordered 1
		.amdhsa_forward_progress 0
		.amdhsa_shared_vgpr_count 0
		.amdhsa_exception_fp_ieee_invalid_op 0
		.amdhsa_exception_fp_denorm_src 0
		.amdhsa_exception_fp_ieee_div_zero 0
		.amdhsa_exception_fp_ieee_overflow 0
		.amdhsa_exception_fp_ieee_underflow 0
		.amdhsa_exception_fp_ieee_inexact 0
		.amdhsa_exception_int_div_zero 0
	.end_amdhsa_kernel
	.section	.text._ZN2at6native12_GLOBAL__N_125multi_tensor_apply_kernelINS1_18TensorListMetadataILi2EEENS1_11CopyFunctorIbN3c1011Float8_e5m2ELi2ELi1ELi1EEEJNS0_4CopyIbS7_EEEEEvT_T0_DpT1_,"axG",@progbits,_ZN2at6native12_GLOBAL__N_125multi_tensor_apply_kernelINS1_18TensorListMetadataILi2EEENS1_11CopyFunctorIbN3c1011Float8_e5m2ELi2ELi1ELi1EEEJNS0_4CopyIbS7_EEEEEvT_T0_DpT1_,comdat
.Lfunc_end346:
	.size	_ZN2at6native12_GLOBAL__N_125multi_tensor_apply_kernelINS1_18TensorListMetadataILi2EEENS1_11CopyFunctorIbN3c1011Float8_e5m2ELi2ELi1ELi1EEEJNS0_4CopyIbS7_EEEEEvT_T0_DpT1_, .Lfunc_end346-_ZN2at6native12_GLOBAL__N_125multi_tensor_apply_kernelINS1_18TensorListMetadataILi2EEENS1_11CopyFunctorIbN3c1011Float8_e5m2ELi2ELi1ELi1EEEJNS0_4CopyIbS7_EEEEEvT_T0_DpT1_
                                        ; -- End function
	.section	.AMDGPU.csdata,"",@progbits
; Kernel info:
; codeLenInByte = 2080
; NumSgprs: 22
; NumVgprs: 37
; ScratchSize: 0
; MemoryBound: 0
; FloatMode: 240
; IeeeMode: 1
; LDSByteSize: 0 bytes/workgroup (compile time only)
; SGPRBlocks: 2
; VGPRBlocks: 4
; NumSGPRsForWavesPerEU: 22
; NumVGPRsForWavesPerEU: 37
; Occupancy: 16
; WaveLimiterHint : 0
; COMPUTE_PGM_RSRC2:SCRATCH_EN: 0
; COMPUTE_PGM_RSRC2:USER_SGPR: 15
; COMPUTE_PGM_RSRC2:TRAP_HANDLER: 0
; COMPUTE_PGM_RSRC2:TGID_X_EN: 1
; COMPUTE_PGM_RSRC2:TGID_Y_EN: 0
; COMPUTE_PGM_RSRC2:TGID_Z_EN: 0
; COMPUTE_PGM_RSRC2:TIDIG_COMP_CNT: 0
	.section	.text._ZN2at6native12_GLOBAL__N_125multi_tensor_apply_kernelINS1_18TensorListMetadataILi2EEENS1_11CopyFunctorIbN3c1015Float8_e5m2fnuzELi2ELi1ELi1EEEJNS0_4CopyIbS7_EEEEEvT_T0_DpT1_,"axG",@progbits,_ZN2at6native12_GLOBAL__N_125multi_tensor_apply_kernelINS1_18TensorListMetadataILi2EEENS1_11CopyFunctorIbN3c1015Float8_e5m2fnuzELi2ELi1ELi1EEEJNS0_4CopyIbS7_EEEEEvT_T0_DpT1_,comdat
	.globl	_ZN2at6native12_GLOBAL__N_125multi_tensor_apply_kernelINS1_18TensorListMetadataILi2EEENS1_11CopyFunctorIbN3c1015Float8_e5m2fnuzELi2ELi1ELi1EEEJNS0_4CopyIbS7_EEEEEvT_T0_DpT1_ ; -- Begin function _ZN2at6native12_GLOBAL__N_125multi_tensor_apply_kernelINS1_18TensorListMetadataILi2EEENS1_11CopyFunctorIbN3c1015Float8_e5m2fnuzELi2ELi1ELi1EEEJNS0_4CopyIbS7_EEEEEvT_T0_DpT1_
	.p2align	8
	.type	_ZN2at6native12_GLOBAL__N_125multi_tensor_apply_kernelINS1_18TensorListMetadataILi2EEENS1_11CopyFunctorIbN3c1015Float8_e5m2fnuzELi2ELi1ELi1EEEJNS0_4CopyIbS7_EEEEEvT_T0_DpT1_,@function
_ZN2at6native12_GLOBAL__N_125multi_tensor_apply_kernelINS1_18TensorListMetadataILi2EEENS1_11CopyFunctorIbN3c1015Float8_e5m2fnuzELi2ELi1ELi1EEEJNS0_4CopyIbS7_EEEEEvT_T0_DpT1_: ; @_ZN2at6native12_GLOBAL__N_125multi_tensor_apply_kernelINS1_18TensorListMetadataILi2EEENS1_11CopyFunctorIbN3c1015Float8_e5m2fnuzELi2ELi1ELi1EEEJNS0_4CopyIbS7_EEEEEvT_T0_DpT1_
; %bb.0:
	v_mov_b32_e32 v1, s15
	s_add_u32 s2, s0, s15
	s_mul_i32 s4, s15, 3
	s_addc_u32 s3, s1, 0
	s_mul_hi_u32 s5, s15, 3
	global_load_u8 v1, v1, s[0:1] offset:1536
	s_add_u32 s2, s2, s4
	s_addc_u32 s3, s3, s5
	s_load_b32 s2, s[2:3], 0x740
	s_waitcnt vmcnt(0)
	v_readfirstlane_b32 s4, v1
	s_delay_alu instid0(VALU_DEP_1)
	s_lshl_b32 s3, s4, 3
	s_clause 0x2
	s_load_b64 s[6:7], s[0:1], s3 offset:0x0
	s_load_b64 s[8:9], s[0:1], s3 offset:0x200
	;; [unrolled: 1-line block ×3, first 2 shown]
	s_waitcnt lgkmcnt(0)
	s_ashr_i32 s3, s2, 31
	s_delay_alu instid0(SALU_CYCLE_1) | instskip(NEXT) | instid1(SALU_CYCLE_1)
	s_lshl_b64 s[10:11], s[2:3], 16
	s_add_u32 s3, s6, s10
	s_addc_u32 s14, s7, s11
	s_add_u32 s12, s8, s10
	s_addc_u32 s13, s9, s11
	s_delay_alu instid0(SALU_CYCLE_1) | instskip(NEXT) | instid1(SALU_CYCLE_1)
	s_or_b64 s[16:17], s[4:5], s[12:13]
	s_or_b32 s2, s3, s16
	s_delay_alu instid0(SALU_CYCLE_1)
	s_and_b32 s2, s2, 3
	s_sub_u32 s4, s4, s10
	s_subb_u32 s5, s5, s11
	s_cmp_eq_u32 s2, 0
	s_mov_b32 s2, -1
	s_cbranch_scc0 .LBB347_37
; %bb.1:
	v_dual_mov_b32 v2, 0 :: v_dual_lshlrev_b32 v1, 2, v0
	s_mov_b32 s15, exec_lo
	s_delay_alu instid0(VALU_DEP_1)
	v_cmpx_gt_i64_e64 s[4:5], v[1:2]
	s_cbranch_execz .LBB347_36
; %bb.2:
	s_load_b32 s2, s[0:1], 0xc5c
	s_mov_b32 s17, 0
	s_waitcnt lgkmcnt(0)
	s_and_b32 s2, s2, 0xffff
	s_delay_alu instid0(SALU_CYCLE_1)
	s_lshl_b32 s16, s2, 2
	s_branch .LBB347_4
.LBB347_3:                              ;   in Loop: Header=BB347_4 Depth=1
	s_or_b32 exec_lo, exec_lo, s22
	v_cndmask_b32_e64 v3, 0, 1, s18
	v_cndmask_b32_e64 v4, 0, 1, s20
	;; [unrolled: 1-line block ×4, first 2 shown]
	s_delay_alu instid0(VALU_DEP_4)
	v_lshlrev_b16 v7, 8, v3
	v_add_co_u32 v3, vcc_lo, s12, v1
	v_lshlrev_b16 v8, 8, v4
	v_add_co_ci_u32_e32 v4, vcc_lo, s13, v2, vcc_lo
	v_add_co_u32 v1, vcc_lo, s16, v1
	v_add_co_ci_u32_e32 v2, vcc_lo, 0, v2, vcc_lo
	v_or_b32_e32 v5, v5, v7
	v_or_b32_e32 v6, v6, v8
	s_delay_alu instid0(VALU_DEP_3) | instskip(SKIP_1) | instid1(VALU_DEP_4)
	v_cmp_le_i64_e32 vcc_lo, s[4:5], v[1:2]
	v_cmp_lt_u64_e64 s2, 0xffff, v[1:2]
	v_and_b32_e32 v5, 0xffff, v5
	s_delay_alu instid0(VALU_DEP_4) | instskip(NEXT) | instid1(VALU_DEP_3)
	v_lshlrev_b32_e32 v6, 16, v6
	s_or_b32 s2, vcc_lo, s2
	s_delay_alu instid0(VALU_DEP_1) | instskip(SKIP_1) | instid1(SALU_CYCLE_1)
	v_or_b32_e32 v5, v5, v6
	s_and_b32 s2, exec_lo, s2
	s_or_b32 s17, s2, s17
	global_store_b32 v[3:4], v5, off
	s_and_not1_b32 exec_lo, exec_lo, s17
	s_cbranch_execz .LBB347_36
.LBB347_4:                              ; =>This Inner Loop Header: Depth=1
	v_add_co_u32 v3, vcc_lo, s3, v1
	v_add_co_ci_u32_e32 v4, vcc_lo, s14, v2, vcc_lo
	s_mov_b32 s18, 0
	s_mov_b32 s19, exec_lo
                                        ; implicit-def: $sgpr2
	global_load_b32 v3, v[3:4], off
	s_waitcnt vmcnt(0)
	v_and_b32_e32 v4, 0xff, v3
	s_delay_alu instid0(VALU_DEP_1)
	v_cmpx_lt_i16_e32 0x7f, v4
	s_xor_b32 s19, exec_lo, s19
	s_cbranch_execnz .LBB347_19
; %bb.5:                                ;   in Loop: Header=BB347_4 Depth=1
	s_and_not1_saveexec_b32 s19, s19
	s_cbranch_execnz .LBB347_22
.LBB347_6:                              ;   in Loop: Header=BB347_4 Depth=1
	s_or_b32 exec_lo, exec_lo, s19
	s_and_saveexec_b32 s19, s18
	s_cbranch_execz .LBB347_8
.LBB347_7:                              ;   in Loop: Header=BB347_4 Depth=1
	v_bfe_u32 v7, v3, 2, 5
	s_and_not1_b32 s2, s2, exec_lo
	s_delay_alu instid0(VALU_DEP_1) | instskip(SKIP_1) | instid1(VALU_DEP_1)
	v_cmp_eq_u32_e32 vcc_lo, 0, v7
	v_and_b32_e32 v4, 3, v3
	v_clz_i32_u32_e32 v5, v4
	s_delay_alu instid0(VALU_DEP_1) | instskip(NEXT) | instid1(VALU_DEP_1)
	v_min_u32_e32 v5, 32, v5
	v_subrev_nc_u32_e32 v6, 29, v5
	v_sub_nc_u32_e32 v5, 30, v5
	s_delay_alu instid0(VALU_DEP_1) | instskip(NEXT) | instid1(VALU_DEP_1)
	v_dual_cndmask_b32 v5, v7, v5 :: v_dual_lshlrev_b32 v6, v6, v3
	v_and_b32_e32 v6, 3, v6
	s_delay_alu instid0(VALU_DEP_2) | instskip(NEXT) | instid1(VALU_DEP_2)
	v_lshl_add_u32 v5, v5, 23, 0x37800000
	v_cndmask_b32_e32 v4, v4, v6, vcc_lo
	s_delay_alu instid0(VALU_DEP_1) | instskip(NEXT) | instid1(VALU_DEP_1)
	v_lshlrev_b32_e32 v4, 21, v4
	v_and_or_b32 v4, 0x7f800000, v5, v4
	s_delay_alu instid0(VALU_DEP_1) | instskip(SKIP_1) | instid1(SALU_CYCLE_1)
	v_cmp_ne_u32_e32 vcc_lo, 0, v4
	s_and_b32 s18, vcc_lo, exec_lo
	s_or_b32 s2, s2, s18
.LBB347_8:                              ;   in Loop: Header=BB347_4 Depth=1
	s_or_b32 exec_lo, exec_lo, s19
	v_lshrrev_b32_e32 v4, 8, v3
	s_mov_b32 s19, 0
	s_mov_b32 s20, exec_lo
                                        ; implicit-def: $sgpr18
	s_delay_alu instid0(VALU_DEP_1) | instskip(NEXT) | instid1(VALU_DEP_1)
	v_and_b32_e32 v5, 0xff, v4
	v_cmpx_lt_i16_e32 0x7f, v5
	s_xor_b32 s20, exec_lo, s20
	s_cbranch_execnz .LBB347_23
; %bb.9:                                ;   in Loop: Header=BB347_4 Depth=1
	s_and_not1_saveexec_b32 s20, s20
	s_cbranch_execnz .LBB347_26
.LBB347_10:                             ;   in Loop: Header=BB347_4 Depth=1
	s_or_b32 exec_lo, exec_lo, s20
	s_and_saveexec_b32 s20, s19
	s_cbranch_execz .LBB347_12
.LBB347_11:                             ;   in Loop: Header=BB347_4 Depth=1
	v_bfe_u32 v5, v3, 8, 2
	s_and_not1_b32 s18, s18, exec_lo
	s_delay_alu instid0(VALU_DEP_1) | instskip(NEXT) | instid1(VALU_DEP_1)
	v_clz_i32_u32_e32 v6, v5
	v_min_u32_e32 v6, 32, v6
	s_delay_alu instid0(VALU_DEP_1) | instskip(SKIP_1) | instid1(VALU_DEP_2)
	v_subrev_nc_u32_e32 v7, 29, v6
	v_sub_nc_u32_e32 v6, 30, v6
	v_lshlrev_b32_e32 v4, v7, v4
	v_bfe_u32 v7, v3, 10, 5
	s_delay_alu instid0(VALU_DEP_2) | instskip(NEXT) | instid1(VALU_DEP_2)
	v_and_b32_e32 v4, 3, v4
	v_cmp_eq_u32_e32 vcc_lo, 0, v7
	v_cndmask_b32_e32 v6, v7, v6, vcc_lo
	s_delay_alu instid0(VALU_DEP_3) | instskip(NEXT) | instid1(VALU_DEP_2)
	v_cndmask_b32_e32 v4, v5, v4, vcc_lo
	v_lshl_add_u32 v5, v6, 23, 0x37800000
	s_delay_alu instid0(VALU_DEP_2) | instskip(NEXT) | instid1(VALU_DEP_1)
	v_lshlrev_b32_e32 v4, 21, v4
	v_and_or_b32 v4, 0x7f800000, v5, v4
	s_delay_alu instid0(VALU_DEP_1) | instskip(SKIP_1) | instid1(SALU_CYCLE_1)
	v_cmp_ne_u32_e32 vcc_lo, 0, v4
	s_and_b32 s19, vcc_lo, exec_lo
	s_or_b32 s18, s18, s19
.LBB347_12:                             ;   in Loop: Header=BB347_4 Depth=1
	s_or_b32 exec_lo, exec_lo, s20
	v_lshrrev_b32_e32 v4, 16, v3
	s_mov_b32 s20, 0
	s_mov_b32 s21, exec_lo
                                        ; implicit-def: $sgpr19
	s_delay_alu instid0(VALU_DEP_1) | instskip(NEXT) | instid1(VALU_DEP_1)
	v_and_b32_e32 v5, 0xff, v4
	v_cmpx_lt_i16_e32 0x7f, v5
	s_xor_b32 s21, exec_lo, s21
	s_cbranch_execnz .LBB347_27
; %bb.13:                               ;   in Loop: Header=BB347_4 Depth=1
	s_and_not1_saveexec_b32 s21, s21
	s_cbranch_execnz .LBB347_30
.LBB347_14:                             ;   in Loop: Header=BB347_4 Depth=1
	s_or_b32 exec_lo, exec_lo, s21
	s_and_saveexec_b32 s21, s20
	s_cbranch_execz .LBB347_16
.LBB347_15:                             ;   in Loop: Header=BB347_4 Depth=1
	v_bfe_u32 v5, v3, 16, 2
	s_and_not1_b32 s19, s19, exec_lo
	s_delay_alu instid0(VALU_DEP_1) | instskip(NEXT) | instid1(VALU_DEP_1)
	v_clz_i32_u32_e32 v6, v5
	v_min_u32_e32 v6, 32, v6
	s_delay_alu instid0(VALU_DEP_1) | instskip(SKIP_1) | instid1(VALU_DEP_2)
	v_subrev_nc_u32_e32 v7, 29, v6
	v_sub_nc_u32_e32 v6, 30, v6
	v_lshlrev_b32_e32 v4, v7, v4
	v_bfe_u32 v7, v3, 18, 5
	s_delay_alu instid0(VALU_DEP_2) | instskip(NEXT) | instid1(VALU_DEP_2)
	v_and_b32_e32 v4, 3, v4
	v_cmp_eq_u32_e32 vcc_lo, 0, v7
	v_cndmask_b32_e32 v6, v7, v6, vcc_lo
	s_delay_alu instid0(VALU_DEP_3) | instskip(NEXT) | instid1(VALU_DEP_2)
	v_cndmask_b32_e32 v4, v5, v4, vcc_lo
	v_lshl_add_u32 v5, v6, 23, 0x37800000
	s_delay_alu instid0(VALU_DEP_2) | instskip(NEXT) | instid1(VALU_DEP_1)
	v_lshlrev_b32_e32 v4, 21, v4
	v_and_or_b32 v4, 0x7f800000, v5, v4
	s_delay_alu instid0(VALU_DEP_1) | instskip(SKIP_1) | instid1(SALU_CYCLE_1)
	v_cmp_ne_u32_e32 vcc_lo, 0, v4
	s_and_b32 s20, vcc_lo, exec_lo
	s_or_b32 s19, s19, s20
.LBB347_16:                             ;   in Loop: Header=BB347_4 Depth=1
	s_or_b32 exec_lo, exec_lo, s21
	v_lshrrev_b32_e32 v4, 24, v3
	s_mov_b32 s21, 0
	s_mov_b32 s22, exec_lo
                                        ; implicit-def: $sgpr20
	s_delay_alu instid0(VALU_DEP_1)
	v_cmpx_lt_i16_e32 0x7f, v4
	s_xor_b32 s22, exec_lo, s22
	s_cbranch_execnz .LBB347_31
; %bb.17:                               ;   in Loop: Header=BB347_4 Depth=1
	s_and_not1_saveexec_b32 s22, s22
	s_cbranch_execnz .LBB347_34
.LBB347_18:                             ;   in Loop: Header=BB347_4 Depth=1
	s_or_b32 exec_lo, exec_lo, s22
	s_and_saveexec_b32 s22, s21
	s_cbranch_execz .LBB347_3
	s_branch .LBB347_35
.LBB347_19:                             ;   in Loop: Header=BB347_4 Depth=1
	s_mov_b32 s18, -1
	s_mov_b32 s20, exec_lo
                                        ; implicit-def: $sgpr2
	v_cmpx_eq_u16_e32 0x80, v4
; %bb.20:                               ;   in Loop: Header=BB347_4 Depth=1
	s_mov_b32 s2, -1
	s_xor_b32 s18, exec_lo, -1
; %bb.21:                               ;   in Loop: Header=BB347_4 Depth=1
	s_or_b32 exec_lo, exec_lo, s20
	s_delay_alu instid0(SALU_CYCLE_1)
	s_and_b32 s18, s18, exec_lo
                                        ; implicit-def: $vgpr4
	s_and_not1_saveexec_b32 s19, s19
	s_cbranch_execz .LBB347_6
.LBB347_22:                             ;   in Loop: Header=BB347_4 Depth=1
	v_cmp_ne_u16_e32 vcc_lo, 0, v4
	s_and_not1_b32 s18, s18, exec_lo
	s_and_not1_b32 s2, s2, exec_lo
	s_and_b32 s20, vcc_lo, exec_lo
	s_delay_alu instid0(SALU_CYCLE_1)
	s_or_b32 s18, s18, s20
	s_or_b32 exec_lo, exec_lo, s19
	s_and_saveexec_b32 s19, s18
	s_cbranch_execnz .LBB347_7
	s_branch .LBB347_8
.LBB347_23:                             ;   in Loop: Header=BB347_4 Depth=1
	s_mov_b32 s19, -1
	s_mov_b32 s21, exec_lo
                                        ; implicit-def: $sgpr18
	v_cmpx_eq_u16_e32 0x80, v5
; %bb.24:                               ;   in Loop: Header=BB347_4 Depth=1
	s_mov_b32 s18, -1
	s_xor_b32 s19, exec_lo, -1
; %bb.25:                               ;   in Loop: Header=BB347_4 Depth=1
	s_or_b32 exec_lo, exec_lo, s21
	s_delay_alu instid0(SALU_CYCLE_1)
	s_and_b32 s19, s19, exec_lo
                                        ; implicit-def: $vgpr5
	s_and_not1_saveexec_b32 s20, s20
	s_cbranch_execz .LBB347_10
.LBB347_26:                             ;   in Loop: Header=BB347_4 Depth=1
	v_cmp_ne_u16_e32 vcc_lo, 0, v5
	s_and_not1_b32 s19, s19, exec_lo
	s_and_not1_b32 s18, s18, exec_lo
	s_and_b32 s21, vcc_lo, exec_lo
	s_delay_alu instid0(SALU_CYCLE_1)
	s_or_b32 s19, s19, s21
	s_or_b32 exec_lo, exec_lo, s20
	s_and_saveexec_b32 s20, s19
	s_cbranch_execnz .LBB347_11
	s_branch .LBB347_12
.LBB347_27:                             ;   in Loop: Header=BB347_4 Depth=1
	s_mov_b32 s20, -1
	s_mov_b32 s22, exec_lo
                                        ; implicit-def: $sgpr19
	v_cmpx_eq_u16_e32 0x80, v5
; %bb.28:                               ;   in Loop: Header=BB347_4 Depth=1
	s_mov_b32 s19, -1
	s_xor_b32 s20, exec_lo, -1
; %bb.29:                               ;   in Loop: Header=BB347_4 Depth=1
	s_or_b32 exec_lo, exec_lo, s22
	s_delay_alu instid0(SALU_CYCLE_1)
	s_and_b32 s20, s20, exec_lo
                                        ; implicit-def: $vgpr5
	s_and_not1_saveexec_b32 s21, s21
	s_cbranch_execz .LBB347_14
.LBB347_30:                             ;   in Loop: Header=BB347_4 Depth=1
	v_cmp_ne_u16_e32 vcc_lo, 0, v5
	s_and_not1_b32 s20, s20, exec_lo
	s_and_not1_b32 s19, s19, exec_lo
	s_and_b32 s22, vcc_lo, exec_lo
	s_delay_alu instid0(SALU_CYCLE_1)
	s_or_b32 s20, s20, s22
	s_or_b32 exec_lo, exec_lo, s21
	s_and_saveexec_b32 s21, s20
	s_cbranch_execnz .LBB347_15
	s_branch .LBB347_16
.LBB347_31:                             ;   in Loop: Header=BB347_4 Depth=1
	s_mov_b32 s21, -1
	s_mov_b32 s23, exec_lo
                                        ; implicit-def: $sgpr20
	v_cmpx_eq_u16_e32 0x80, v4
; %bb.32:                               ;   in Loop: Header=BB347_4 Depth=1
	s_mov_b32 s20, -1
	s_xor_b32 s21, exec_lo, -1
; %bb.33:                               ;   in Loop: Header=BB347_4 Depth=1
	s_or_b32 exec_lo, exec_lo, s23
	s_delay_alu instid0(SALU_CYCLE_1)
	s_and_b32 s21, s21, exec_lo
	s_and_not1_saveexec_b32 s22, s22
	s_cbranch_execz .LBB347_18
.LBB347_34:                             ;   in Loop: Header=BB347_4 Depth=1
	v_cmp_ne_u16_e32 vcc_lo, 0, v4
	s_and_not1_b32 s21, s21, exec_lo
	s_and_not1_b32 s20, s20, exec_lo
	s_and_b32 s23, vcc_lo, exec_lo
	s_delay_alu instid0(SALU_CYCLE_1)
	s_or_b32 s21, s21, s23
	s_or_b32 exec_lo, exec_lo, s22
	s_and_saveexec_b32 s22, s21
	s_cbranch_execz .LBB347_3
.LBB347_35:                             ;   in Loop: Header=BB347_4 Depth=1
	v_bfe_u32 v5, v3, 24, 2
	v_bfe_u32 v3, v3, 26, 5
	s_and_not1_b32 s20, s20, exec_lo
	s_delay_alu instid0(VALU_DEP_2) | instskip(NEXT) | instid1(VALU_DEP_2)
	v_clz_i32_u32_e32 v6, v5
	v_cmp_eq_u32_e32 vcc_lo, 0, v3
	s_delay_alu instid0(VALU_DEP_2) | instskip(NEXT) | instid1(VALU_DEP_1)
	v_min_u32_e32 v6, 32, v6
	v_subrev_nc_u32_e32 v7, 29, v6
	v_sub_nc_u32_e32 v6, 30, v6
	s_delay_alu instid0(VALU_DEP_2) | instskip(NEXT) | instid1(VALU_DEP_1)
	v_lshlrev_b32_e32 v4, v7, v4
	v_dual_cndmask_b32 v3, v3, v6 :: v_dual_and_b32 v4, 3, v4
	s_delay_alu instid0(VALU_DEP_1) | instskip(NEXT) | instid1(VALU_DEP_2)
	v_lshl_add_u32 v3, v3, 23, 0x37800000
	v_cndmask_b32_e32 v4, v5, v4, vcc_lo
	s_delay_alu instid0(VALU_DEP_1) | instskip(NEXT) | instid1(VALU_DEP_1)
	v_lshlrev_b32_e32 v4, 21, v4
	v_and_or_b32 v3, 0x7f800000, v3, v4
	s_delay_alu instid0(VALU_DEP_1) | instskip(SKIP_1) | instid1(SALU_CYCLE_1)
	v_cmp_ne_u32_e32 vcc_lo, 0, v3
	s_and_b32 s21, vcc_lo, exec_lo
	s_or_b32 s20, s20, s21
	s_branch .LBB347_3
.LBB347_36:
	s_or_b32 exec_lo, exec_lo, s15
	s_mov_b32 s2, 0
.LBB347_37:
	s_delay_alu instid0(SALU_CYCLE_1)
	s_and_not1_b32 vcc_lo, exec_lo, s2
	s_cbranch_vccnz .LBB347_89
; %bb.38:
	v_cmp_lt_i64_e64 s2, s[4:5], 1
	s_delay_alu instid0(VALU_DEP_1)
	s_and_b32 vcc_lo, exec_lo, s2
	s_cbranch_vccnz .LBB347_89
; %bb.39:
	s_load_b32 s0, s[0:1], 0xc5c
	v_add_co_u32 v1, s1, s10, v0
	s_delay_alu instid0(VALU_DEP_1) | instskip(SKIP_1) | instid1(VALU_DEP_3)
	v_add_co_ci_u32_e64 v2, null, s11, 0, s1
	v_cmp_gt_u64_e64 s1, 0x10000, s[4:5]
	v_add_co_u32 v9, vcc_lo, s6, v1
	s_delay_alu instid0(VALU_DEP_3)
	v_add_co_ci_u32_e32 v10, vcc_lo, s7, v2, vcc_lo
	v_add_co_u32 v11, vcc_lo, s8, v1
	v_add_co_ci_u32_e32 v12, vcc_lo, s9, v2, vcc_lo
                                        ; implicit-def: $vgpr31
                                        ; implicit-def: $vgpr32
                                        ; implicit-def: $vgpr33
                                        ; implicit-def: $vgpr34
	s_waitcnt lgkmcnt(0)
	s_and_b32 s0, s0, 0xffff
	s_and_b32 s1, s1, exec_lo
	s_mul_i32 s13, s0, 3
	s_cselect_b32 s3, s5, 0
	s_cselect_b32 s2, s4, 0x10000
	s_lshl_b32 s12, s0, 1
	s_lshl_b32 s1, s0, 2
	s_add_u32 s14, s10, s13
	s_addc_u32 s15, s11, 0
	v_add_co_u32 v3, s14, s14, v0
	s_delay_alu instid0(VALU_DEP_1) | instskip(SKIP_1) | instid1(VALU_DEP_2)
	v_add_co_ci_u32_e64 v4, null, s15, 0, s14
	s_add_u32 s10, s10, s12
	v_add_co_u32 v13, vcc_lo, s6, v3
	s_delay_alu instid0(VALU_DEP_2)
	v_add_co_ci_u32_e32 v14, vcc_lo, s7, v4, vcc_lo
	v_add_co_u32 v15, vcc_lo, s8, v3
	s_addc_u32 s11, s11, 0
	v_add_co_u32 v3, s10, s10, v0
	v_add_co_ci_u32_e32 v16, vcc_lo, s9, v4, vcc_lo
	v_add_co_ci_u32_e64 v4, null, s11, 0, s10
	s_delay_alu instid0(VALU_DEP_3) | instskip(SKIP_1) | instid1(VALU_DEP_3)
	v_add_co_u32 v19, vcc_lo, s6, v3
	v_add_co_u32 v17, s10, s13, v0
	v_add_co_ci_u32_e32 v20, vcc_lo, s7, v4, vcc_lo
	v_add_co_u32 v21, vcc_lo, s8, v3
	v_add_co_ci_u32_e32 v22, vcc_lo, s9, v4, vcc_lo
	v_add_co_u32 v1, vcc_lo, v1, s0
	v_add_co_ci_u32_e32 v2, vcc_lo, 0, v2, vcc_lo
	v_add_co_ci_u32_e64 v18, null, 0, 0, s10
	s_delay_alu instid0(VALU_DEP_3) | instskip(NEXT) | instid1(VALU_DEP_3)
	v_add_co_u32 v25, vcc_lo, s6, v1
	v_add_co_ci_u32_e32 v26, vcc_lo, s7, v2, vcc_lo
	v_add_co_u32 v23, s10, s12, v0
	v_add_co_u32 v27, vcc_lo, s8, v1
	v_add_co_u32 v29, s0, v0, s0
	v_add_co_ci_u32_e64 v24, null, 0, 0, s10
	v_add_co_ci_u32_e32 v28, vcc_lo, s9, v2, vcc_lo
	v_add_co_ci_u32_e64 v30, null, 0, 0, s0
	s_mov_b64 s[6:7], 0
	s_branch .LBB347_41
.LBB347_40:                             ;   in Loop: Header=BB347_41 Depth=1
	s_or_b32 exec_lo, exec_lo, s0
	s_add_u32 s6, s6, s1
	s_addc_u32 s7, s7, 0
	s_delay_alu instid0(SALU_CYCLE_1) | instskip(SKIP_1) | instid1(VALU_DEP_1)
	v_cmp_ge_i64_e64 s0, s[6:7], s[4:5]
	v_cmp_lt_u64_e64 s8, 0xffff, s[6:7]
	s_or_b32 s0, s0, s8
	s_delay_alu instid0(SALU_CYCLE_1)
	s_and_b32 vcc_lo, exec_lo, s0
	s_cbranch_vccnz .LBB347_89
.LBB347_41:                             ; =>This Inner Loop Header: Depth=1
	v_add_co_u32 v1, s0, v0, s6
	s_delay_alu instid0(VALU_DEP_1) | instskip(NEXT) | instid1(VALU_DEP_1)
	v_add_co_ci_u32_e64 v2, null, 0, s7, s0
	v_cmp_gt_i64_e32 vcc_lo, s[4:5], v[1:2]
	v_cmp_gt_u64_e64 s0, 0x10000, v[1:2]
	s_delay_alu instid0(VALU_DEP_1) | instskip(NEXT) | instid1(SALU_CYCLE_1)
	s_and_b32 s8, vcc_lo, s0
	s_and_saveexec_b32 s0, s8
	s_cbranch_execz .LBB347_43
; %bb.42:                               ;   in Loop: Header=BB347_41 Depth=1
	v_add_co_u32 v3, vcc_lo, v9, s6
	v_add_co_ci_u32_e32 v4, vcc_lo, s7, v10, vcc_lo
	global_load_u8 v34, v[3:4], off
.LBB347_43:                             ;   in Loop: Header=BB347_41 Depth=1
	s_or_b32 exec_lo, exec_lo, s0
	v_add_co_u32 v3, vcc_lo, v29, s6
	v_add_co_ci_u32_e32 v4, vcc_lo, s7, v30, vcc_lo
	s_delay_alu instid0(VALU_DEP_1) | instskip(SKIP_1) | instid1(VALU_DEP_1)
	v_cmp_gt_i64_e32 vcc_lo, s[4:5], v[3:4]
	v_cmp_gt_u64_e64 s0, 0x10000, v[3:4]
	s_and_b32 s8, vcc_lo, s0
	s_delay_alu instid0(SALU_CYCLE_1)
	s_and_saveexec_b32 s0, s8
	s_cbranch_execz .LBB347_45
; %bb.44:                               ;   in Loop: Header=BB347_41 Depth=1
	v_add_co_u32 v5, vcc_lo, v25, s6
	v_add_co_ci_u32_e32 v6, vcc_lo, s7, v26, vcc_lo
	global_load_u8 v33, v[5:6], off
.LBB347_45:                             ;   in Loop: Header=BB347_41 Depth=1
	s_or_b32 exec_lo, exec_lo, s0
	v_add_co_u32 v5, vcc_lo, v23, s6
	v_add_co_ci_u32_e32 v6, vcc_lo, s7, v24, vcc_lo
	s_delay_alu instid0(VALU_DEP_1) | instskip(SKIP_1) | instid1(VALU_DEP_1)
	v_cmp_gt_i64_e32 vcc_lo, s[4:5], v[5:6]
	v_cmp_gt_u64_e64 s0, 0x10000, v[5:6]
	s_and_b32 s8, vcc_lo, s0
	s_delay_alu instid0(SALU_CYCLE_1)
	;; [unrolled: 15-line block ×3, first 2 shown]
	s_and_saveexec_b32 s0, s8
	s_cbranch_execz .LBB347_49
; %bb.48:                               ;   in Loop: Header=BB347_41 Depth=1
	v_add_co_u32 v35, vcc_lo, v13, s6
	v_add_co_ci_u32_e32 v36, vcc_lo, s7, v14, vcc_lo
	global_load_u8 v31, v[35:36], off
.LBB347_49:                             ;   in Loop: Header=BB347_41 Depth=1
	s_or_b32 exec_lo, exec_lo, s0
	s_waitcnt vmcnt(0)
	v_and_b32_e32 v35, 0xff, v34
	s_mov_b32 s8, 0
	s_mov_b32 s9, exec_lo
                                        ; implicit-def: $sgpr0
	s_delay_alu instid0(VALU_DEP_1)
	v_cmpx_lt_i16_e32 0x7f, v35
	s_xor_b32 s9, exec_lo, s9
	s_cbranch_execnz .LBB347_69
; %bb.50:                               ;   in Loop: Header=BB347_41 Depth=1
	s_and_not1_saveexec_b32 s9, s9
	s_cbranch_execnz .LBB347_72
.LBB347_51:                             ;   in Loop: Header=BB347_41 Depth=1
	s_or_b32 exec_lo, exec_lo, s9
	s_and_saveexec_b32 s9, s8
	s_cbranch_execz .LBB347_53
.LBB347_52:                             ;   in Loop: Header=BB347_41 Depth=1
	v_lshrrev_b16 v38, 2, v34
	s_and_not1_b32 s0, s0, exec_lo
	s_delay_alu instid0(VALU_DEP_1) | instskip(NEXT) | instid1(VALU_DEP_1)
	v_and_b32_e32 v38, 31, v38
	v_cmp_eq_u32_e32 vcc_lo, 0, v38
	v_and_b32_e32 v35, 3, v34
	s_delay_alu instid0(VALU_DEP_1) | instskip(NEXT) | instid1(VALU_DEP_1)
	v_clz_i32_u32_e32 v36, v35
	v_min_u32_e32 v36, 32, v36
	s_delay_alu instid0(VALU_DEP_1) | instskip(SKIP_1) | instid1(VALU_DEP_1)
	v_subrev_nc_u32_e32 v37, 29, v36
	v_sub_nc_u32_e32 v36, 30, v36
	v_dual_cndmask_b32 v36, v38, v36 :: v_dual_lshlrev_b32 v37, v37, v34
	s_delay_alu instid0(VALU_DEP_1) | instskip(NEXT) | instid1(VALU_DEP_2)
	v_and_b32_e32 v37, 3, v37
	v_lshl_add_u32 v36, v36, 23, 0x37800000
	s_delay_alu instid0(VALU_DEP_2) | instskip(NEXT) | instid1(VALU_DEP_1)
	v_cndmask_b32_e32 v35, v35, v37, vcc_lo
	v_lshlrev_b32_e32 v35, 21, v35
	s_delay_alu instid0(VALU_DEP_1) | instskip(NEXT) | instid1(VALU_DEP_1)
	v_and_or_b32 v35, 0x7f800000, v36, v35
	v_cmp_ne_u32_e32 vcc_lo, 0, v35
	s_and_b32 s8, vcc_lo, exec_lo
	s_delay_alu instid0(SALU_CYCLE_1)
	s_or_b32 s0, s0, s8
.LBB347_53:                             ;   in Loop: Header=BB347_41 Depth=1
	s_or_b32 exec_lo, exec_lo, s9
	v_and_b32_e32 v35, 0xff, v33
	s_mov_b32 s9, 0
	s_mov_b32 s10, exec_lo
                                        ; implicit-def: $sgpr8
	s_delay_alu instid0(VALU_DEP_1)
	v_cmpx_lt_i16_e32 0x7f, v35
	s_xor_b32 s10, exec_lo, s10
	s_cbranch_execnz .LBB347_73
; %bb.54:                               ;   in Loop: Header=BB347_41 Depth=1
	s_and_not1_saveexec_b32 s10, s10
	s_cbranch_execnz .LBB347_76
.LBB347_55:                             ;   in Loop: Header=BB347_41 Depth=1
	s_or_b32 exec_lo, exec_lo, s10
	s_and_saveexec_b32 s10, s9
	s_cbranch_execz .LBB347_57
.LBB347_56:                             ;   in Loop: Header=BB347_41 Depth=1
	v_lshrrev_b16 v38, 2, v33
	s_and_not1_b32 s8, s8, exec_lo
	s_delay_alu instid0(VALU_DEP_1) | instskip(NEXT) | instid1(VALU_DEP_1)
	v_and_b32_e32 v38, 31, v38
	v_cmp_eq_u32_e32 vcc_lo, 0, v38
	v_and_b32_e32 v35, 3, v33
	s_delay_alu instid0(VALU_DEP_1) | instskip(NEXT) | instid1(VALU_DEP_1)
	v_clz_i32_u32_e32 v36, v35
	v_min_u32_e32 v36, 32, v36
	s_delay_alu instid0(VALU_DEP_1) | instskip(SKIP_1) | instid1(VALU_DEP_1)
	v_subrev_nc_u32_e32 v37, 29, v36
	v_sub_nc_u32_e32 v36, 30, v36
	v_dual_cndmask_b32 v36, v38, v36 :: v_dual_lshlrev_b32 v37, v37, v33
	s_delay_alu instid0(VALU_DEP_1) | instskip(NEXT) | instid1(VALU_DEP_2)
	v_and_b32_e32 v37, 3, v37
	v_lshl_add_u32 v36, v36, 23, 0x37800000
	s_delay_alu instid0(VALU_DEP_2) | instskip(NEXT) | instid1(VALU_DEP_1)
	v_cndmask_b32_e32 v35, v35, v37, vcc_lo
	v_lshlrev_b32_e32 v35, 21, v35
	s_delay_alu instid0(VALU_DEP_1) | instskip(NEXT) | instid1(VALU_DEP_1)
	v_and_or_b32 v35, 0x7f800000, v36, v35
	v_cmp_ne_u32_e32 vcc_lo, 0, v35
	s_and_b32 s9, vcc_lo, exec_lo
	s_delay_alu instid0(SALU_CYCLE_1)
	s_or_b32 s8, s8, s9
.LBB347_57:                             ;   in Loop: Header=BB347_41 Depth=1
	s_or_b32 exec_lo, exec_lo, s10
	v_and_b32_e32 v35, 0xff, v32
	s_mov_b32 s10, 0
	s_mov_b32 s11, exec_lo
                                        ; implicit-def: $sgpr9
	s_delay_alu instid0(VALU_DEP_1)
	v_cmpx_lt_i16_e32 0x7f, v35
	s_xor_b32 s11, exec_lo, s11
	s_cbranch_execnz .LBB347_77
; %bb.58:                               ;   in Loop: Header=BB347_41 Depth=1
	s_and_not1_saveexec_b32 s11, s11
	s_cbranch_execnz .LBB347_80
.LBB347_59:                             ;   in Loop: Header=BB347_41 Depth=1
	s_or_b32 exec_lo, exec_lo, s11
	s_and_saveexec_b32 s11, s10
	s_cbranch_execz .LBB347_61
.LBB347_60:                             ;   in Loop: Header=BB347_41 Depth=1
	v_and_b32_e32 v35, 3, v32
	v_lshrrev_b16 v38, 2, v32
	s_and_not1_b32 s9, s9, exec_lo
	s_delay_alu instid0(VALU_DEP_2) | instskip(NEXT) | instid1(VALU_DEP_1)
	v_clz_i32_u32_e32 v36, v35
	v_min_u32_e32 v36, 32, v36
	s_delay_alu instid0(VALU_DEP_1) | instskip(SKIP_1) | instid1(VALU_DEP_2)
	v_subrev_nc_u32_e32 v37, 29, v36
	v_sub_nc_u32_e32 v36, 30, v36
	v_lshlrev_b32_e32 v37, v37, v32
	s_delay_alu instid0(VALU_DEP_1) | instskip(SKIP_1) | instid1(VALU_DEP_1)
	v_and_b32_e32 v37, 3, v37
	v_and_b32_e32 v38, 31, v38
	v_cmp_eq_u32_e32 vcc_lo, 0, v38
	s_delay_alu instid0(VALU_DEP_3) | instskip(NEXT) | instid1(VALU_DEP_1)
	v_dual_cndmask_b32 v35, v35, v37 :: v_dual_cndmask_b32 v36, v38, v36
	v_lshlrev_b32_e32 v35, 21, v35
	s_delay_alu instid0(VALU_DEP_2) | instskip(NEXT) | instid1(VALU_DEP_1)
	v_lshl_add_u32 v36, v36, 23, 0x37800000
	v_and_or_b32 v35, 0x7f800000, v36, v35
	s_delay_alu instid0(VALU_DEP_1) | instskip(SKIP_1) | instid1(SALU_CYCLE_1)
	v_cmp_ne_u32_e32 vcc_lo, 0, v35
	s_and_b32 s10, vcc_lo, exec_lo
	s_or_b32 s9, s9, s10
.LBB347_61:                             ;   in Loop: Header=BB347_41 Depth=1
	s_or_b32 exec_lo, exec_lo, s11
	v_and_b32_e32 v35, 0xff, v31
	s_mov_b32 s11, 0
	s_mov_b32 s12, exec_lo
                                        ; implicit-def: $sgpr10
	s_delay_alu instid0(VALU_DEP_1)
	v_cmpx_lt_i16_e32 0x7f, v35
	s_xor_b32 s12, exec_lo, s12
	s_cbranch_execnz .LBB347_81
; %bb.62:                               ;   in Loop: Header=BB347_41 Depth=1
	s_and_not1_saveexec_b32 s12, s12
	s_cbranch_execnz .LBB347_84
.LBB347_63:                             ;   in Loop: Header=BB347_41 Depth=1
	s_or_b32 exec_lo, exec_lo, s12
	s_and_saveexec_b32 s12, s11
	s_cbranch_execz .LBB347_65
.LBB347_64:                             ;   in Loop: Header=BB347_41 Depth=1
	v_lshrrev_b16 v38, 2, v31
	s_and_not1_b32 s10, s10, exec_lo
	s_delay_alu instid0(VALU_DEP_1) | instskip(NEXT) | instid1(VALU_DEP_1)
	v_and_b32_e32 v38, 31, v38
	v_cmp_eq_u32_e32 vcc_lo, 0, v38
	v_and_b32_e32 v35, 3, v31
	s_delay_alu instid0(VALU_DEP_1) | instskip(NEXT) | instid1(VALU_DEP_1)
	v_clz_i32_u32_e32 v36, v35
	v_min_u32_e32 v36, 32, v36
	s_delay_alu instid0(VALU_DEP_1) | instskip(SKIP_1) | instid1(VALU_DEP_1)
	v_subrev_nc_u32_e32 v37, 29, v36
	v_sub_nc_u32_e32 v36, 30, v36
	v_dual_cndmask_b32 v36, v38, v36 :: v_dual_lshlrev_b32 v37, v37, v31
	s_delay_alu instid0(VALU_DEP_1) | instskip(NEXT) | instid1(VALU_DEP_2)
	v_and_b32_e32 v37, 3, v37
	v_lshl_add_u32 v36, v36, 23, 0x37800000
	s_delay_alu instid0(VALU_DEP_2) | instskip(NEXT) | instid1(VALU_DEP_1)
	v_cndmask_b32_e32 v35, v35, v37, vcc_lo
	v_lshlrev_b32_e32 v35, 21, v35
	s_delay_alu instid0(VALU_DEP_1) | instskip(NEXT) | instid1(VALU_DEP_1)
	v_and_or_b32 v35, 0x7f800000, v36, v35
	v_cmp_ne_u32_e32 vcc_lo, 0, v35
	s_and_b32 s11, vcc_lo, exec_lo
	s_delay_alu instid0(SALU_CYCLE_1)
	s_or_b32 s10, s10, s11
.LBB347_65:                             ;   in Loop: Header=BB347_41 Depth=1
	s_or_b32 exec_lo, exec_lo, s12
	s_delay_alu instid0(SALU_CYCLE_1)
	s_mov_b32 s11, exec_lo
	v_cmpx_gt_u64_e64 s[2:3], v[1:2]
	s_xor_b32 s11, exec_lo, s11
	s_cbranch_execnz .LBB347_85
; %bb.66:                               ;   in Loop: Header=BB347_41 Depth=1
	s_or_b32 exec_lo, exec_lo, s11
	s_delay_alu instid0(SALU_CYCLE_1)
	s_mov_b32 s0, exec_lo
	v_cmpx_gt_u64_e64 s[2:3], v[3:4]
	s_cbranch_execnz .LBB347_86
.LBB347_67:                             ;   in Loop: Header=BB347_41 Depth=1
	s_or_b32 exec_lo, exec_lo, s0
	s_delay_alu instid0(SALU_CYCLE_1)
	s_mov_b32 s0, exec_lo
	v_cmpx_gt_u64_e64 s[2:3], v[5:6]
	s_cbranch_execnz .LBB347_87
.LBB347_68:                             ;   in Loop: Header=BB347_41 Depth=1
	s_or_b32 exec_lo, exec_lo, s0
	s_delay_alu instid0(SALU_CYCLE_1)
	s_mov_b32 s0, exec_lo
	v_cmpx_gt_u64_e64 s[2:3], v[7:8]
	s_cbranch_execz .LBB347_40
	s_branch .LBB347_88
.LBB347_69:                             ;   in Loop: Header=BB347_41 Depth=1
	s_mov_b32 s8, -1
	s_mov_b32 s10, exec_lo
                                        ; implicit-def: $sgpr0
	v_cmpx_eq_u16_e32 0x80, v35
; %bb.70:                               ;   in Loop: Header=BB347_41 Depth=1
	s_mov_b32 s0, -1
	s_xor_b32 s8, exec_lo, -1
; %bb.71:                               ;   in Loop: Header=BB347_41 Depth=1
	s_or_b32 exec_lo, exec_lo, s10
	s_delay_alu instid0(SALU_CYCLE_1)
	s_and_b32 s8, s8, exec_lo
                                        ; implicit-def: $vgpr35
	s_and_not1_saveexec_b32 s9, s9
	s_cbranch_execz .LBB347_51
.LBB347_72:                             ;   in Loop: Header=BB347_41 Depth=1
	v_cmp_ne_u16_e32 vcc_lo, 0, v35
	s_and_not1_b32 s8, s8, exec_lo
	s_and_not1_b32 s0, s0, exec_lo
	s_and_b32 s10, vcc_lo, exec_lo
	s_delay_alu instid0(SALU_CYCLE_1)
	s_or_b32 s8, s8, s10
	s_or_b32 exec_lo, exec_lo, s9
	s_and_saveexec_b32 s9, s8
	s_cbranch_execnz .LBB347_52
	s_branch .LBB347_53
.LBB347_73:                             ;   in Loop: Header=BB347_41 Depth=1
	s_mov_b32 s9, -1
	s_mov_b32 s11, exec_lo
                                        ; implicit-def: $sgpr8
	v_cmpx_eq_u16_e32 0x80, v35
; %bb.74:                               ;   in Loop: Header=BB347_41 Depth=1
	s_mov_b32 s8, -1
	s_xor_b32 s9, exec_lo, -1
; %bb.75:                               ;   in Loop: Header=BB347_41 Depth=1
	s_or_b32 exec_lo, exec_lo, s11
	s_delay_alu instid0(SALU_CYCLE_1)
	s_and_b32 s9, s9, exec_lo
                                        ; implicit-def: $vgpr35
	s_and_not1_saveexec_b32 s10, s10
	s_cbranch_execz .LBB347_55
.LBB347_76:                             ;   in Loop: Header=BB347_41 Depth=1
	v_cmp_ne_u16_e32 vcc_lo, 0, v35
	s_and_not1_b32 s9, s9, exec_lo
	s_and_not1_b32 s8, s8, exec_lo
	s_and_b32 s11, vcc_lo, exec_lo
	s_delay_alu instid0(SALU_CYCLE_1)
	s_or_b32 s9, s9, s11
	s_or_b32 exec_lo, exec_lo, s10
	s_and_saveexec_b32 s10, s9
	s_cbranch_execnz .LBB347_56
	s_branch .LBB347_57
.LBB347_77:                             ;   in Loop: Header=BB347_41 Depth=1
	s_mov_b32 s10, -1
	s_mov_b32 s12, exec_lo
                                        ; implicit-def: $sgpr9
	v_cmpx_eq_u16_e32 0x80, v35
; %bb.78:                               ;   in Loop: Header=BB347_41 Depth=1
	s_mov_b32 s9, -1
	s_xor_b32 s10, exec_lo, -1
; %bb.79:                               ;   in Loop: Header=BB347_41 Depth=1
	s_or_b32 exec_lo, exec_lo, s12
	s_delay_alu instid0(SALU_CYCLE_1)
	s_and_b32 s10, s10, exec_lo
                                        ; implicit-def: $vgpr35
	s_and_not1_saveexec_b32 s11, s11
	s_cbranch_execz .LBB347_59
.LBB347_80:                             ;   in Loop: Header=BB347_41 Depth=1
	v_cmp_ne_u16_e32 vcc_lo, 0, v35
	s_and_not1_b32 s10, s10, exec_lo
	s_and_not1_b32 s9, s9, exec_lo
	s_and_b32 s12, vcc_lo, exec_lo
	s_delay_alu instid0(SALU_CYCLE_1)
	s_or_b32 s10, s10, s12
	s_or_b32 exec_lo, exec_lo, s11
	s_and_saveexec_b32 s11, s10
	s_cbranch_execnz .LBB347_60
	s_branch .LBB347_61
.LBB347_81:                             ;   in Loop: Header=BB347_41 Depth=1
	s_mov_b32 s11, -1
	s_mov_b32 s13, exec_lo
                                        ; implicit-def: $sgpr10
	v_cmpx_eq_u16_e32 0x80, v35
; %bb.82:                               ;   in Loop: Header=BB347_41 Depth=1
	s_mov_b32 s10, -1
	s_xor_b32 s11, exec_lo, -1
; %bb.83:                               ;   in Loop: Header=BB347_41 Depth=1
	s_or_b32 exec_lo, exec_lo, s13
	s_delay_alu instid0(SALU_CYCLE_1)
	s_and_b32 s11, s11, exec_lo
                                        ; implicit-def: $vgpr35
	s_and_not1_saveexec_b32 s12, s12
	s_cbranch_execz .LBB347_63
.LBB347_84:                             ;   in Loop: Header=BB347_41 Depth=1
	v_cmp_ne_u16_e32 vcc_lo, 0, v35
	s_and_not1_b32 s11, s11, exec_lo
	s_and_not1_b32 s10, s10, exec_lo
	s_and_b32 s13, vcc_lo, exec_lo
	s_delay_alu instid0(SALU_CYCLE_1)
	s_or_b32 s11, s11, s13
	s_or_b32 exec_lo, exec_lo, s12
	s_and_saveexec_b32 s12, s11
	s_cbranch_execnz .LBB347_64
	s_branch .LBB347_65
.LBB347_85:                             ;   in Loop: Header=BB347_41 Depth=1
	v_add_co_u32 v1, vcc_lo, v11, s6
	v_cndmask_b32_e64 v35, 0, 1, s0
	v_add_co_ci_u32_e32 v2, vcc_lo, s7, v12, vcc_lo
	global_store_b8 v[1:2], v35, off
	s_or_b32 exec_lo, exec_lo, s11
	s_delay_alu instid0(SALU_CYCLE_1)
	s_mov_b32 s0, exec_lo
	v_cmpx_gt_u64_e64 s[2:3], v[3:4]
	s_cbranch_execz .LBB347_67
.LBB347_86:                             ;   in Loop: Header=BB347_41 Depth=1
	v_add_co_u32 v1, vcc_lo, v27, s6
	v_cndmask_b32_e64 v3, 0, 1, s8
	v_add_co_ci_u32_e32 v2, vcc_lo, s7, v28, vcc_lo
	global_store_b8 v[1:2], v3, off
	s_or_b32 exec_lo, exec_lo, s0
	s_delay_alu instid0(SALU_CYCLE_1)
	s_mov_b32 s0, exec_lo
	v_cmpx_gt_u64_e64 s[2:3], v[5:6]
	s_cbranch_execz .LBB347_68
.LBB347_87:                             ;   in Loop: Header=BB347_41 Depth=1
	v_add_co_u32 v1, vcc_lo, v21, s6
	v_cndmask_b32_e64 v3, 0, 1, s9
	v_add_co_ci_u32_e32 v2, vcc_lo, s7, v22, vcc_lo
	global_store_b8 v[1:2], v3, off
	s_or_b32 exec_lo, exec_lo, s0
	s_delay_alu instid0(SALU_CYCLE_1)
	s_mov_b32 s0, exec_lo
	v_cmpx_gt_u64_e64 s[2:3], v[7:8]
	s_cbranch_execz .LBB347_40
.LBB347_88:                             ;   in Loop: Header=BB347_41 Depth=1
	v_add_co_u32 v1, vcc_lo, v15, s6
	v_cndmask_b32_e64 v3, 0, 1, s10
	v_add_co_ci_u32_e32 v2, vcc_lo, s7, v16, vcc_lo
	global_store_b8 v[1:2], v3, off
	s_branch .LBB347_40
.LBB347_89:
	s_nop 0
	s_sendmsg sendmsg(MSG_DEALLOC_VGPRS)
	s_endpgm
	.section	.rodata,"a",@progbits
	.p2align	6, 0x0
	.amdhsa_kernel _ZN2at6native12_GLOBAL__N_125multi_tensor_apply_kernelINS1_18TensorListMetadataILi2EEENS1_11CopyFunctorIbN3c1015Float8_e5m2fnuzELi2ELi1ELi1EEEJNS0_4CopyIbS7_EEEEEvT_T0_DpT1_
		.amdhsa_group_segment_fixed_size 0
		.amdhsa_private_segment_fixed_size 0
		.amdhsa_kernarg_size 3408
		.amdhsa_user_sgpr_count 15
		.amdhsa_user_sgpr_dispatch_ptr 0
		.amdhsa_user_sgpr_queue_ptr 0
		.amdhsa_user_sgpr_kernarg_segment_ptr 1
		.amdhsa_user_sgpr_dispatch_id 0
		.amdhsa_user_sgpr_private_segment_size 0
		.amdhsa_wavefront_size32 1
		.amdhsa_uses_dynamic_stack 0
		.amdhsa_enable_private_segment 0
		.amdhsa_system_sgpr_workgroup_id_x 1
		.amdhsa_system_sgpr_workgroup_id_y 0
		.amdhsa_system_sgpr_workgroup_id_z 0
		.amdhsa_system_sgpr_workgroup_info 0
		.amdhsa_system_vgpr_workitem_id 0
		.amdhsa_next_free_vgpr 39
		.amdhsa_next_free_sgpr 24
		.amdhsa_reserve_vcc 1
		.amdhsa_float_round_mode_32 0
		.amdhsa_float_round_mode_16_64 0
		.amdhsa_float_denorm_mode_32 3
		.amdhsa_float_denorm_mode_16_64 3
		.amdhsa_dx10_clamp 1
		.amdhsa_ieee_mode 1
		.amdhsa_fp16_overflow 0
		.amdhsa_workgroup_processor_mode 1
		.amdhsa_memory_ordered 1
		.amdhsa_forward_progress 0
		.amdhsa_shared_vgpr_count 0
		.amdhsa_exception_fp_ieee_invalid_op 0
		.amdhsa_exception_fp_denorm_src 0
		.amdhsa_exception_fp_ieee_div_zero 0
		.amdhsa_exception_fp_ieee_overflow 0
		.amdhsa_exception_fp_ieee_underflow 0
		.amdhsa_exception_fp_ieee_inexact 0
		.amdhsa_exception_int_div_zero 0
	.end_amdhsa_kernel
	.section	.text._ZN2at6native12_GLOBAL__N_125multi_tensor_apply_kernelINS1_18TensorListMetadataILi2EEENS1_11CopyFunctorIbN3c1015Float8_e5m2fnuzELi2ELi1ELi1EEEJNS0_4CopyIbS7_EEEEEvT_T0_DpT1_,"axG",@progbits,_ZN2at6native12_GLOBAL__N_125multi_tensor_apply_kernelINS1_18TensorListMetadataILi2EEENS1_11CopyFunctorIbN3c1015Float8_e5m2fnuzELi2ELi1ELi1EEEJNS0_4CopyIbS7_EEEEEvT_T0_DpT1_,comdat
.Lfunc_end347:
	.size	_ZN2at6native12_GLOBAL__N_125multi_tensor_apply_kernelINS1_18TensorListMetadataILi2EEENS1_11CopyFunctorIbN3c1015Float8_e5m2fnuzELi2ELi1ELi1EEEJNS0_4CopyIbS7_EEEEEvT_T0_DpT1_, .Lfunc_end347-_ZN2at6native12_GLOBAL__N_125multi_tensor_apply_kernelINS1_18TensorListMetadataILi2EEENS1_11CopyFunctorIbN3c1015Float8_e5m2fnuzELi2ELi1ELi1EEEJNS0_4CopyIbS7_EEEEEvT_T0_DpT1_
                                        ; -- End function
	.section	.AMDGPU.csdata,"",@progbits
; Kernel info:
; codeLenInByte = 3532
; NumSgprs: 26
; NumVgprs: 39
; ScratchSize: 0
; MemoryBound: 0
; FloatMode: 240
; IeeeMode: 1
; LDSByteSize: 0 bytes/workgroup (compile time only)
; SGPRBlocks: 3
; VGPRBlocks: 4
; NumSGPRsForWavesPerEU: 26
; NumVGPRsForWavesPerEU: 39
; Occupancy: 16
; WaveLimiterHint : 0
; COMPUTE_PGM_RSRC2:SCRATCH_EN: 0
; COMPUTE_PGM_RSRC2:USER_SGPR: 15
; COMPUTE_PGM_RSRC2:TRAP_HANDLER: 0
; COMPUTE_PGM_RSRC2:TGID_X_EN: 1
; COMPUTE_PGM_RSRC2:TGID_Y_EN: 0
; COMPUTE_PGM_RSRC2:TGID_Z_EN: 0
; COMPUTE_PGM_RSRC2:TIDIG_COMP_CNT: 0
	.section	.text._ZN2at6native12_GLOBAL__N_125multi_tensor_apply_kernelINS1_18TensorListMetadataILi2EEENS1_11CopyFunctorIN3c1013Float8_e4m3fnEhLi2ELi1ELi1EEEJNS0_4CopyIS7_hEEEEEvT_T0_DpT1_,"axG",@progbits,_ZN2at6native12_GLOBAL__N_125multi_tensor_apply_kernelINS1_18TensorListMetadataILi2EEENS1_11CopyFunctorIN3c1013Float8_e4m3fnEhLi2ELi1ELi1EEEJNS0_4CopyIS7_hEEEEEvT_T0_DpT1_,comdat
	.globl	_ZN2at6native12_GLOBAL__N_125multi_tensor_apply_kernelINS1_18TensorListMetadataILi2EEENS1_11CopyFunctorIN3c1013Float8_e4m3fnEhLi2ELi1ELi1EEEJNS0_4CopyIS7_hEEEEEvT_T0_DpT1_ ; -- Begin function _ZN2at6native12_GLOBAL__N_125multi_tensor_apply_kernelINS1_18TensorListMetadataILi2EEENS1_11CopyFunctorIN3c1013Float8_e4m3fnEhLi2ELi1ELi1EEEJNS0_4CopyIS7_hEEEEEvT_T0_DpT1_
	.p2align	8
	.type	_ZN2at6native12_GLOBAL__N_125multi_tensor_apply_kernelINS1_18TensorListMetadataILi2EEENS1_11CopyFunctorIN3c1013Float8_e4m3fnEhLi2ELi1ELi1EEEJNS0_4CopyIS7_hEEEEEvT_T0_DpT1_,@function
_ZN2at6native12_GLOBAL__N_125multi_tensor_apply_kernelINS1_18TensorListMetadataILi2EEENS1_11CopyFunctorIN3c1013Float8_e4m3fnEhLi2ELi1ELi1EEEJNS0_4CopyIS7_hEEEEEvT_T0_DpT1_: ; @_ZN2at6native12_GLOBAL__N_125multi_tensor_apply_kernelINS1_18TensorListMetadataILi2EEENS1_11CopyFunctorIN3c1013Float8_e4m3fnEhLi2ELi1ELi1EEEJNS0_4CopyIS7_hEEEEEvT_T0_DpT1_
; %bb.0:
	v_mov_b32_e32 v1, s15
	s_add_u32 s2, s0, s15
	s_mul_i32 s4, s15, 3
	s_addc_u32 s3, s1, 0
	s_mul_hi_u32 s5, s15, 3
	global_load_u8 v1, v1, s[0:1] offset:1536
	s_add_u32 s2, s2, s4
	s_addc_u32 s3, s3, s5
	s_load_b32 s2, s[2:3], 0x740
	s_waitcnt vmcnt(0)
	v_readfirstlane_b32 s4, v1
	s_delay_alu instid0(VALU_DEP_1)
	s_lshl_b32 s3, s4, 3
	s_clause 0x2
	s_load_b64 s[6:7], s[0:1], s3 offset:0x0
	s_load_b64 s[8:9], s[0:1], s3 offset:0x200
	;; [unrolled: 1-line block ×3, first 2 shown]
	s_waitcnt lgkmcnt(0)
	s_ashr_i32 s3, s2, 31
	s_delay_alu instid0(SALU_CYCLE_1) | instskip(NEXT) | instid1(SALU_CYCLE_1)
	s_lshl_b64 s[10:11], s[2:3], 16
	s_add_u32 s3, s6, s10
	s_addc_u32 s14, s7, s11
	s_add_u32 s12, s8, s10
	s_addc_u32 s13, s9, s11
	s_delay_alu instid0(SALU_CYCLE_1) | instskip(NEXT) | instid1(SALU_CYCLE_1)
	s_or_b64 s[16:17], s[4:5], s[12:13]
	s_or_b32 s2, s3, s16
	s_delay_alu instid0(SALU_CYCLE_1)
	s_and_b32 s2, s2, 3
	s_sub_u32 s4, s4, s10
	s_subb_u32 s5, s5, s11
	s_cmp_eq_u32 s2, 0
	s_mov_b32 s2, -1
	s_cbranch_scc0 .LBB348_37
; %bb.1:
	v_dual_mov_b32 v2, 0 :: v_dual_lshlrev_b32 v1, 2, v0
	s_mov_b32 s15, exec_lo
	s_delay_alu instid0(VALU_DEP_1)
	v_cmpx_gt_i64_e64 s[4:5], v[1:2]
	s_cbranch_execz .LBB348_36
; %bb.2:
	s_load_b32 s2, s[0:1], 0xc5c
	v_mov_b32_e32 v3, 0x7f
	s_mov_b32 s17, 0
	s_waitcnt lgkmcnt(0)
	s_and_b32 s2, s2, 0xffff
	s_delay_alu instid0(SALU_CYCLE_1)
	s_lshl_b32 s16, s2, 2
	s_branch .LBB348_4
.LBB348_3:                              ;   in Loop: Header=BB348_4 Depth=1
	s_or_b32 exec_lo, exec_lo, s2
	v_add_co_u32 v8, vcc_lo, s12, v1
	v_add_co_ci_u32_e32 v9, vcc_lo, s13, v2, vcc_lo
	v_add_co_u32 v1, vcc_lo, s16, v1
	v_add_co_ci_u32_e32 v2, vcc_lo, 0, v2, vcc_lo
	v_lshlrev_b32_e32 v7, 16, v7
	v_lshlrev_b32_e32 v6, 8, v6
	v_and_b32_e32 v4, 0xff, v4
	s_delay_alu instid0(VALU_DEP_4) | instskip(SKIP_3) | instid1(VALU_DEP_3)
	v_cmp_le_i64_e32 vcc_lo, s[4:5], v[1:2]
	v_cmp_lt_u64_e64 s2, 0xffff, v[1:2]
	v_perm_b32 v5, v5, v7, 0x4020c0c
	v_and_b32_e32 v6, 0xff00, v6
	s_or_b32 s2, vcc_lo, s2
	s_delay_alu instid0(VALU_DEP_1) | instskip(SKIP_1) | instid1(SALU_CYCLE_1)
	v_or3_b32 v4, v5, v6, v4
	s_and_b32 s2, exec_lo, s2
	s_or_b32 s17, s2, s17
	global_store_b32 v[8:9], v4, off
	s_and_not1_b32 exec_lo, exec_lo, s17
	s_cbranch_execz .LBB348_36
.LBB348_4:                              ; =>This Inner Loop Header: Depth=1
	v_add_co_u32 v4, vcc_lo, s3, v1
	v_add_co_ci_u32_e32 v5, vcc_lo, s14, v2, vcc_lo
	s_mov_b32 s2, exec_lo
	global_load_b32 v5, v[4:5], off
                                        ; implicit-def: $vgpr4
	s_waitcnt vmcnt(0)
	v_cvt_f32_ubyte0_e32 v6, v5
	s_delay_alu instid0(VALU_DEP_1)
	v_cmpx_gt_u32_e32 0x43f00000, v6
	s_xor_b32 s2, exec_lo, s2
	s_cbranch_execz .LBB348_10
; %bb.5:                                ;   in Loop: Header=BB348_4 Depth=1
	s_mov_b32 s18, exec_lo
                                        ; implicit-def: $vgpr4
	v_cmpx_lt_u32_e32 0x3c7fffff, v6
	s_xor_b32 s18, exec_lo, s18
; %bb.6:                                ;   in Loop: Header=BB348_4 Depth=1
	v_bfe_u32 v4, v6, 20, 1
	s_delay_alu instid0(VALU_DEP_1) | instskip(NEXT) | instid1(VALU_DEP_1)
	v_add3_u32 v4, v6, v4, 0x407ffff
	v_and_b32_e32 v6, 0xff00000, v4
	v_lshrrev_b32_e32 v4, 20, v4
	s_delay_alu instid0(VALU_DEP_2) | instskip(NEXT) | instid1(VALU_DEP_2)
	v_cmp_ne_u32_e32 vcc_lo, 0x7f00000, v6
                                        ; implicit-def: $vgpr6
	v_cndmask_b32_e32 v4, 0x7e, v4, vcc_lo
; %bb.7:                                ;   in Loop: Header=BB348_4 Depth=1
	s_and_not1_saveexec_b32 s18, s18
; %bb.8:                                ;   in Loop: Header=BB348_4 Depth=1
	v_add_f32_e32 v4, 0x46800000, v6
; %bb.9:                                ;   in Loop: Header=BB348_4 Depth=1
	s_or_b32 exec_lo, exec_lo, s18
                                        ; implicit-def: $vgpr6
.LBB348_10:                             ;   in Loop: Header=BB348_4 Depth=1
	s_and_not1_saveexec_b32 s2, s2
; %bb.11:                               ;   in Loop: Header=BB348_4 Depth=1
	v_cmp_lt_u32_e32 vcc_lo, 0x7f800000, v6
	v_cndmask_b32_e32 v4, 0x7e, v3, vcc_lo
; %bb.12:                               ;   in Loop: Header=BB348_4 Depth=1
	s_or_b32 exec_lo, exec_lo, s2
	v_cvt_f32_ubyte1_e32 v7, v5
	s_mov_b32 s2, exec_lo
                                        ; implicit-def: $vgpr6
	s_delay_alu instid0(VALU_DEP_1)
	v_cmpx_gt_u32_e32 0x43f00000, v7
	s_xor_b32 s2, exec_lo, s2
	s_cbranch_execz .LBB348_18
; %bb.13:                               ;   in Loop: Header=BB348_4 Depth=1
	s_mov_b32 s18, exec_lo
                                        ; implicit-def: $vgpr6
	v_cmpx_lt_u32_e32 0x3c7fffff, v7
	s_xor_b32 s18, exec_lo, s18
; %bb.14:                               ;   in Loop: Header=BB348_4 Depth=1
	v_bfe_u32 v6, v7, 20, 1
	s_delay_alu instid0(VALU_DEP_1) | instskip(NEXT) | instid1(VALU_DEP_1)
	v_add3_u32 v6, v7, v6, 0x407ffff
	v_and_b32_e32 v7, 0xff00000, v6
	v_lshrrev_b32_e32 v6, 20, v6
	s_delay_alu instid0(VALU_DEP_2) | instskip(NEXT) | instid1(VALU_DEP_2)
	v_cmp_ne_u32_e32 vcc_lo, 0x7f00000, v7
                                        ; implicit-def: $vgpr7
	v_cndmask_b32_e32 v6, 0x7e, v6, vcc_lo
; %bb.15:                               ;   in Loop: Header=BB348_4 Depth=1
	s_and_not1_saveexec_b32 s18, s18
; %bb.16:                               ;   in Loop: Header=BB348_4 Depth=1
	v_add_f32_e32 v6, 0x46800000, v7
; %bb.17:                               ;   in Loop: Header=BB348_4 Depth=1
	s_or_b32 exec_lo, exec_lo, s18
                                        ; implicit-def: $vgpr7
.LBB348_18:                             ;   in Loop: Header=BB348_4 Depth=1
	s_and_not1_saveexec_b32 s2, s2
; %bb.19:                               ;   in Loop: Header=BB348_4 Depth=1
	v_cmp_lt_u32_e32 vcc_lo, 0x7f800000, v7
	v_cndmask_b32_e32 v6, 0x7e, v3, vcc_lo
; %bb.20:                               ;   in Loop: Header=BB348_4 Depth=1
	s_or_b32 exec_lo, exec_lo, s2
	v_cvt_f32_ubyte2_e32 v8, v5
	s_mov_b32 s2, exec_lo
                                        ; implicit-def: $vgpr7
	s_delay_alu instid0(VALU_DEP_1)
	v_cmpx_gt_u32_e32 0x43f00000, v8
	s_xor_b32 s2, exec_lo, s2
	s_cbranch_execz .LBB348_26
; %bb.21:                               ;   in Loop: Header=BB348_4 Depth=1
	s_mov_b32 s18, exec_lo
                                        ; implicit-def: $vgpr7
	v_cmpx_lt_u32_e32 0x3c7fffff, v8
	s_xor_b32 s18, exec_lo, s18
; %bb.22:                               ;   in Loop: Header=BB348_4 Depth=1
	v_bfe_u32 v7, v8, 20, 1
	s_delay_alu instid0(VALU_DEP_1) | instskip(NEXT) | instid1(VALU_DEP_1)
	v_add3_u32 v7, v8, v7, 0x407ffff
	v_and_b32_e32 v8, 0xff00000, v7
	v_lshrrev_b32_e32 v7, 20, v7
	s_delay_alu instid0(VALU_DEP_2) | instskip(NEXT) | instid1(VALU_DEP_2)
	v_cmp_ne_u32_e32 vcc_lo, 0x7f00000, v8
                                        ; implicit-def: $vgpr8
	v_cndmask_b32_e32 v7, 0x7e, v7, vcc_lo
; %bb.23:                               ;   in Loop: Header=BB348_4 Depth=1
	s_and_not1_saveexec_b32 s18, s18
; %bb.24:                               ;   in Loop: Header=BB348_4 Depth=1
	v_add_f32_e32 v7, 0x46800000, v8
; %bb.25:                               ;   in Loop: Header=BB348_4 Depth=1
	s_or_b32 exec_lo, exec_lo, s18
                                        ; implicit-def: $vgpr8
.LBB348_26:                             ;   in Loop: Header=BB348_4 Depth=1
	s_and_not1_saveexec_b32 s2, s2
; %bb.27:                               ;   in Loop: Header=BB348_4 Depth=1
	v_cmp_lt_u32_e32 vcc_lo, 0x7f800000, v8
	v_cndmask_b32_e32 v7, 0x7e, v3, vcc_lo
; %bb.28:                               ;   in Loop: Header=BB348_4 Depth=1
	s_or_b32 exec_lo, exec_lo, s2
	v_cvt_f32_ubyte3_e32 v8, v5
	s_mov_b32 s2, exec_lo
                                        ; implicit-def: $vgpr5
	s_delay_alu instid0(VALU_DEP_1)
	v_cmpx_gt_u32_e32 0x43f00000, v8
	s_xor_b32 s2, exec_lo, s2
	s_cbranch_execz .LBB348_34
; %bb.29:                               ;   in Loop: Header=BB348_4 Depth=1
	s_mov_b32 s18, exec_lo
                                        ; implicit-def: $vgpr5
	v_cmpx_lt_u32_e32 0x3c7fffff, v8
	s_xor_b32 s18, exec_lo, s18
; %bb.30:                               ;   in Loop: Header=BB348_4 Depth=1
	v_bfe_u32 v5, v8, 20, 1
	s_delay_alu instid0(VALU_DEP_1) | instskip(NEXT) | instid1(VALU_DEP_1)
	v_add3_u32 v5, v8, v5, 0x407ffff
	v_and_b32_e32 v8, 0xff00000, v5
	v_lshrrev_b32_e32 v5, 20, v5
	s_delay_alu instid0(VALU_DEP_2) | instskip(NEXT) | instid1(VALU_DEP_2)
	v_cmp_ne_u32_e32 vcc_lo, 0x7f00000, v8
                                        ; implicit-def: $vgpr8
	v_cndmask_b32_e32 v5, 0x7e, v5, vcc_lo
; %bb.31:                               ;   in Loop: Header=BB348_4 Depth=1
	s_and_not1_saveexec_b32 s18, s18
; %bb.32:                               ;   in Loop: Header=BB348_4 Depth=1
	v_add_f32_e32 v5, 0x46800000, v8
; %bb.33:                               ;   in Loop: Header=BB348_4 Depth=1
	s_or_b32 exec_lo, exec_lo, s18
                                        ; implicit-def: $vgpr8
.LBB348_34:                             ;   in Loop: Header=BB348_4 Depth=1
	s_and_not1_saveexec_b32 s2, s2
	s_cbranch_execz .LBB348_3
; %bb.35:                               ;   in Loop: Header=BB348_4 Depth=1
	v_cmp_lt_u32_e32 vcc_lo, 0x7f800000, v8
	v_cndmask_b32_e32 v5, 0x7e, v3, vcc_lo
	s_branch .LBB348_3
.LBB348_36:
	s_or_b32 exec_lo, exec_lo, s15
	s_mov_b32 s2, 0
.LBB348_37:
	s_delay_alu instid0(SALU_CYCLE_1)
	s_and_not1_b32 vcc_lo, exec_lo, s2
	s_cbranch_vccnz .LBB348_89
; %bb.38:
	v_cmp_lt_i64_e64 s2, s[4:5], 1
	s_delay_alu instid0(VALU_DEP_1)
	s_and_b32 vcc_lo, exec_lo, s2
	s_cbranch_vccnz .LBB348_89
; %bb.39:
	s_load_b32 s0, s[0:1], 0xc5c
	v_add_co_u32 v1, s1, s10, v0
	s_delay_alu instid0(VALU_DEP_1) | instskip(SKIP_1) | instid1(VALU_DEP_3)
	v_add_co_ci_u32_e64 v2, null, s11, 0, s1
	v_cmp_gt_u64_e64 s1, 0x10000, s[4:5]
	v_add_co_u32 v9, vcc_lo, s6, v1
	s_delay_alu instid0(VALU_DEP_3)
	v_add_co_ci_u32_e32 v10, vcc_lo, s7, v2, vcc_lo
	v_add_co_u32 v11, vcc_lo, s8, v1
	v_add_co_ci_u32_e32 v12, vcc_lo, s9, v2, vcc_lo
	v_mov_b32_e32 v31, 0x7f
                                        ; implicit-def: $vgpr32
                                        ; implicit-def: $vgpr33
                                        ; implicit-def: $vgpr34
                                        ; implicit-def: $vgpr35
	s_waitcnt lgkmcnt(0)
	s_and_b32 s0, s0, 0xffff
	s_and_b32 s1, s1, exec_lo
	s_mul_i32 s13, s0, 3
	s_cselect_b32 s3, s5, 0
	s_cselect_b32 s2, s4, 0x10000
	s_lshl_b32 s12, s0, 1
	s_lshl_b32 s1, s0, 2
	s_add_u32 s14, s10, s13
	s_addc_u32 s15, s11, 0
	v_add_co_u32 v3, s14, s14, v0
	s_delay_alu instid0(VALU_DEP_1) | instskip(SKIP_1) | instid1(VALU_DEP_2)
	v_add_co_ci_u32_e64 v4, null, s15, 0, s14
	s_add_u32 s10, s10, s12
	v_add_co_u32 v13, vcc_lo, s6, v3
	s_delay_alu instid0(VALU_DEP_2)
	v_add_co_ci_u32_e32 v14, vcc_lo, s7, v4, vcc_lo
	v_add_co_u32 v15, vcc_lo, s8, v3
	s_addc_u32 s11, s11, 0
	v_add_co_u32 v3, s10, s10, v0
	v_add_co_ci_u32_e32 v16, vcc_lo, s9, v4, vcc_lo
	v_add_co_ci_u32_e64 v4, null, s11, 0, s10
	s_delay_alu instid0(VALU_DEP_3) | instskip(SKIP_1) | instid1(VALU_DEP_3)
	v_add_co_u32 v19, vcc_lo, s6, v3
	v_add_co_u32 v17, s10, s13, v0
	v_add_co_ci_u32_e32 v20, vcc_lo, s7, v4, vcc_lo
	v_add_co_u32 v21, vcc_lo, s8, v3
	v_add_co_ci_u32_e32 v22, vcc_lo, s9, v4, vcc_lo
	v_add_co_u32 v1, vcc_lo, v1, s0
	v_add_co_ci_u32_e32 v2, vcc_lo, 0, v2, vcc_lo
	v_add_co_ci_u32_e64 v18, null, 0, 0, s10
	s_delay_alu instid0(VALU_DEP_3) | instskip(NEXT) | instid1(VALU_DEP_3)
	v_add_co_u32 v25, vcc_lo, s6, v1
	v_add_co_ci_u32_e32 v26, vcc_lo, s7, v2, vcc_lo
	v_add_co_u32 v23, s10, s12, v0
	v_add_co_u32 v27, vcc_lo, s8, v1
	v_add_co_u32 v29, s0, v0, s0
	v_add_co_ci_u32_e64 v24, null, 0, 0, s10
	v_add_co_ci_u32_e32 v28, vcc_lo, s9, v2, vcc_lo
	v_add_co_ci_u32_e64 v30, null, 0, 0, s0
	s_mov_b64 s[6:7], 0
	s_branch .LBB348_41
.LBB348_40:                             ;   in Loop: Header=BB348_41 Depth=1
	s_or_b32 exec_lo, exec_lo, s0
	s_add_u32 s6, s6, s1
	s_addc_u32 s7, s7, 0
	s_delay_alu instid0(SALU_CYCLE_1) | instskip(SKIP_1) | instid1(VALU_DEP_1)
	v_cmp_ge_i64_e64 s0, s[6:7], s[4:5]
	v_cmp_lt_u64_e64 s8, 0xffff, s[6:7]
	s_or_b32 s0, s0, s8
	s_delay_alu instid0(SALU_CYCLE_1)
	s_and_b32 vcc_lo, exec_lo, s0
	s_cbranch_vccnz .LBB348_89
.LBB348_41:                             ; =>This Inner Loop Header: Depth=1
	v_add_co_u32 v1, s0, v0, s6
	s_delay_alu instid0(VALU_DEP_1) | instskip(NEXT) | instid1(VALU_DEP_1)
	v_add_co_ci_u32_e64 v2, null, 0, s7, s0
	v_cmp_gt_i64_e32 vcc_lo, s[4:5], v[1:2]
	v_cmp_gt_u64_e64 s0, 0x10000, v[1:2]
	s_delay_alu instid0(VALU_DEP_1) | instskip(NEXT) | instid1(SALU_CYCLE_1)
	s_and_b32 s8, vcc_lo, s0
	s_and_saveexec_b32 s0, s8
	s_cbranch_execz .LBB348_43
; %bb.42:                               ;   in Loop: Header=BB348_41 Depth=1
	v_add_co_u32 v3, vcc_lo, v9, s6
	v_add_co_ci_u32_e32 v4, vcc_lo, s7, v10, vcc_lo
	global_load_u8 v32, v[3:4], off
.LBB348_43:                             ;   in Loop: Header=BB348_41 Depth=1
	s_or_b32 exec_lo, exec_lo, s0
	v_add_co_u32 v3, vcc_lo, v29, s6
	v_add_co_ci_u32_e32 v4, vcc_lo, s7, v30, vcc_lo
	s_delay_alu instid0(VALU_DEP_1) | instskip(SKIP_1) | instid1(VALU_DEP_1)
	v_cmp_gt_i64_e32 vcc_lo, s[4:5], v[3:4]
	v_cmp_gt_u64_e64 s0, 0x10000, v[3:4]
	s_and_b32 s8, vcc_lo, s0
	s_delay_alu instid0(SALU_CYCLE_1)
	s_and_saveexec_b32 s0, s8
	s_cbranch_execz .LBB348_45
; %bb.44:                               ;   in Loop: Header=BB348_41 Depth=1
	v_add_co_u32 v5, vcc_lo, v25, s6
	v_add_co_ci_u32_e32 v6, vcc_lo, s7, v26, vcc_lo
	global_load_u8 v33, v[5:6], off
.LBB348_45:                             ;   in Loop: Header=BB348_41 Depth=1
	s_or_b32 exec_lo, exec_lo, s0
	v_add_co_u32 v5, vcc_lo, v23, s6
	v_add_co_ci_u32_e32 v6, vcc_lo, s7, v24, vcc_lo
	s_delay_alu instid0(VALU_DEP_1) | instskip(SKIP_1) | instid1(VALU_DEP_1)
	v_cmp_gt_i64_e32 vcc_lo, s[4:5], v[5:6]
	v_cmp_gt_u64_e64 s0, 0x10000, v[5:6]
	s_and_b32 s8, vcc_lo, s0
	s_delay_alu instid0(SALU_CYCLE_1)
	;; [unrolled: 15-line block ×3, first 2 shown]
	s_and_saveexec_b32 s0, s8
	s_cbranch_execz .LBB348_49
; %bb.48:                               ;   in Loop: Header=BB348_41 Depth=1
	v_add_co_u32 v35, vcc_lo, v13, s6
	v_add_co_ci_u32_e32 v36, vcc_lo, s7, v14, vcc_lo
	global_load_u8 v35, v[35:36], off
.LBB348_49:                             ;   in Loop: Header=BB348_41 Depth=1
	s_or_b32 exec_lo, exec_lo, s0
	s_waitcnt vmcnt(0)
	v_cvt_f32_ubyte0_e32 v37, v32
	s_mov_b32 s0, exec_lo
                                        ; implicit-def: $vgpr36
	s_delay_alu instid0(VALU_DEP_1)
	v_cmpx_gt_u32_e32 0x43f00000, v37
	s_xor_b32 s0, exec_lo, s0
	s_cbranch_execz .LBB348_55
; %bb.50:                               ;   in Loop: Header=BB348_41 Depth=1
	s_mov_b32 s8, exec_lo
                                        ; implicit-def: $vgpr36
	v_cmpx_lt_u32_e32 0x3c7fffff, v37
	s_xor_b32 s8, exec_lo, s8
; %bb.51:                               ;   in Loop: Header=BB348_41 Depth=1
	v_bfe_u32 v36, v37, 20, 1
	s_delay_alu instid0(VALU_DEP_1) | instskip(NEXT) | instid1(VALU_DEP_1)
	v_add3_u32 v36, v37, v36, 0x407ffff
	v_and_b32_e32 v37, 0xff00000, v36
	v_lshrrev_b32_e32 v36, 20, v36
	s_delay_alu instid0(VALU_DEP_2) | instskip(NEXT) | instid1(VALU_DEP_2)
	v_cmp_ne_u32_e32 vcc_lo, 0x7f00000, v37
                                        ; implicit-def: $vgpr37
	v_cndmask_b32_e32 v36, 0x7e, v36, vcc_lo
; %bb.52:                               ;   in Loop: Header=BB348_41 Depth=1
	s_and_not1_saveexec_b32 s8, s8
; %bb.53:                               ;   in Loop: Header=BB348_41 Depth=1
	v_add_f32_e32 v36, 0x46800000, v37
; %bb.54:                               ;   in Loop: Header=BB348_41 Depth=1
	s_or_b32 exec_lo, exec_lo, s8
                                        ; implicit-def: $vgpr37
.LBB348_55:                             ;   in Loop: Header=BB348_41 Depth=1
	s_and_not1_saveexec_b32 s0, s0
; %bb.56:                               ;   in Loop: Header=BB348_41 Depth=1
	v_cmp_lt_u32_e32 vcc_lo, 0x7f800000, v37
	v_cndmask_b32_e32 v36, 0x7e, v31, vcc_lo
; %bb.57:                               ;   in Loop: Header=BB348_41 Depth=1
	s_or_b32 exec_lo, exec_lo, s0
	v_cvt_f32_ubyte0_e32 v38, v33
	s_mov_b32 s0, exec_lo
                                        ; implicit-def: $vgpr37
	s_delay_alu instid0(VALU_DEP_1)
	v_cmpx_gt_u32_e32 0x43f00000, v38
	s_xor_b32 s0, exec_lo, s0
	s_cbranch_execz .LBB348_63
; %bb.58:                               ;   in Loop: Header=BB348_41 Depth=1
	s_mov_b32 s8, exec_lo
                                        ; implicit-def: $vgpr37
	v_cmpx_lt_u32_e32 0x3c7fffff, v38
	s_xor_b32 s8, exec_lo, s8
; %bb.59:                               ;   in Loop: Header=BB348_41 Depth=1
	v_bfe_u32 v37, v38, 20, 1
	s_delay_alu instid0(VALU_DEP_1) | instskip(NEXT) | instid1(VALU_DEP_1)
	v_add3_u32 v37, v38, v37, 0x407ffff
	v_and_b32_e32 v38, 0xff00000, v37
	v_lshrrev_b32_e32 v37, 20, v37
	s_delay_alu instid0(VALU_DEP_2) | instskip(NEXT) | instid1(VALU_DEP_2)
	v_cmp_ne_u32_e32 vcc_lo, 0x7f00000, v38
                                        ; implicit-def: $vgpr38
	v_cndmask_b32_e32 v37, 0x7e, v37, vcc_lo
; %bb.60:                               ;   in Loop: Header=BB348_41 Depth=1
	s_and_not1_saveexec_b32 s8, s8
; %bb.61:                               ;   in Loop: Header=BB348_41 Depth=1
	v_add_f32_e32 v37, 0x46800000, v38
; %bb.62:                               ;   in Loop: Header=BB348_41 Depth=1
	s_or_b32 exec_lo, exec_lo, s8
                                        ; implicit-def: $vgpr38
.LBB348_63:                             ;   in Loop: Header=BB348_41 Depth=1
	s_and_not1_saveexec_b32 s0, s0
; %bb.64:                               ;   in Loop: Header=BB348_41 Depth=1
	v_cmp_lt_u32_e32 vcc_lo, 0x7f800000, v38
	v_cndmask_b32_e32 v37, 0x7e, v31, vcc_lo
; %bb.65:                               ;   in Loop: Header=BB348_41 Depth=1
	s_or_b32 exec_lo, exec_lo, s0
	v_cvt_f32_ubyte0_e32 v39, v34
	s_mov_b32 s0, exec_lo
                                        ; implicit-def: $vgpr38
	s_delay_alu instid0(VALU_DEP_1)
	v_cmpx_gt_u32_e32 0x43f00000, v39
	s_xor_b32 s0, exec_lo, s0
	s_cbranch_execz .LBB348_71
; %bb.66:                               ;   in Loop: Header=BB348_41 Depth=1
	s_mov_b32 s8, exec_lo
                                        ; implicit-def: $vgpr38
	v_cmpx_lt_u32_e32 0x3c7fffff, v39
	s_xor_b32 s8, exec_lo, s8
; %bb.67:                               ;   in Loop: Header=BB348_41 Depth=1
	v_bfe_u32 v38, v39, 20, 1
	s_delay_alu instid0(VALU_DEP_1) | instskip(NEXT) | instid1(VALU_DEP_1)
	v_add3_u32 v38, v39, v38, 0x407ffff
	v_and_b32_e32 v39, 0xff00000, v38
	v_lshrrev_b32_e32 v38, 20, v38
	s_delay_alu instid0(VALU_DEP_2) | instskip(NEXT) | instid1(VALU_DEP_2)
	v_cmp_ne_u32_e32 vcc_lo, 0x7f00000, v39
                                        ; implicit-def: $vgpr39
	v_cndmask_b32_e32 v38, 0x7e, v38, vcc_lo
; %bb.68:                               ;   in Loop: Header=BB348_41 Depth=1
	s_and_not1_saveexec_b32 s8, s8
; %bb.69:                               ;   in Loop: Header=BB348_41 Depth=1
	v_add_f32_e32 v38, 0x46800000, v39
; %bb.70:                               ;   in Loop: Header=BB348_41 Depth=1
	s_or_b32 exec_lo, exec_lo, s8
                                        ; implicit-def: $vgpr39
.LBB348_71:                             ;   in Loop: Header=BB348_41 Depth=1
	s_and_not1_saveexec_b32 s0, s0
; %bb.72:                               ;   in Loop: Header=BB348_41 Depth=1
	v_cmp_lt_u32_e32 vcc_lo, 0x7f800000, v39
	v_cndmask_b32_e32 v38, 0x7e, v31, vcc_lo
; %bb.73:                               ;   in Loop: Header=BB348_41 Depth=1
	s_or_b32 exec_lo, exec_lo, s0
	v_cvt_f32_ubyte0_e32 v40, v35
	s_mov_b32 s0, exec_lo
                                        ; implicit-def: $vgpr39
	s_delay_alu instid0(VALU_DEP_1)
	v_cmpx_gt_u32_e32 0x43f00000, v40
	s_xor_b32 s0, exec_lo, s0
	s_cbranch_execz .LBB348_79
; %bb.74:                               ;   in Loop: Header=BB348_41 Depth=1
	s_mov_b32 s8, exec_lo
                                        ; implicit-def: $vgpr39
	v_cmpx_lt_u32_e32 0x3c7fffff, v40
	s_xor_b32 s8, exec_lo, s8
; %bb.75:                               ;   in Loop: Header=BB348_41 Depth=1
	v_bfe_u32 v39, v40, 20, 1
	s_delay_alu instid0(VALU_DEP_1) | instskip(NEXT) | instid1(VALU_DEP_1)
	v_add3_u32 v39, v40, v39, 0x407ffff
	v_and_b32_e32 v40, 0xff00000, v39
	v_lshrrev_b32_e32 v39, 20, v39
	s_delay_alu instid0(VALU_DEP_2) | instskip(NEXT) | instid1(VALU_DEP_2)
	v_cmp_ne_u32_e32 vcc_lo, 0x7f00000, v40
                                        ; implicit-def: $vgpr40
	v_cndmask_b32_e32 v39, 0x7e, v39, vcc_lo
; %bb.76:                               ;   in Loop: Header=BB348_41 Depth=1
	s_and_not1_saveexec_b32 s8, s8
; %bb.77:                               ;   in Loop: Header=BB348_41 Depth=1
	v_add_f32_e32 v39, 0x46800000, v40
; %bb.78:                               ;   in Loop: Header=BB348_41 Depth=1
	s_or_b32 exec_lo, exec_lo, s8
                                        ; implicit-def: $vgpr40
.LBB348_79:                             ;   in Loop: Header=BB348_41 Depth=1
	s_and_not1_saveexec_b32 s0, s0
; %bb.80:                               ;   in Loop: Header=BB348_41 Depth=1
	v_cmp_lt_u32_e32 vcc_lo, 0x7f800000, v40
	v_cndmask_b32_e32 v39, 0x7e, v31, vcc_lo
; %bb.81:                               ;   in Loop: Header=BB348_41 Depth=1
	s_or_b32 exec_lo, exec_lo, s0
	s_delay_alu instid0(SALU_CYCLE_1)
	s_mov_b32 s0, exec_lo
	v_cmpx_gt_u64_e64 s[2:3], v[1:2]
	s_xor_b32 s0, exec_lo, s0
	s_cbranch_execnz .LBB348_85
; %bb.82:                               ;   in Loop: Header=BB348_41 Depth=1
	s_or_b32 exec_lo, exec_lo, s0
	s_delay_alu instid0(SALU_CYCLE_1)
	s_mov_b32 s0, exec_lo
	v_cmpx_gt_u64_e64 s[2:3], v[3:4]
	s_cbranch_execnz .LBB348_86
.LBB348_83:                             ;   in Loop: Header=BB348_41 Depth=1
	s_or_b32 exec_lo, exec_lo, s0
	s_delay_alu instid0(SALU_CYCLE_1)
	s_mov_b32 s0, exec_lo
	v_cmpx_gt_u64_e64 s[2:3], v[5:6]
	s_cbranch_execnz .LBB348_87
.LBB348_84:                             ;   in Loop: Header=BB348_41 Depth=1
	s_or_b32 exec_lo, exec_lo, s0
	s_delay_alu instid0(SALU_CYCLE_1)
	s_mov_b32 s0, exec_lo
	v_cmpx_gt_u64_e64 s[2:3], v[7:8]
	s_cbranch_execz .LBB348_40
	s_branch .LBB348_88
.LBB348_85:                             ;   in Loop: Header=BB348_41 Depth=1
	v_add_co_u32 v1, vcc_lo, v11, s6
	v_add_co_ci_u32_e32 v2, vcc_lo, s7, v12, vcc_lo
	global_store_b8 v[1:2], v36, off
	s_or_b32 exec_lo, exec_lo, s0
	s_delay_alu instid0(SALU_CYCLE_1)
	s_mov_b32 s0, exec_lo
	v_cmpx_gt_u64_e64 s[2:3], v[3:4]
	s_cbranch_execz .LBB348_83
.LBB348_86:                             ;   in Loop: Header=BB348_41 Depth=1
	v_add_co_u32 v1, vcc_lo, v27, s6
	v_add_co_ci_u32_e32 v2, vcc_lo, s7, v28, vcc_lo
	global_store_b8 v[1:2], v37, off
	s_or_b32 exec_lo, exec_lo, s0
	s_delay_alu instid0(SALU_CYCLE_1)
	s_mov_b32 s0, exec_lo
	v_cmpx_gt_u64_e64 s[2:3], v[5:6]
	s_cbranch_execz .LBB348_84
.LBB348_87:                             ;   in Loop: Header=BB348_41 Depth=1
	v_add_co_u32 v1, vcc_lo, v21, s6
	v_add_co_ci_u32_e32 v2, vcc_lo, s7, v22, vcc_lo
	global_store_b8 v[1:2], v38, off
	s_or_b32 exec_lo, exec_lo, s0
	s_delay_alu instid0(SALU_CYCLE_1)
	s_mov_b32 s0, exec_lo
	v_cmpx_gt_u64_e64 s[2:3], v[7:8]
	s_cbranch_execz .LBB348_40
.LBB348_88:                             ;   in Loop: Header=BB348_41 Depth=1
	v_add_co_u32 v1, vcc_lo, v15, s6
	v_add_co_ci_u32_e32 v2, vcc_lo, s7, v16, vcc_lo
	global_store_b8 v[1:2], v39, off
	s_branch .LBB348_40
.LBB348_89:
	s_nop 0
	s_sendmsg sendmsg(MSG_DEALLOC_VGPRS)
	s_endpgm
	.section	.rodata,"a",@progbits
	.p2align	6, 0x0
	.amdhsa_kernel _ZN2at6native12_GLOBAL__N_125multi_tensor_apply_kernelINS1_18TensorListMetadataILi2EEENS1_11CopyFunctorIN3c1013Float8_e4m3fnEhLi2ELi1ELi1EEEJNS0_4CopyIS7_hEEEEEvT_T0_DpT1_
		.amdhsa_group_segment_fixed_size 0
		.amdhsa_private_segment_fixed_size 0
		.amdhsa_kernarg_size 3408
		.amdhsa_user_sgpr_count 15
		.amdhsa_user_sgpr_dispatch_ptr 0
		.amdhsa_user_sgpr_queue_ptr 0
		.amdhsa_user_sgpr_kernarg_segment_ptr 1
		.amdhsa_user_sgpr_dispatch_id 0
		.amdhsa_user_sgpr_private_segment_size 0
		.amdhsa_wavefront_size32 1
		.amdhsa_uses_dynamic_stack 0
		.amdhsa_enable_private_segment 0
		.amdhsa_system_sgpr_workgroup_id_x 1
		.amdhsa_system_sgpr_workgroup_id_y 0
		.amdhsa_system_sgpr_workgroup_id_z 0
		.amdhsa_system_sgpr_workgroup_info 0
		.amdhsa_system_vgpr_workitem_id 0
		.amdhsa_next_free_vgpr 41
		.amdhsa_next_free_sgpr 19
		.amdhsa_reserve_vcc 1
		.amdhsa_float_round_mode_32 0
		.amdhsa_float_round_mode_16_64 0
		.amdhsa_float_denorm_mode_32 3
		.amdhsa_float_denorm_mode_16_64 3
		.amdhsa_dx10_clamp 1
		.amdhsa_ieee_mode 1
		.amdhsa_fp16_overflow 0
		.amdhsa_workgroup_processor_mode 1
		.amdhsa_memory_ordered 1
		.amdhsa_forward_progress 0
		.amdhsa_shared_vgpr_count 0
		.amdhsa_exception_fp_ieee_invalid_op 0
		.amdhsa_exception_fp_denorm_src 0
		.amdhsa_exception_fp_ieee_div_zero 0
		.amdhsa_exception_fp_ieee_overflow 0
		.amdhsa_exception_fp_ieee_underflow 0
		.amdhsa_exception_fp_ieee_inexact 0
		.amdhsa_exception_int_div_zero 0
	.end_amdhsa_kernel
	.section	.text._ZN2at6native12_GLOBAL__N_125multi_tensor_apply_kernelINS1_18TensorListMetadataILi2EEENS1_11CopyFunctorIN3c1013Float8_e4m3fnEhLi2ELi1ELi1EEEJNS0_4CopyIS7_hEEEEEvT_T0_DpT1_,"axG",@progbits,_ZN2at6native12_GLOBAL__N_125multi_tensor_apply_kernelINS1_18TensorListMetadataILi2EEENS1_11CopyFunctorIN3c1013Float8_e4m3fnEhLi2ELi1ELi1EEEJNS0_4CopyIS7_hEEEEEvT_T0_DpT1_,comdat
.Lfunc_end348:
	.size	_ZN2at6native12_GLOBAL__N_125multi_tensor_apply_kernelINS1_18TensorListMetadataILi2EEENS1_11CopyFunctorIN3c1013Float8_e4m3fnEhLi2ELi1ELi1EEEJNS0_4CopyIS7_hEEEEEvT_T0_DpT1_, .Lfunc_end348-_ZN2at6native12_GLOBAL__N_125multi_tensor_apply_kernelINS1_18TensorListMetadataILi2EEENS1_11CopyFunctorIN3c1013Float8_e4m3fnEhLi2ELi1ELi1EEEJNS0_4CopyIS7_hEEEEEvT_T0_DpT1_
                                        ; -- End function
	.section	.AMDGPU.csdata,"",@progbits
; Kernel info:
; codeLenInByte = 2480
; NumSgprs: 21
; NumVgprs: 41
; ScratchSize: 0
; MemoryBound: 0
; FloatMode: 240
; IeeeMode: 1
; LDSByteSize: 0 bytes/workgroup (compile time only)
; SGPRBlocks: 2
; VGPRBlocks: 5
; NumSGPRsForWavesPerEU: 21
; NumVGPRsForWavesPerEU: 41
; Occupancy: 16
; WaveLimiterHint : 0
; COMPUTE_PGM_RSRC2:SCRATCH_EN: 0
; COMPUTE_PGM_RSRC2:USER_SGPR: 15
; COMPUTE_PGM_RSRC2:TRAP_HANDLER: 0
; COMPUTE_PGM_RSRC2:TGID_X_EN: 1
; COMPUTE_PGM_RSRC2:TGID_Y_EN: 0
; COMPUTE_PGM_RSRC2:TGID_Z_EN: 0
; COMPUTE_PGM_RSRC2:TIDIG_COMP_CNT: 0
	.section	.text._ZN2at6native12_GLOBAL__N_125multi_tensor_apply_kernelINS1_18TensorListMetadataILi2EEENS1_11CopyFunctorIN3c1013Float8_e4m3fnEaLi2ELi1ELi1EEEJNS0_4CopyIS7_aEEEEEvT_T0_DpT1_,"axG",@progbits,_ZN2at6native12_GLOBAL__N_125multi_tensor_apply_kernelINS1_18TensorListMetadataILi2EEENS1_11CopyFunctorIN3c1013Float8_e4m3fnEaLi2ELi1ELi1EEEJNS0_4CopyIS7_aEEEEEvT_T0_DpT1_,comdat
	.globl	_ZN2at6native12_GLOBAL__N_125multi_tensor_apply_kernelINS1_18TensorListMetadataILi2EEENS1_11CopyFunctorIN3c1013Float8_e4m3fnEaLi2ELi1ELi1EEEJNS0_4CopyIS7_aEEEEEvT_T0_DpT1_ ; -- Begin function _ZN2at6native12_GLOBAL__N_125multi_tensor_apply_kernelINS1_18TensorListMetadataILi2EEENS1_11CopyFunctorIN3c1013Float8_e4m3fnEaLi2ELi1ELi1EEEJNS0_4CopyIS7_aEEEEEvT_T0_DpT1_
	.p2align	8
	.type	_ZN2at6native12_GLOBAL__N_125multi_tensor_apply_kernelINS1_18TensorListMetadataILi2EEENS1_11CopyFunctorIN3c1013Float8_e4m3fnEaLi2ELi1ELi1EEEJNS0_4CopyIS7_aEEEEEvT_T0_DpT1_,@function
_ZN2at6native12_GLOBAL__N_125multi_tensor_apply_kernelINS1_18TensorListMetadataILi2EEENS1_11CopyFunctorIN3c1013Float8_e4m3fnEaLi2ELi1ELi1EEEJNS0_4CopyIS7_aEEEEEvT_T0_DpT1_: ; @_ZN2at6native12_GLOBAL__N_125multi_tensor_apply_kernelINS1_18TensorListMetadataILi2EEENS1_11CopyFunctorIN3c1013Float8_e4m3fnEaLi2ELi1ELi1EEEJNS0_4CopyIS7_aEEEEEvT_T0_DpT1_
; %bb.0:
	v_mov_b32_e32 v1, s15
	s_add_u32 s2, s0, s15
	s_mul_i32 s4, s15, 3
	s_addc_u32 s3, s1, 0
	s_mul_hi_u32 s5, s15, 3
	global_load_u8 v1, v1, s[0:1] offset:1536
	s_add_u32 s2, s2, s4
	s_addc_u32 s3, s3, s5
	s_load_b32 s2, s[2:3], 0x740
	s_waitcnt vmcnt(0)
	v_readfirstlane_b32 s4, v1
	s_delay_alu instid0(VALU_DEP_1)
	s_lshl_b32 s3, s4, 3
	s_clause 0x2
	s_load_b64 s[6:7], s[0:1], s3 offset:0x0
	s_load_b64 s[8:9], s[0:1], s3 offset:0x200
	;; [unrolled: 1-line block ×3, first 2 shown]
	s_waitcnt lgkmcnt(0)
	s_ashr_i32 s3, s2, 31
	s_delay_alu instid0(SALU_CYCLE_1) | instskip(NEXT) | instid1(SALU_CYCLE_1)
	s_lshl_b64 s[10:11], s[2:3], 16
	s_add_u32 s3, s6, s10
	s_addc_u32 s14, s7, s11
	s_add_u32 s12, s8, s10
	s_addc_u32 s13, s9, s11
	s_delay_alu instid0(SALU_CYCLE_1) | instskip(NEXT) | instid1(SALU_CYCLE_1)
	s_or_b64 s[16:17], s[4:5], s[12:13]
	s_or_b32 s2, s3, s16
	s_delay_alu instid0(SALU_CYCLE_1)
	s_and_b32 s2, s2, 3
	s_sub_u32 s4, s4, s10
	s_subb_u32 s5, s5, s11
	s_cmp_eq_u32 s2, 0
	s_mov_b32 s2, -1
	s_cbranch_scc0 .LBB349_37
; %bb.1:
	v_dual_mov_b32 v2, 0 :: v_dual_lshlrev_b32 v1, 2, v0
	s_mov_b32 s15, exec_lo
	s_delay_alu instid0(VALU_DEP_1)
	v_cmpx_gt_i64_e64 s[4:5], v[1:2]
	s_cbranch_execz .LBB349_36
; %bb.2:
	s_load_b32 s2, s[0:1], 0xc5c
	v_mov_b32_e32 v3, 0x7f
	s_mov_b32 s17, 0
	s_waitcnt lgkmcnt(0)
	s_and_b32 s2, s2, 0xffff
	s_delay_alu instid0(SALU_CYCLE_1)
	s_lshl_b32 s16, s2, 2
	s_branch .LBB349_4
.LBB349_3:                              ;   in Loop: Header=BB349_4 Depth=1
	s_or_b32 exec_lo, exec_lo, s2
	v_lshrrev_b32_e32 v9, 24, v9
	v_lshrrev_b32_e32 v12, 24, v8
	v_add_co_u32 v8, vcc_lo, s12, v1
	v_lshlrev_b32_e32 v11, 24, v11
	s_delay_alu instid0(VALU_DEP_4) | instskip(SKIP_3) | instid1(VALU_DEP_4)
	v_and_b32_e32 v13, 0x80, v9
	v_add_co_ci_u32_e32 v9, vcc_lo, s13, v2, vcc_lo
	v_and_b32_e32 v12, 0x80, v12
	v_add_co_u32 v1, vcc_lo, s16, v1
	v_and_or_b32 v10, 0xff, v10, v13
	v_add_co_ci_u32_e32 v2, vcc_lo, 0, v2, vcc_lo
	v_and_b32_e32 v7, 0x80000000, v7
	v_lshrrev_b32_e32 v4, 24, v4
	s_delay_alu instid0(VALU_DEP_4)
	v_lshlrev_b32_e32 v10, 16, v10
	v_and_or_b32 v6, 0xff, v6, v12
	v_and_b32_e32 v5, 0xff, v5
	v_cmp_le_i64_e32 vcc_lo, s[4:5], v[1:2]
	v_cmp_lt_u64_e64 s2, 0xffff, v[1:2]
	v_or3_b32 v7, v7, v11, v10
	v_lshlrev_b32_e32 v6, 8, v6
	v_and_or_b32 v4, 0x80, v4, v5
	s_delay_alu instid0(VALU_DEP_4) | instskip(NEXT) | instid1(VALU_DEP_1)
	s_or_b32 s2, vcc_lo, s2
	v_or3_b32 v4, v7, v6, v4
	s_and_b32 s2, exec_lo, s2
	s_delay_alu instid0(SALU_CYCLE_1)
	s_or_b32 s17, s2, s17
	global_store_b32 v[8:9], v4, off
	s_and_not1_b32 exec_lo, exec_lo, s17
	s_cbranch_execz .LBB349_36
.LBB349_4:                              ; =>This Inner Loop Header: Depth=1
	v_add_co_u32 v4, vcc_lo, s3, v1
	v_add_co_ci_u32_e32 v5, vcc_lo, s14, v2, vcc_lo
	s_mov_b32 s2, exec_lo
	global_load_b32 v7, v[4:5], off
                                        ; implicit-def: $vgpr5
	s_waitcnt vmcnt(0)
	v_bfe_i32 v4, v7, 0, 8
	s_delay_alu instid0(VALU_DEP_1) | instskip(NEXT) | instid1(VALU_DEP_1)
	v_bfe_i32 v4, v4, 0, 16
	v_cvt_f32_i32_e32 v4, v4
	s_delay_alu instid0(VALU_DEP_1) | instskip(NEXT) | instid1(VALU_DEP_1)
	v_and_b32_e32 v6, 0x7fffffff, v4
	v_cmpx_gt_u32_e32 0x43f00000, v6
	s_xor_b32 s2, exec_lo, s2
	s_cbranch_execz .LBB349_10
; %bb.5:                                ;   in Loop: Header=BB349_4 Depth=1
	s_mov_b32 s18, exec_lo
                                        ; implicit-def: $vgpr5
	v_cmpx_lt_u32_e32 0x3c7fffff, v6
	s_xor_b32 s18, exec_lo, s18
; %bb.6:                                ;   in Loop: Header=BB349_4 Depth=1
	v_bfe_u32 v5, v4, 20, 1
	s_delay_alu instid0(VALU_DEP_1) | instskip(NEXT) | instid1(VALU_DEP_1)
	v_add3_u32 v5, v4, v5, 0x407ffff
	v_and_b32_e32 v6, 0xff00000, v5
	v_lshrrev_b32_e32 v5, 20, v5
	s_delay_alu instid0(VALU_DEP_2) | instskip(NEXT) | instid1(VALU_DEP_2)
	v_cmp_ne_u32_e32 vcc_lo, 0x7f00000, v6
	v_cndmask_b32_e32 v5, 0x7e, v5, vcc_lo
; %bb.7:                                ;   in Loop: Header=BB349_4 Depth=1
	s_and_not1_saveexec_b32 s18, s18
; %bb.8:                                ;   in Loop: Header=BB349_4 Depth=1
	v_add_f32_e64 v5, 0x46800000, |v4|
; %bb.9:                                ;   in Loop: Header=BB349_4 Depth=1
	s_or_b32 exec_lo, exec_lo, s18
                                        ; implicit-def: $vgpr6
.LBB349_10:                             ;   in Loop: Header=BB349_4 Depth=1
	s_and_not1_saveexec_b32 s2, s2
; %bb.11:                               ;   in Loop: Header=BB349_4 Depth=1
	v_cmp_lt_u32_e32 vcc_lo, 0x7f800000, v6
	v_cndmask_b32_e32 v5, 0x7e, v3, vcc_lo
; %bb.12:                               ;   in Loop: Header=BB349_4 Depth=1
	s_or_b32 exec_lo, exec_lo, s2
	v_lshrrev_b32_e32 v6, 8, v7
	s_mov_b32 s2, exec_lo
	s_delay_alu instid0(VALU_DEP_1) | instskip(NEXT) | instid1(VALU_DEP_1)
	v_bfe_i32 v6, v6, 0, 8
	v_bfe_i32 v6, v6, 0, 16
	s_delay_alu instid0(VALU_DEP_1) | instskip(NEXT) | instid1(VALU_DEP_1)
	v_cvt_f32_i32_e32 v8, v6
                                        ; implicit-def: $vgpr6
	v_and_b32_e32 v9, 0x7fffffff, v8
	s_delay_alu instid0(VALU_DEP_1)
	v_cmpx_gt_u32_e32 0x43f00000, v9
	s_xor_b32 s2, exec_lo, s2
	s_cbranch_execz .LBB349_18
; %bb.13:                               ;   in Loop: Header=BB349_4 Depth=1
	s_mov_b32 s18, exec_lo
                                        ; implicit-def: $vgpr6
	v_cmpx_lt_u32_e32 0x3c7fffff, v9
	s_xor_b32 s18, exec_lo, s18
; %bb.14:                               ;   in Loop: Header=BB349_4 Depth=1
	v_bfe_u32 v6, v8, 20, 1
	s_delay_alu instid0(VALU_DEP_1) | instskip(NEXT) | instid1(VALU_DEP_1)
	v_add3_u32 v6, v8, v6, 0x407ffff
	v_and_b32_e32 v9, 0xff00000, v6
	v_lshrrev_b32_e32 v6, 20, v6
	s_delay_alu instid0(VALU_DEP_2) | instskip(NEXT) | instid1(VALU_DEP_2)
	v_cmp_ne_u32_e32 vcc_lo, 0x7f00000, v9
	v_cndmask_b32_e32 v6, 0x7e, v6, vcc_lo
; %bb.15:                               ;   in Loop: Header=BB349_4 Depth=1
	s_and_not1_saveexec_b32 s18, s18
; %bb.16:                               ;   in Loop: Header=BB349_4 Depth=1
	v_add_f32_e64 v6, 0x46800000, |v8|
; %bb.17:                               ;   in Loop: Header=BB349_4 Depth=1
	s_or_b32 exec_lo, exec_lo, s18
                                        ; implicit-def: $vgpr9
.LBB349_18:                             ;   in Loop: Header=BB349_4 Depth=1
	s_and_not1_saveexec_b32 s2, s2
; %bb.19:                               ;   in Loop: Header=BB349_4 Depth=1
	v_cmp_lt_u32_e32 vcc_lo, 0x7f800000, v9
	v_cndmask_b32_e32 v6, 0x7e, v3, vcc_lo
; %bb.20:                               ;   in Loop: Header=BB349_4 Depth=1
	s_or_b32 exec_lo, exec_lo, s2
	v_lshrrev_b32_e32 v9, 16, v7
	s_mov_b32 s2, exec_lo
                                        ; implicit-def: $vgpr10
	s_delay_alu instid0(VALU_DEP_1) | instskip(NEXT) | instid1(VALU_DEP_1)
	v_bfe_i32 v9, v9, 0, 8
	v_bfe_i32 v9, v9, 0, 16
	s_delay_alu instid0(VALU_DEP_1) | instskip(NEXT) | instid1(VALU_DEP_1)
	v_cvt_f32_i32_e32 v9, v9
	v_and_b32_e32 v11, 0x7fffffff, v9
	s_delay_alu instid0(VALU_DEP_1)
	v_cmpx_gt_u32_e32 0x43f00000, v11
	s_xor_b32 s2, exec_lo, s2
	s_cbranch_execz .LBB349_26
; %bb.21:                               ;   in Loop: Header=BB349_4 Depth=1
	s_mov_b32 s18, exec_lo
                                        ; implicit-def: $vgpr10
	v_cmpx_lt_u32_e32 0x3c7fffff, v11
	s_xor_b32 s18, exec_lo, s18
; %bb.22:                               ;   in Loop: Header=BB349_4 Depth=1
	v_bfe_u32 v10, v9, 20, 1
	s_delay_alu instid0(VALU_DEP_1) | instskip(NEXT) | instid1(VALU_DEP_1)
	v_add3_u32 v10, v9, v10, 0x407ffff
	v_and_b32_e32 v11, 0xff00000, v10
	v_lshrrev_b32_e32 v10, 20, v10
	s_delay_alu instid0(VALU_DEP_2) | instskip(NEXT) | instid1(VALU_DEP_2)
	v_cmp_ne_u32_e32 vcc_lo, 0x7f00000, v11
	v_cndmask_b32_e32 v10, 0x7e, v10, vcc_lo
; %bb.23:                               ;   in Loop: Header=BB349_4 Depth=1
	s_and_not1_saveexec_b32 s18, s18
; %bb.24:                               ;   in Loop: Header=BB349_4 Depth=1
	v_add_f32_e64 v10, 0x46800000, |v9|
; %bb.25:                               ;   in Loop: Header=BB349_4 Depth=1
	s_or_b32 exec_lo, exec_lo, s18
                                        ; implicit-def: $vgpr11
.LBB349_26:                             ;   in Loop: Header=BB349_4 Depth=1
	s_and_not1_saveexec_b32 s2, s2
; %bb.27:                               ;   in Loop: Header=BB349_4 Depth=1
	v_cmp_lt_u32_e32 vcc_lo, 0x7f800000, v11
	v_cndmask_b32_e32 v10, 0x7e, v3, vcc_lo
; %bb.28:                               ;   in Loop: Header=BB349_4 Depth=1
	s_or_b32 exec_lo, exec_lo, s2
	v_lshrrev_b32_e32 v7, 24, v7
	s_mov_b32 s2, exec_lo
                                        ; implicit-def: $vgpr11
	s_delay_alu instid0(VALU_DEP_1) | instskip(NEXT) | instid1(VALU_DEP_1)
	v_bfe_i32 v7, v7, 0, 8
	v_bfe_i32 v7, v7, 0, 16
	s_delay_alu instid0(VALU_DEP_1) | instskip(NEXT) | instid1(VALU_DEP_1)
	v_cvt_f32_i32_e32 v7, v7
	v_and_b32_e32 v12, 0x7fffffff, v7
	s_delay_alu instid0(VALU_DEP_1)
	v_cmpx_gt_u32_e32 0x43f00000, v12
	s_xor_b32 s2, exec_lo, s2
	s_cbranch_execz .LBB349_34
; %bb.29:                               ;   in Loop: Header=BB349_4 Depth=1
	s_mov_b32 s18, exec_lo
                                        ; implicit-def: $vgpr11
	v_cmpx_lt_u32_e32 0x3c7fffff, v12
	s_xor_b32 s18, exec_lo, s18
; %bb.30:                               ;   in Loop: Header=BB349_4 Depth=1
	v_bfe_u32 v11, v7, 20, 1
	s_delay_alu instid0(VALU_DEP_1) | instskip(NEXT) | instid1(VALU_DEP_1)
	v_add3_u32 v11, v7, v11, 0x407ffff
	v_and_b32_e32 v12, 0xff00000, v11
	v_lshrrev_b32_e32 v11, 20, v11
	s_delay_alu instid0(VALU_DEP_2) | instskip(NEXT) | instid1(VALU_DEP_2)
	v_cmp_ne_u32_e32 vcc_lo, 0x7f00000, v12
	v_cndmask_b32_e32 v11, 0x7e, v11, vcc_lo
; %bb.31:                               ;   in Loop: Header=BB349_4 Depth=1
	s_and_not1_saveexec_b32 s18, s18
; %bb.32:                               ;   in Loop: Header=BB349_4 Depth=1
	v_add_f32_e64 v11, 0x46800000, |v7|
; %bb.33:                               ;   in Loop: Header=BB349_4 Depth=1
	s_or_b32 exec_lo, exec_lo, s18
                                        ; implicit-def: $vgpr12
.LBB349_34:                             ;   in Loop: Header=BB349_4 Depth=1
	s_and_not1_saveexec_b32 s2, s2
	s_cbranch_execz .LBB349_3
; %bb.35:                               ;   in Loop: Header=BB349_4 Depth=1
	v_cmp_lt_u32_e32 vcc_lo, 0x7f800000, v12
	v_cndmask_b32_e32 v11, 0x7e, v3, vcc_lo
	s_branch .LBB349_3
.LBB349_36:
	s_or_b32 exec_lo, exec_lo, s15
	s_mov_b32 s2, 0
.LBB349_37:
	s_delay_alu instid0(SALU_CYCLE_1)
	s_and_not1_b32 vcc_lo, exec_lo, s2
	s_cbranch_vccnz .LBB349_89
; %bb.38:
	v_cmp_lt_i64_e64 s2, s[4:5], 1
	s_delay_alu instid0(VALU_DEP_1)
	s_and_b32 vcc_lo, exec_lo, s2
	s_cbranch_vccnz .LBB349_89
; %bb.39:
	s_load_b32 s0, s[0:1], 0xc5c
	v_add_co_u32 v1, s1, s10, v0
	s_delay_alu instid0(VALU_DEP_1) | instskip(SKIP_1) | instid1(VALU_DEP_3)
	v_add_co_ci_u32_e64 v2, null, s11, 0, s1
	v_cmp_gt_u64_e64 s1, 0x10000, s[4:5]
	v_add_co_u32 v9, vcc_lo, s6, v1
	s_delay_alu instid0(VALU_DEP_3)
	v_add_co_ci_u32_e32 v10, vcc_lo, s7, v2, vcc_lo
	v_add_co_u32 v11, vcc_lo, s8, v1
	v_add_co_ci_u32_e32 v12, vcc_lo, s9, v2, vcc_lo
	v_mov_b32_e32 v31, 0x7f
                                        ; implicit-def: $vgpr32
                                        ; implicit-def: $vgpr33
                                        ; implicit-def: $vgpr34
                                        ; implicit-def: $vgpr35
	s_waitcnt lgkmcnt(0)
	s_and_b32 s0, s0, 0xffff
	s_and_b32 s1, s1, exec_lo
	s_mul_i32 s13, s0, 3
	s_cselect_b32 s3, s5, 0
	s_cselect_b32 s2, s4, 0x10000
	s_lshl_b32 s12, s0, 1
	s_lshl_b32 s1, s0, 2
	s_add_u32 s14, s10, s13
	s_addc_u32 s15, s11, 0
	v_add_co_u32 v3, s14, s14, v0
	s_delay_alu instid0(VALU_DEP_1) | instskip(SKIP_1) | instid1(VALU_DEP_2)
	v_add_co_ci_u32_e64 v4, null, s15, 0, s14
	s_add_u32 s10, s10, s12
	v_add_co_u32 v13, vcc_lo, s6, v3
	s_delay_alu instid0(VALU_DEP_2)
	v_add_co_ci_u32_e32 v14, vcc_lo, s7, v4, vcc_lo
	v_add_co_u32 v15, vcc_lo, s8, v3
	s_addc_u32 s11, s11, 0
	v_add_co_u32 v3, s10, s10, v0
	v_add_co_ci_u32_e32 v16, vcc_lo, s9, v4, vcc_lo
	v_add_co_ci_u32_e64 v4, null, s11, 0, s10
	s_delay_alu instid0(VALU_DEP_3) | instskip(SKIP_1) | instid1(VALU_DEP_3)
	v_add_co_u32 v19, vcc_lo, s6, v3
	v_add_co_u32 v17, s10, s13, v0
	v_add_co_ci_u32_e32 v20, vcc_lo, s7, v4, vcc_lo
	v_add_co_u32 v21, vcc_lo, s8, v3
	v_add_co_ci_u32_e32 v22, vcc_lo, s9, v4, vcc_lo
	v_add_co_u32 v1, vcc_lo, v1, s0
	v_add_co_ci_u32_e32 v2, vcc_lo, 0, v2, vcc_lo
	v_add_co_ci_u32_e64 v18, null, 0, 0, s10
	s_delay_alu instid0(VALU_DEP_3) | instskip(NEXT) | instid1(VALU_DEP_3)
	v_add_co_u32 v25, vcc_lo, s6, v1
	v_add_co_ci_u32_e32 v26, vcc_lo, s7, v2, vcc_lo
	v_add_co_u32 v23, s10, s12, v0
	v_add_co_u32 v27, vcc_lo, s8, v1
	v_add_co_u32 v29, s0, v0, s0
	v_add_co_ci_u32_e64 v24, null, 0, 0, s10
	v_add_co_ci_u32_e32 v28, vcc_lo, s9, v2, vcc_lo
	v_add_co_ci_u32_e64 v30, null, 0, 0, s0
	s_mov_b64 s[6:7], 0
	s_branch .LBB349_41
.LBB349_40:                             ;   in Loop: Header=BB349_41 Depth=1
	s_or_b32 exec_lo, exec_lo, s0
	s_add_u32 s6, s6, s1
	s_addc_u32 s7, s7, 0
	s_delay_alu instid0(SALU_CYCLE_1) | instskip(SKIP_1) | instid1(VALU_DEP_1)
	v_cmp_ge_i64_e64 s0, s[6:7], s[4:5]
	v_cmp_lt_u64_e64 s8, 0xffff, s[6:7]
	s_or_b32 s0, s0, s8
	s_delay_alu instid0(SALU_CYCLE_1)
	s_and_b32 vcc_lo, exec_lo, s0
	s_cbranch_vccnz .LBB349_89
.LBB349_41:                             ; =>This Inner Loop Header: Depth=1
	v_add_co_u32 v1, s0, v0, s6
	s_delay_alu instid0(VALU_DEP_1) | instskip(NEXT) | instid1(VALU_DEP_1)
	v_add_co_ci_u32_e64 v2, null, 0, s7, s0
	v_cmp_gt_i64_e32 vcc_lo, s[4:5], v[1:2]
	v_cmp_gt_u64_e64 s0, 0x10000, v[1:2]
	s_delay_alu instid0(VALU_DEP_1) | instskip(NEXT) | instid1(SALU_CYCLE_1)
	s_and_b32 s8, vcc_lo, s0
	s_and_saveexec_b32 s0, s8
	s_cbranch_execz .LBB349_43
; %bb.42:                               ;   in Loop: Header=BB349_41 Depth=1
	v_add_co_u32 v3, vcc_lo, v9, s6
	v_add_co_ci_u32_e32 v4, vcc_lo, s7, v10, vcc_lo
	global_load_u8 v32, v[3:4], off
.LBB349_43:                             ;   in Loop: Header=BB349_41 Depth=1
	s_or_b32 exec_lo, exec_lo, s0
	v_add_co_u32 v3, vcc_lo, v29, s6
	v_add_co_ci_u32_e32 v4, vcc_lo, s7, v30, vcc_lo
	s_delay_alu instid0(VALU_DEP_1) | instskip(SKIP_1) | instid1(VALU_DEP_1)
	v_cmp_gt_i64_e32 vcc_lo, s[4:5], v[3:4]
	v_cmp_gt_u64_e64 s0, 0x10000, v[3:4]
	s_and_b32 s8, vcc_lo, s0
	s_delay_alu instid0(SALU_CYCLE_1)
	s_and_saveexec_b32 s0, s8
	s_cbranch_execz .LBB349_45
; %bb.44:                               ;   in Loop: Header=BB349_41 Depth=1
	v_add_co_u32 v5, vcc_lo, v25, s6
	v_add_co_ci_u32_e32 v6, vcc_lo, s7, v26, vcc_lo
	global_load_u8 v33, v[5:6], off
.LBB349_45:                             ;   in Loop: Header=BB349_41 Depth=1
	s_or_b32 exec_lo, exec_lo, s0
	v_add_co_u32 v5, vcc_lo, v23, s6
	v_add_co_ci_u32_e32 v6, vcc_lo, s7, v24, vcc_lo
	s_delay_alu instid0(VALU_DEP_1) | instskip(SKIP_1) | instid1(VALU_DEP_1)
	v_cmp_gt_i64_e32 vcc_lo, s[4:5], v[5:6]
	v_cmp_gt_u64_e64 s0, 0x10000, v[5:6]
	s_and_b32 s8, vcc_lo, s0
	s_delay_alu instid0(SALU_CYCLE_1)
	;; [unrolled: 15-line block ×3, first 2 shown]
	s_and_saveexec_b32 s0, s8
	s_cbranch_execz .LBB349_49
; %bb.48:                               ;   in Loop: Header=BB349_41 Depth=1
	v_add_co_u32 v35, vcc_lo, v13, s6
	v_add_co_ci_u32_e32 v36, vcc_lo, s7, v14, vcc_lo
	global_load_u8 v35, v[35:36], off
.LBB349_49:                             ;   in Loop: Header=BB349_41 Depth=1
	s_or_b32 exec_lo, exec_lo, s0
	s_waitcnt vmcnt(0)
	v_bfe_i32 v36, v32, 0, 8
	s_mov_b32 s0, exec_lo
                                        ; implicit-def: $vgpr37
	s_delay_alu instid0(VALU_DEP_1) | instskip(NEXT) | instid1(VALU_DEP_1)
	v_bfe_i32 v36, v36, 0, 16
	v_cvt_f32_i32_e32 v36, v36
	s_delay_alu instid0(VALU_DEP_1) | instskip(NEXT) | instid1(VALU_DEP_1)
	v_and_b32_e32 v38, 0x7fffffff, v36
	v_cmpx_gt_u32_e32 0x43f00000, v38
	s_xor_b32 s0, exec_lo, s0
	s_cbranch_execz .LBB349_55
; %bb.50:                               ;   in Loop: Header=BB349_41 Depth=1
	s_mov_b32 s8, exec_lo
                                        ; implicit-def: $vgpr37
	v_cmpx_lt_u32_e32 0x3c7fffff, v38
	s_xor_b32 s8, exec_lo, s8
; %bb.51:                               ;   in Loop: Header=BB349_41 Depth=1
	v_bfe_u32 v37, v36, 20, 1
	s_delay_alu instid0(VALU_DEP_1) | instskip(NEXT) | instid1(VALU_DEP_1)
	v_add3_u32 v37, v36, v37, 0x407ffff
	v_and_b32_e32 v38, 0xff00000, v37
	v_lshrrev_b32_e32 v37, 20, v37
	s_delay_alu instid0(VALU_DEP_2) | instskip(NEXT) | instid1(VALU_DEP_2)
	v_cmp_ne_u32_e32 vcc_lo, 0x7f00000, v38
	v_cndmask_b32_e32 v37, 0x7e, v37, vcc_lo
; %bb.52:                               ;   in Loop: Header=BB349_41 Depth=1
	s_and_not1_saveexec_b32 s8, s8
; %bb.53:                               ;   in Loop: Header=BB349_41 Depth=1
	v_add_f32_e64 v37, 0x46800000, |v36|
; %bb.54:                               ;   in Loop: Header=BB349_41 Depth=1
	s_or_b32 exec_lo, exec_lo, s8
                                        ; implicit-def: $vgpr38
.LBB349_55:                             ;   in Loop: Header=BB349_41 Depth=1
	s_and_not1_saveexec_b32 s0, s0
; %bb.56:                               ;   in Loop: Header=BB349_41 Depth=1
	v_cmp_lt_u32_e32 vcc_lo, 0x7f800000, v38
	v_cndmask_b32_e32 v37, 0x7e, v31, vcc_lo
; %bb.57:                               ;   in Loop: Header=BB349_41 Depth=1
	s_or_b32 exec_lo, exec_lo, s0
	v_bfe_i32 v38, v33, 0, 8
	s_mov_b32 s0, exec_lo
                                        ; implicit-def: $vgpr39
	s_delay_alu instid0(VALU_DEP_1) | instskip(NEXT) | instid1(VALU_DEP_1)
	v_bfe_i32 v38, v38, 0, 16
	v_cvt_f32_i32_e32 v38, v38
	s_delay_alu instid0(VALU_DEP_1) | instskip(NEXT) | instid1(VALU_DEP_1)
	v_and_b32_e32 v40, 0x7fffffff, v38
	v_cmpx_gt_u32_e32 0x43f00000, v40
	s_xor_b32 s0, exec_lo, s0
	s_cbranch_execz .LBB349_63
; %bb.58:                               ;   in Loop: Header=BB349_41 Depth=1
	s_mov_b32 s8, exec_lo
                                        ; implicit-def: $vgpr39
	v_cmpx_lt_u32_e32 0x3c7fffff, v40
	s_xor_b32 s8, exec_lo, s8
; %bb.59:                               ;   in Loop: Header=BB349_41 Depth=1
	v_bfe_u32 v39, v38, 20, 1
	s_delay_alu instid0(VALU_DEP_1) | instskip(NEXT) | instid1(VALU_DEP_1)
	v_add3_u32 v39, v38, v39, 0x407ffff
	v_and_b32_e32 v40, 0xff00000, v39
	v_lshrrev_b32_e32 v39, 20, v39
	s_delay_alu instid0(VALU_DEP_2) | instskip(NEXT) | instid1(VALU_DEP_2)
	v_cmp_ne_u32_e32 vcc_lo, 0x7f00000, v40
	v_cndmask_b32_e32 v39, 0x7e, v39, vcc_lo
; %bb.60:                               ;   in Loop: Header=BB349_41 Depth=1
	s_and_not1_saveexec_b32 s8, s8
; %bb.61:                               ;   in Loop: Header=BB349_41 Depth=1
	v_add_f32_e64 v39, 0x46800000, |v38|
; %bb.62:                               ;   in Loop: Header=BB349_41 Depth=1
	s_or_b32 exec_lo, exec_lo, s8
                                        ; implicit-def: $vgpr40
.LBB349_63:                             ;   in Loop: Header=BB349_41 Depth=1
	s_and_not1_saveexec_b32 s0, s0
; %bb.64:                               ;   in Loop: Header=BB349_41 Depth=1
	v_cmp_lt_u32_e32 vcc_lo, 0x7f800000, v40
	v_cndmask_b32_e32 v39, 0x7e, v31, vcc_lo
; %bb.65:                               ;   in Loop: Header=BB349_41 Depth=1
	s_or_b32 exec_lo, exec_lo, s0
	v_bfe_i32 v40, v34, 0, 8
	s_mov_b32 s0, exec_lo
                                        ; implicit-def: $vgpr41
	s_delay_alu instid0(VALU_DEP_1) | instskip(NEXT) | instid1(VALU_DEP_1)
	v_bfe_i32 v40, v40, 0, 16
	v_cvt_f32_i32_e32 v40, v40
	s_delay_alu instid0(VALU_DEP_1) | instskip(NEXT) | instid1(VALU_DEP_1)
	v_and_b32_e32 v42, 0x7fffffff, v40
	v_cmpx_gt_u32_e32 0x43f00000, v42
	s_xor_b32 s0, exec_lo, s0
	s_cbranch_execz .LBB349_71
; %bb.66:                               ;   in Loop: Header=BB349_41 Depth=1
	s_mov_b32 s8, exec_lo
                                        ; implicit-def: $vgpr41
	v_cmpx_lt_u32_e32 0x3c7fffff, v42
	s_xor_b32 s8, exec_lo, s8
; %bb.67:                               ;   in Loop: Header=BB349_41 Depth=1
	v_bfe_u32 v41, v40, 20, 1
	s_delay_alu instid0(VALU_DEP_1) | instskip(NEXT) | instid1(VALU_DEP_1)
	v_add3_u32 v41, v40, v41, 0x407ffff
	v_and_b32_e32 v42, 0xff00000, v41
	v_lshrrev_b32_e32 v41, 20, v41
	s_delay_alu instid0(VALU_DEP_2) | instskip(NEXT) | instid1(VALU_DEP_2)
	v_cmp_ne_u32_e32 vcc_lo, 0x7f00000, v42
	v_cndmask_b32_e32 v41, 0x7e, v41, vcc_lo
; %bb.68:                               ;   in Loop: Header=BB349_41 Depth=1
	s_and_not1_saveexec_b32 s8, s8
; %bb.69:                               ;   in Loop: Header=BB349_41 Depth=1
	v_add_f32_e64 v41, 0x46800000, |v40|
; %bb.70:                               ;   in Loop: Header=BB349_41 Depth=1
	s_or_b32 exec_lo, exec_lo, s8
                                        ; implicit-def: $vgpr42
.LBB349_71:                             ;   in Loop: Header=BB349_41 Depth=1
	s_and_not1_saveexec_b32 s0, s0
; %bb.72:                               ;   in Loop: Header=BB349_41 Depth=1
	v_cmp_lt_u32_e32 vcc_lo, 0x7f800000, v42
	v_cndmask_b32_e32 v41, 0x7e, v31, vcc_lo
; %bb.73:                               ;   in Loop: Header=BB349_41 Depth=1
	s_or_b32 exec_lo, exec_lo, s0
	v_bfe_i32 v42, v35, 0, 8
	s_mov_b32 s0, exec_lo
                                        ; implicit-def: $vgpr43
	s_delay_alu instid0(VALU_DEP_1) | instskip(NEXT) | instid1(VALU_DEP_1)
	v_bfe_i32 v42, v42, 0, 16
	v_cvt_f32_i32_e32 v42, v42
	s_delay_alu instid0(VALU_DEP_1) | instskip(NEXT) | instid1(VALU_DEP_1)
	v_and_b32_e32 v44, 0x7fffffff, v42
	v_cmpx_gt_u32_e32 0x43f00000, v44
	s_xor_b32 s0, exec_lo, s0
	s_cbranch_execz .LBB349_79
; %bb.74:                               ;   in Loop: Header=BB349_41 Depth=1
	s_mov_b32 s8, exec_lo
                                        ; implicit-def: $vgpr43
	v_cmpx_lt_u32_e32 0x3c7fffff, v44
	s_xor_b32 s8, exec_lo, s8
; %bb.75:                               ;   in Loop: Header=BB349_41 Depth=1
	v_bfe_u32 v43, v42, 20, 1
	s_delay_alu instid0(VALU_DEP_1) | instskip(NEXT) | instid1(VALU_DEP_1)
	v_add3_u32 v43, v42, v43, 0x407ffff
	v_and_b32_e32 v44, 0xff00000, v43
	v_lshrrev_b32_e32 v43, 20, v43
	s_delay_alu instid0(VALU_DEP_2) | instskip(NEXT) | instid1(VALU_DEP_2)
	v_cmp_ne_u32_e32 vcc_lo, 0x7f00000, v44
	v_cndmask_b32_e32 v43, 0x7e, v43, vcc_lo
; %bb.76:                               ;   in Loop: Header=BB349_41 Depth=1
	s_and_not1_saveexec_b32 s8, s8
; %bb.77:                               ;   in Loop: Header=BB349_41 Depth=1
	v_add_f32_e64 v43, 0x46800000, |v42|
; %bb.78:                               ;   in Loop: Header=BB349_41 Depth=1
	s_or_b32 exec_lo, exec_lo, s8
                                        ; implicit-def: $vgpr44
.LBB349_79:                             ;   in Loop: Header=BB349_41 Depth=1
	s_and_not1_saveexec_b32 s0, s0
; %bb.80:                               ;   in Loop: Header=BB349_41 Depth=1
	v_cmp_lt_u32_e32 vcc_lo, 0x7f800000, v44
	v_cndmask_b32_e32 v43, 0x7e, v31, vcc_lo
; %bb.81:                               ;   in Loop: Header=BB349_41 Depth=1
	s_or_b32 exec_lo, exec_lo, s0
	s_delay_alu instid0(SALU_CYCLE_1)
	s_mov_b32 s0, exec_lo
	v_cmpx_gt_u64_e64 s[2:3], v[1:2]
	s_xor_b32 s0, exec_lo, s0
	s_cbranch_execnz .LBB349_85
; %bb.82:                               ;   in Loop: Header=BB349_41 Depth=1
	s_or_b32 exec_lo, exec_lo, s0
	s_delay_alu instid0(SALU_CYCLE_1)
	s_mov_b32 s0, exec_lo
	v_cmpx_gt_u64_e64 s[2:3], v[3:4]
	s_cbranch_execnz .LBB349_86
.LBB349_83:                             ;   in Loop: Header=BB349_41 Depth=1
	s_or_b32 exec_lo, exec_lo, s0
	s_delay_alu instid0(SALU_CYCLE_1)
	s_mov_b32 s0, exec_lo
	v_cmpx_gt_u64_e64 s[2:3], v[5:6]
	s_cbranch_execnz .LBB349_87
.LBB349_84:                             ;   in Loop: Header=BB349_41 Depth=1
	s_or_b32 exec_lo, exec_lo, s0
	s_delay_alu instid0(SALU_CYCLE_1)
	s_mov_b32 s0, exec_lo
	v_cmpx_gt_u64_e64 s[2:3], v[7:8]
	s_cbranch_execz .LBB349_40
	s_branch .LBB349_88
.LBB349_85:                             ;   in Loop: Header=BB349_41 Depth=1
	v_lshrrev_b32_e32 v1, 24, v36
	s_delay_alu instid0(VALU_DEP_1) | instskip(SKIP_4) | instid1(SALU_CYCLE_1)
	v_and_or_b32 v36, 0x80, v1, v37
	v_add_co_u32 v1, vcc_lo, v11, s6
	v_add_co_ci_u32_e32 v2, vcc_lo, s7, v12, vcc_lo
	global_store_b8 v[1:2], v36, off
	s_or_b32 exec_lo, exec_lo, s0
	s_mov_b32 s0, exec_lo
	v_cmpx_gt_u64_e64 s[2:3], v[3:4]
	s_cbranch_execz .LBB349_83
.LBB349_86:                             ;   in Loop: Header=BB349_41 Depth=1
	v_lshrrev_b32_e32 v1, 24, v38
	s_delay_alu instid0(VALU_DEP_1) | instskip(SKIP_4) | instid1(SALU_CYCLE_1)
	v_and_or_b32 v3, 0x80, v1, v39
	v_add_co_u32 v1, vcc_lo, v27, s6
	v_add_co_ci_u32_e32 v2, vcc_lo, s7, v28, vcc_lo
	global_store_b8 v[1:2], v3, off
	s_or_b32 exec_lo, exec_lo, s0
	s_mov_b32 s0, exec_lo
	v_cmpx_gt_u64_e64 s[2:3], v[5:6]
	s_cbranch_execz .LBB349_84
.LBB349_87:                             ;   in Loop: Header=BB349_41 Depth=1
	v_lshrrev_b32_e32 v1, 24, v40
	s_delay_alu instid0(VALU_DEP_1) | instskip(SKIP_4) | instid1(SALU_CYCLE_1)
	v_and_or_b32 v3, 0x80, v1, v41
	v_add_co_u32 v1, vcc_lo, v21, s6
	v_add_co_ci_u32_e32 v2, vcc_lo, s7, v22, vcc_lo
	global_store_b8 v[1:2], v3, off
	s_or_b32 exec_lo, exec_lo, s0
	s_mov_b32 s0, exec_lo
	v_cmpx_gt_u64_e64 s[2:3], v[7:8]
	s_cbranch_execz .LBB349_40
.LBB349_88:                             ;   in Loop: Header=BB349_41 Depth=1
	v_lshrrev_b32_e32 v1, 24, v42
	s_delay_alu instid0(VALU_DEP_1)
	v_and_or_b32 v3, 0x80, v1, v43
	v_add_co_u32 v1, vcc_lo, v15, s6
	v_add_co_ci_u32_e32 v2, vcc_lo, s7, v16, vcc_lo
	global_store_b8 v[1:2], v3, off
	s_branch .LBB349_40
.LBB349_89:
	s_nop 0
	s_sendmsg sendmsg(MSG_DEALLOC_VGPRS)
	s_endpgm
	.section	.rodata,"a",@progbits
	.p2align	6, 0x0
	.amdhsa_kernel _ZN2at6native12_GLOBAL__N_125multi_tensor_apply_kernelINS1_18TensorListMetadataILi2EEENS1_11CopyFunctorIN3c1013Float8_e4m3fnEaLi2ELi1ELi1EEEJNS0_4CopyIS7_aEEEEEvT_T0_DpT1_
		.amdhsa_group_segment_fixed_size 0
		.amdhsa_private_segment_fixed_size 0
		.amdhsa_kernarg_size 3408
		.amdhsa_user_sgpr_count 15
		.amdhsa_user_sgpr_dispatch_ptr 0
		.amdhsa_user_sgpr_queue_ptr 0
		.amdhsa_user_sgpr_kernarg_segment_ptr 1
		.amdhsa_user_sgpr_dispatch_id 0
		.amdhsa_user_sgpr_private_segment_size 0
		.amdhsa_wavefront_size32 1
		.amdhsa_uses_dynamic_stack 0
		.amdhsa_enable_private_segment 0
		.amdhsa_system_sgpr_workgroup_id_x 1
		.amdhsa_system_sgpr_workgroup_id_y 0
		.amdhsa_system_sgpr_workgroup_id_z 0
		.amdhsa_system_sgpr_workgroup_info 0
		.amdhsa_system_vgpr_workitem_id 0
		.amdhsa_next_free_vgpr 45
		.amdhsa_next_free_sgpr 19
		.amdhsa_reserve_vcc 1
		.amdhsa_float_round_mode_32 0
		.amdhsa_float_round_mode_16_64 0
		.amdhsa_float_denorm_mode_32 3
		.amdhsa_float_denorm_mode_16_64 3
		.amdhsa_dx10_clamp 1
		.amdhsa_ieee_mode 1
		.amdhsa_fp16_overflow 0
		.amdhsa_workgroup_processor_mode 1
		.amdhsa_memory_ordered 1
		.amdhsa_forward_progress 0
		.amdhsa_shared_vgpr_count 0
		.amdhsa_exception_fp_ieee_invalid_op 0
		.amdhsa_exception_fp_denorm_src 0
		.amdhsa_exception_fp_ieee_div_zero 0
		.amdhsa_exception_fp_ieee_overflow 0
		.amdhsa_exception_fp_ieee_underflow 0
		.amdhsa_exception_fp_ieee_inexact 0
		.amdhsa_exception_int_div_zero 0
	.end_amdhsa_kernel
	.section	.text._ZN2at6native12_GLOBAL__N_125multi_tensor_apply_kernelINS1_18TensorListMetadataILi2EEENS1_11CopyFunctorIN3c1013Float8_e4m3fnEaLi2ELi1ELi1EEEJNS0_4CopyIS7_aEEEEEvT_T0_DpT1_,"axG",@progbits,_ZN2at6native12_GLOBAL__N_125multi_tensor_apply_kernelINS1_18TensorListMetadataILi2EEENS1_11CopyFunctorIN3c1013Float8_e4m3fnEaLi2ELi1ELi1EEEJNS0_4CopyIS7_aEEEEEvT_T0_DpT1_,comdat
.Lfunc_end349:
	.size	_ZN2at6native12_GLOBAL__N_125multi_tensor_apply_kernelINS1_18TensorListMetadataILi2EEENS1_11CopyFunctorIN3c1013Float8_e4m3fnEaLi2ELi1ELi1EEEJNS0_4CopyIS7_aEEEEEvT_T0_DpT1_, .Lfunc_end349-_ZN2at6native12_GLOBAL__N_125multi_tensor_apply_kernelINS1_18TensorListMetadataILi2EEENS1_11CopyFunctorIN3c1013Float8_e4m3fnEaLi2ELi1ELi1EEEJNS0_4CopyIS7_aEEEEEvT_T0_DpT1_
                                        ; -- End function
	.section	.AMDGPU.csdata,"",@progbits
; Kernel info:
; codeLenInByte = 2900
; NumSgprs: 21
; NumVgprs: 45
; ScratchSize: 0
; MemoryBound: 0
; FloatMode: 240
; IeeeMode: 1
; LDSByteSize: 0 bytes/workgroup (compile time only)
; SGPRBlocks: 2
; VGPRBlocks: 5
; NumSGPRsForWavesPerEU: 21
; NumVGPRsForWavesPerEU: 45
; Occupancy: 16
; WaveLimiterHint : 0
; COMPUTE_PGM_RSRC2:SCRATCH_EN: 0
; COMPUTE_PGM_RSRC2:USER_SGPR: 15
; COMPUTE_PGM_RSRC2:TRAP_HANDLER: 0
; COMPUTE_PGM_RSRC2:TGID_X_EN: 1
; COMPUTE_PGM_RSRC2:TGID_Y_EN: 0
; COMPUTE_PGM_RSRC2:TGID_Z_EN: 0
; COMPUTE_PGM_RSRC2:TIDIG_COMP_CNT: 0
	.section	.text._ZN2at6native12_GLOBAL__N_125multi_tensor_apply_kernelINS1_18TensorListMetadataILi2EEENS1_11CopyFunctorIN3c1013Float8_e4m3fnElLi2ELi1ELi1EEEJNS0_4CopyIS7_lEEEEEvT_T0_DpT1_,"axG",@progbits,_ZN2at6native12_GLOBAL__N_125multi_tensor_apply_kernelINS1_18TensorListMetadataILi2EEENS1_11CopyFunctorIN3c1013Float8_e4m3fnElLi2ELi1ELi1EEEJNS0_4CopyIS7_lEEEEEvT_T0_DpT1_,comdat
	.globl	_ZN2at6native12_GLOBAL__N_125multi_tensor_apply_kernelINS1_18TensorListMetadataILi2EEENS1_11CopyFunctorIN3c1013Float8_e4m3fnElLi2ELi1ELi1EEEJNS0_4CopyIS7_lEEEEEvT_T0_DpT1_ ; -- Begin function _ZN2at6native12_GLOBAL__N_125multi_tensor_apply_kernelINS1_18TensorListMetadataILi2EEENS1_11CopyFunctorIN3c1013Float8_e4m3fnElLi2ELi1ELi1EEEJNS0_4CopyIS7_lEEEEEvT_T0_DpT1_
	.p2align	8
	.type	_ZN2at6native12_GLOBAL__N_125multi_tensor_apply_kernelINS1_18TensorListMetadataILi2EEENS1_11CopyFunctorIN3c1013Float8_e4m3fnElLi2ELi1ELi1EEEJNS0_4CopyIS7_lEEEEEvT_T0_DpT1_,@function
_ZN2at6native12_GLOBAL__N_125multi_tensor_apply_kernelINS1_18TensorListMetadataILi2EEENS1_11CopyFunctorIN3c1013Float8_e4m3fnElLi2ELi1ELi1EEEJNS0_4CopyIS7_lEEEEEvT_T0_DpT1_: ; @_ZN2at6native12_GLOBAL__N_125multi_tensor_apply_kernelINS1_18TensorListMetadataILi2EEENS1_11CopyFunctorIN3c1013Float8_e4m3fnElLi2ELi1ELi1EEEJNS0_4CopyIS7_lEEEEEvT_T0_DpT1_
; %bb.0:
	v_mov_b32_e32 v1, s15
	s_add_u32 s2, s0, s15
	s_mul_i32 s4, s15, 3
	s_addc_u32 s3, s1, 0
	s_mul_hi_u32 s5, s15, 3
	global_load_u8 v1, v1, s[0:1] offset:1536
	s_add_u32 s2, s2, s4
	s_addc_u32 s3, s3, s5
	s_mov_b32 s17, 0
	s_load_b32 s10, s[2:3], 0x740
	s_waitcnt lgkmcnt(0)
	s_ashr_i32 s11, s10, 31
	s_delay_alu instid0(SALU_CYCLE_1) | instskip(SKIP_2) | instid1(VALU_DEP_1)
	s_lshl_b64 s[8:9], s[10:11], 16
	s_waitcnt vmcnt(0)
	v_readfirstlane_b32 s4, v1
	s_lshl_b32 s4, s4, 3
	s_clause 0x2
	s_load_b64 s[6:7], s[0:1], s4 offset:0x200
	s_load_b64 s[2:3], s[0:1], s4 offset:0x400
	;; [unrolled: 1-line block ×3, first 2 shown]
	s_waitcnt lgkmcnt(0)
	s_add_u32 s14, s6, s8
	s_addc_u32 s15, s7, s9
	s_delay_alu instid0(SALU_CYCLE_1) | instskip(SKIP_2) | instid1(SALU_CYCLE_1)
	s_or_b64 s[4:5], s[2:3], s[14:15]
	s_and_b32 s5, s12, 31
	s_and_b32 s4, s4, 3
	s_or_b32 s16, s4, s5
	s_sub_u32 s4, s2, s8
	s_subb_u32 s5, s3, s9
	s_cmp_eq_u64 s[16:17], 0
	s_mov_b32 s2, -1
	s_cbranch_scc0 .LBB350_37
; %bb.1:
	v_dual_mov_b32 v10, 0 :: v_dual_lshlrev_b32 v9, 2, v0
	s_mov_b32 s3, exec_lo
	s_delay_alu instid0(VALU_DEP_1)
	v_cmpx_gt_i64_e64 s[4:5], v[9:10]
	s_cbranch_execz .LBB350_36
; %bb.2:
	s_load_b32 s2, s[0:1], 0xc5c
	v_lshlrev_b32_e32 v1, 5, v0
	s_lshl_b64 s[18:19], s[10:11], 19
	v_mov_b32_e32 v13, 0x7f
	s_waitcnt lgkmcnt(0)
	s_and_b32 s2, s2, 0xffff
	s_delay_alu instid0(SALU_CYCLE_1) | instskip(SKIP_3) | instid1(VALU_DEP_1)
	s_lshl_b32 s16, s2, 2
	s_add_u32 s17, s12, s18
	s_addc_u32 s18, s13, s19
	v_add_co_u32 v11, s17, s17, v1
	v_add_co_ci_u32_e64 v12, null, s18, 0, s17
	s_mov_b32 s17, 0
	s_lshl_b32 s18, s2, 5
	s_branch .LBB350_4
.LBB350_3:                              ;   in Loop: Header=BB350_4 Depth=1
	s_or_b32 exec_lo, exec_lo, s2
	v_lshrrev_b32_e32 v1, 24, v1
	v_lshrrev_b32_e32 v7, 24, v7
	v_lshrrev_b32_e32 v14, 24, v6
	v_add_co_u32 v6, vcc_lo, s14, v9
	s_delay_alu instid0(VALU_DEP_4) | instskip(NEXT) | instid1(VALU_DEP_4)
	v_and_b32_e32 v1, 0x80, v1
	v_and_b32_e32 v15, 0x80, v7
	v_add_co_ci_u32_e32 v7, vcc_lo, s15, v10, vcc_lo
	v_add_co_u32 v9, vcc_lo, s16, v9
	s_delay_alu instid0(VALU_DEP_4)
	v_and_or_b32 v1, 0xff, v2, v1
	v_add_co_ci_u32_e32 v10, vcc_lo, 0, v10, vcc_lo
	v_lshlrev_b32_e32 v4, 24, v4
	v_and_or_b32 v2, 0xff, v8, v15
	v_and_b32_e32 v3, 0x80000000, v3
	v_and_b32_e32 v5, 0xff, v5
	v_lshlrev_b32_e32 v1, 16, v1
	v_cmp_le_i64_e32 vcc_lo, s[4:5], v[9:10]
	v_cmp_lt_u64_e64 s2, 0xffff, v[9:10]
	v_lshlrev_b32_e32 v2, 8, v2
	v_and_or_b32 v5, 0x80, v14, v5
	v_or3_b32 v1, v3, v4, v1
	s_delay_alu instid0(VALU_DEP_4) | instskip(SKIP_1) | instid1(VALU_DEP_2)
	s_or_b32 s2, vcc_lo, s2
	v_add_co_u32 v11, vcc_lo, v11, s18
	v_or3_b32 v1, v1, v2, v5
	v_add_co_ci_u32_e32 v12, vcc_lo, 0, v12, vcc_lo
	s_and_b32 s2, exec_lo, s2
	s_delay_alu instid0(SALU_CYCLE_1)
	s_or_b32 s17, s2, s17
	global_store_b32 v[6:7], v1, off
	s_and_not1_b32 exec_lo, exec_lo, s17
	s_cbranch_execz .LBB350_36
.LBB350_4:                              ; =>This Inner Loop Header: Depth=1
	s_clause 0x1
	global_load_b128 v[5:8], v[11:12], off
	global_load_b128 v[1:4], v[11:12], off offset:16
	s_mov_b32 s2, exec_lo
	s_waitcnt vmcnt(1)
	v_xor_b32_e32 v14, v5, v6
	v_cls_i32_e32 v15, v6
	s_delay_alu instid0(VALU_DEP_2) | instskip(NEXT) | instid1(VALU_DEP_2)
	v_ashrrev_i32_e32 v14, 31, v14
	v_add_nc_u32_e32 v15, -1, v15
	s_delay_alu instid0(VALU_DEP_2) | instskip(NEXT) | instid1(VALU_DEP_1)
	v_add_nc_u32_e32 v14, 32, v14
	v_min_u32_e32 v14, v15, v14
	s_delay_alu instid0(VALU_DEP_1) | instskip(NEXT) | instid1(VALU_DEP_1)
	v_lshlrev_b64 v[5:6], v14, v[5:6]
	v_min_u32_e32 v5, 1, v5
	s_delay_alu instid0(VALU_DEP_1) | instskip(SKIP_1) | instid1(VALU_DEP_2)
	v_or_b32_e32 v5, v6, v5
	v_sub_nc_u32_e32 v6, 32, v14
	v_cvt_f32_i32_e32 v5, v5
	s_delay_alu instid0(VALU_DEP_1) | instskip(NEXT) | instid1(VALU_DEP_1)
	v_ldexp_f32 v6, v5, v6
                                        ; implicit-def: $vgpr5
	v_and_b32_e32 v14, 0x7fffffff, v6
	s_delay_alu instid0(VALU_DEP_1)
	v_cmpx_gt_u32_e32 0x43f00000, v14
	s_xor_b32 s2, exec_lo, s2
	s_cbranch_execz .LBB350_10
; %bb.5:                                ;   in Loop: Header=BB350_4 Depth=1
	s_mov_b32 s19, exec_lo
                                        ; implicit-def: $vgpr5
	v_cmpx_lt_u32_e32 0x3c7fffff, v14
	s_xor_b32 s19, exec_lo, s19
; %bb.6:                                ;   in Loop: Header=BB350_4 Depth=1
	v_bfe_u32 v5, v6, 20, 1
	s_delay_alu instid0(VALU_DEP_1) | instskip(NEXT) | instid1(VALU_DEP_1)
	v_add3_u32 v5, v6, v5, 0x407ffff
	v_and_b32_e32 v14, 0xff00000, v5
	v_lshrrev_b32_e32 v5, 20, v5
	s_delay_alu instid0(VALU_DEP_2) | instskip(NEXT) | instid1(VALU_DEP_2)
	v_cmp_ne_u32_e32 vcc_lo, 0x7f00000, v14
	v_cndmask_b32_e32 v5, 0x7e, v5, vcc_lo
; %bb.7:                                ;   in Loop: Header=BB350_4 Depth=1
	s_and_not1_saveexec_b32 s19, s19
; %bb.8:                                ;   in Loop: Header=BB350_4 Depth=1
	v_add_f32_e64 v5, 0x46800000, |v6|
; %bb.9:                                ;   in Loop: Header=BB350_4 Depth=1
	s_or_b32 exec_lo, exec_lo, s19
                                        ; implicit-def: $vgpr14
.LBB350_10:                             ;   in Loop: Header=BB350_4 Depth=1
	s_and_not1_saveexec_b32 s2, s2
; %bb.11:                               ;   in Loop: Header=BB350_4 Depth=1
	v_cmp_lt_u32_e32 vcc_lo, 0x7f800000, v14
	v_cndmask_b32_e32 v5, 0x7e, v13, vcc_lo
; %bb.12:                               ;   in Loop: Header=BB350_4 Depth=1
	s_or_b32 exec_lo, exec_lo, s2
	v_xor_b32_e32 v14, v7, v8
	v_cls_i32_e32 v15, v8
	s_mov_b32 s2, exec_lo
	s_delay_alu instid0(VALU_DEP_2) | instskip(NEXT) | instid1(VALU_DEP_2)
	v_ashrrev_i32_e32 v14, 31, v14
	v_add_nc_u32_e32 v15, -1, v15
	s_delay_alu instid0(VALU_DEP_2) | instskip(NEXT) | instid1(VALU_DEP_1)
	v_add_nc_u32_e32 v14, 32, v14
	v_min_u32_e32 v14, v15, v14
	s_delay_alu instid0(VALU_DEP_1) | instskip(NEXT) | instid1(VALU_DEP_1)
	v_lshlrev_b64 v[7:8], v14, v[7:8]
	v_min_u32_e32 v7, 1, v7
	s_delay_alu instid0(VALU_DEP_1) | instskip(SKIP_1) | instid1(VALU_DEP_2)
	v_or_b32_e32 v7, v8, v7
	v_sub_nc_u32_e32 v8, 32, v14
	v_cvt_f32_i32_e32 v7, v7
	s_delay_alu instid0(VALU_DEP_1) | instskip(NEXT) | instid1(VALU_DEP_1)
	v_ldexp_f32 v7, v7, v8
                                        ; implicit-def: $vgpr8
	v_and_b32_e32 v14, 0x7fffffff, v7
	s_delay_alu instid0(VALU_DEP_1)
	v_cmpx_gt_u32_e32 0x43f00000, v14
	s_xor_b32 s2, exec_lo, s2
	s_cbranch_execz .LBB350_18
; %bb.13:                               ;   in Loop: Header=BB350_4 Depth=1
	s_mov_b32 s19, exec_lo
                                        ; implicit-def: $vgpr8
	v_cmpx_lt_u32_e32 0x3c7fffff, v14
	s_xor_b32 s19, exec_lo, s19
; %bb.14:                               ;   in Loop: Header=BB350_4 Depth=1
	v_bfe_u32 v8, v7, 20, 1
	s_delay_alu instid0(VALU_DEP_1) | instskip(NEXT) | instid1(VALU_DEP_1)
	v_add3_u32 v8, v7, v8, 0x407ffff
	v_and_b32_e32 v14, 0xff00000, v8
	v_lshrrev_b32_e32 v8, 20, v8
	s_delay_alu instid0(VALU_DEP_2) | instskip(NEXT) | instid1(VALU_DEP_2)
	v_cmp_ne_u32_e32 vcc_lo, 0x7f00000, v14
	v_cndmask_b32_e32 v8, 0x7e, v8, vcc_lo
; %bb.15:                               ;   in Loop: Header=BB350_4 Depth=1
	s_and_not1_saveexec_b32 s19, s19
; %bb.16:                               ;   in Loop: Header=BB350_4 Depth=1
	v_add_f32_e64 v8, 0x46800000, |v7|
; %bb.17:                               ;   in Loop: Header=BB350_4 Depth=1
	s_or_b32 exec_lo, exec_lo, s19
                                        ; implicit-def: $vgpr14
.LBB350_18:                             ;   in Loop: Header=BB350_4 Depth=1
	s_and_not1_saveexec_b32 s2, s2
; %bb.19:                               ;   in Loop: Header=BB350_4 Depth=1
	v_cmp_lt_u32_e32 vcc_lo, 0x7f800000, v14
	v_cndmask_b32_e32 v8, 0x7e, v13, vcc_lo
; %bb.20:                               ;   in Loop: Header=BB350_4 Depth=1
	s_or_b32 exec_lo, exec_lo, s2
	s_waitcnt vmcnt(0)
	v_xor_b32_e32 v14, v1, v2
	v_cls_i32_e32 v15, v2
	s_mov_b32 s2, exec_lo
	s_delay_alu instid0(VALU_DEP_2) | instskip(NEXT) | instid1(VALU_DEP_2)
	v_ashrrev_i32_e32 v14, 31, v14
	v_add_nc_u32_e32 v15, -1, v15
	s_delay_alu instid0(VALU_DEP_2) | instskip(NEXT) | instid1(VALU_DEP_1)
	v_add_nc_u32_e32 v14, 32, v14
	v_min_u32_e32 v14, v15, v14
	s_delay_alu instid0(VALU_DEP_1) | instskip(NEXT) | instid1(VALU_DEP_1)
	v_lshlrev_b64 v[1:2], v14, v[1:2]
	v_min_u32_e32 v1, 1, v1
	s_delay_alu instid0(VALU_DEP_1) | instskip(SKIP_1) | instid1(VALU_DEP_2)
	v_or_b32_e32 v1, v2, v1
	v_sub_nc_u32_e32 v2, 32, v14
	v_cvt_f32_i32_e32 v1, v1
	s_delay_alu instid0(VALU_DEP_1) | instskip(NEXT) | instid1(VALU_DEP_1)
	v_ldexp_f32 v1, v1, v2
                                        ; implicit-def: $vgpr2
	v_and_b32_e32 v14, 0x7fffffff, v1
	s_delay_alu instid0(VALU_DEP_1)
	v_cmpx_gt_u32_e32 0x43f00000, v14
	s_xor_b32 s2, exec_lo, s2
	s_cbranch_execz .LBB350_26
; %bb.21:                               ;   in Loop: Header=BB350_4 Depth=1
	s_mov_b32 s19, exec_lo
                                        ; implicit-def: $vgpr2
	v_cmpx_lt_u32_e32 0x3c7fffff, v14
	s_xor_b32 s19, exec_lo, s19
; %bb.22:                               ;   in Loop: Header=BB350_4 Depth=1
	v_bfe_u32 v2, v1, 20, 1
	s_delay_alu instid0(VALU_DEP_1) | instskip(NEXT) | instid1(VALU_DEP_1)
	v_add3_u32 v2, v1, v2, 0x407ffff
	v_and_b32_e32 v14, 0xff00000, v2
	v_lshrrev_b32_e32 v2, 20, v2
	s_delay_alu instid0(VALU_DEP_2) | instskip(NEXT) | instid1(VALU_DEP_2)
	v_cmp_ne_u32_e32 vcc_lo, 0x7f00000, v14
	v_cndmask_b32_e32 v2, 0x7e, v2, vcc_lo
; %bb.23:                               ;   in Loop: Header=BB350_4 Depth=1
	s_and_not1_saveexec_b32 s19, s19
; %bb.24:                               ;   in Loop: Header=BB350_4 Depth=1
	v_add_f32_e64 v2, 0x46800000, |v1|
; %bb.25:                               ;   in Loop: Header=BB350_4 Depth=1
	s_or_b32 exec_lo, exec_lo, s19
                                        ; implicit-def: $vgpr14
.LBB350_26:                             ;   in Loop: Header=BB350_4 Depth=1
	s_and_not1_saveexec_b32 s2, s2
; %bb.27:                               ;   in Loop: Header=BB350_4 Depth=1
	v_cmp_lt_u32_e32 vcc_lo, 0x7f800000, v14
	v_cndmask_b32_e32 v2, 0x7e, v13, vcc_lo
; %bb.28:                               ;   in Loop: Header=BB350_4 Depth=1
	s_or_b32 exec_lo, exec_lo, s2
	v_xor_b32_e32 v14, v3, v4
	v_cls_i32_e32 v15, v4
	s_mov_b32 s2, exec_lo
	s_delay_alu instid0(VALU_DEP_2) | instskip(NEXT) | instid1(VALU_DEP_2)
	v_ashrrev_i32_e32 v14, 31, v14
	v_add_nc_u32_e32 v15, -1, v15
	s_delay_alu instid0(VALU_DEP_2) | instskip(NEXT) | instid1(VALU_DEP_1)
	v_add_nc_u32_e32 v14, 32, v14
	v_min_u32_e32 v14, v15, v14
	s_delay_alu instid0(VALU_DEP_1) | instskip(NEXT) | instid1(VALU_DEP_1)
	v_lshlrev_b64 v[3:4], v14, v[3:4]
	v_min_u32_e32 v3, 1, v3
	s_delay_alu instid0(VALU_DEP_1) | instskip(SKIP_1) | instid1(VALU_DEP_2)
	v_or_b32_e32 v3, v4, v3
	v_sub_nc_u32_e32 v4, 32, v14
	v_cvt_f32_i32_e32 v3, v3
	s_delay_alu instid0(VALU_DEP_1) | instskip(NEXT) | instid1(VALU_DEP_1)
	v_ldexp_f32 v3, v3, v4
                                        ; implicit-def: $vgpr4
	v_and_b32_e32 v14, 0x7fffffff, v3
	s_delay_alu instid0(VALU_DEP_1)
	v_cmpx_gt_u32_e32 0x43f00000, v14
	s_xor_b32 s2, exec_lo, s2
	s_cbranch_execz .LBB350_34
; %bb.29:                               ;   in Loop: Header=BB350_4 Depth=1
	s_mov_b32 s19, exec_lo
                                        ; implicit-def: $vgpr4
	v_cmpx_lt_u32_e32 0x3c7fffff, v14
	s_xor_b32 s19, exec_lo, s19
; %bb.30:                               ;   in Loop: Header=BB350_4 Depth=1
	v_bfe_u32 v4, v3, 20, 1
	s_delay_alu instid0(VALU_DEP_1) | instskip(NEXT) | instid1(VALU_DEP_1)
	v_add3_u32 v4, v3, v4, 0x407ffff
	v_and_b32_e32 v14, 0xff00000, v4
	v_lshrrev_b32_e32 v4, 20, v4
	s_delay_alu instid0(VALU_DEP_2) | instskip(NEXT) | instid1(VALU_DEP_2)
	v_cmp_ne_u32_e32 vcc_lo, 0x7f00000, v14
	v_cndmask_b32_e32 v4, 0x7e, v4, vcc_lo
; %bb.31:                               ;   in Loop: Header=BB350_4 Depth=1
	s_and_not1_saveexec_b32 s19, s19
; %bb.32:                               ;   in Loop: Header=BB350_4 Depth=1
	v_add_f32_e64 v4, 0x46800000, |v3|
; %bb.33:                               ;   in Loop: Header=BB350_4 Depth=1
	s_or_b32 exec_lo, exec_lo, s19
                                        ; implicit-def: $vgpr14
.LBB350_34:                             ;   in Loop: Header=BB350_4 Depth=1
	s_and_not1_saveexec_b32 s2, s2
	s_cbranch_execz .LBB350_3
; %bb.35:                               ;   in Loop: Header=BB350_4 Depth=1
	v_cmp_lt_u32_e32 vcc_lo, 0x7f800000, v14
	v_cndmask_b32_e32 v4, 0x7e, v13, vcc_lo
	s_branch .LBB350_3
.LBB350_36:
	s_or_b32 exec_lo, exec_lo, s3
	s_mov_b32 s2, 0
.LBB350_37:
	s_delay_alu instid0(SALU_CYCLE_1)
	s_and_not1_b32 vcc_lo, exec_lo, s2
	s_cbranch_vccnz .LBB350_89
; %bb.38:
	v_cmp_lt_i64_e64 s2, s[4:5], 1
	s_delay_alu instid0(VALU_DEP_1)
	s_and_b32 vcc_lo, exec_lo, s2
	s_cbranch_vccnz .LBB350_89
; %bb.39:
	s_load_b32 s0, s[0:1], 0xc5c
	v_cmp_gt_u64_e64 s1, 0x10000, s[4:5]
	v_add_co_u32 v5, s2, s8, v0
	v_lshlrev_b32_e32 v1, 3, v0
	v_add_co_ci_u32_e64 v6, null, s9, 0, s2
	s_delay_alu instid0(VALU_DEP_3) | instskip(SKIP_1) | instid1(VALU_DEP_3)
	v_add_co_u32 v21, vcc_lo, s6, v5
	v_mov_b32_e32 v35, 0x7f
	v_add_co_ci_u32_e32 v22, vcc_lo, s7, v6, vcc_lo
                                        ; implicit-def: $vgpr9_vgpr10
                                        ; implicit-def: $vgpr11_vgpr12
                                        ; implicit-def: $vgpr7_vgpr8
	s_waitcnt lgkmcnt(0)
	s_and_b32 s0, s0, 0xffff
	s_and_b32 s1, s1, exec_lo
	s_cselect_b32 s3, s5, 0
	s_cselect_b32 s2, s4, 0x10000
	s_lshl_b64 s[10:11], s[10:11], 19
	s_lshl_b32 s14, s0, 1
	s_lshl_b32 s1, s0, 2
	s_add_u32 s12, s12, s10
	s_mul_i32 s15, s0, 3
	s_addc_u32 s13, s13, s11
	s_lshl_b32 s10, s0, 5
	v_add_co_u32 v1, s16, s12, v1
	s_add_u32 s11, s8, s15
	v_add_co_ci_u32_e64 v2, null, s13, 0, s16
	s_addc_u32 s16, s9, 0
	s_add_u32 s11, s6, s11
	s_addc_u32 s16, s7, s16
	v_add_co_u32 v23, s11, s11, v0
	s_delay_alu instid0(VALU_DEP_1)
	v_add_co_ci_u32_e64 v24, null, s16, 0, s11
	v_add_co_u32 v25, s11, s15, v0
	v_add_co_u32 v27, s15, v0, s0
	v_add_co_ci_u32_e64 v26, null, 0, 0, s11
	s_lshl_b32 s11, s0, 4
	s_add_u32 s8, s8, s14
	s_addc_u32 s9, s9, 0
	s_add_u32 s8, s6, s8
	v_lshlrev_b32_e32 v3, 3, v27
	s_addc_u32 s9, s7, s9
	v_add_co_u32 v28, s8, s8, v0
	s_delay_alu instid0(VALU_DEP_1)
	v_add_co_ci_u32_e64 v29, null, s9, 0, s8
	v_add_co_u32 v31, s8, s14, v0
	s_add_u32 s6, s6, s0
	v_add_co_ci_u32_e64 v32, null, 0, 0, s8
	v_add_co_u32 v3, s8, s12, v3
	s_addc_u32 s7, s7, 0
	v_add_co_u32 v33, vcc_lo, s6, v5
	v_add_co_ci_u32_e64 v30, null, 0, 0, s15
	v_add_co_ci_u32_e64 v4, null, s13, 0, s8
	v_add_co_ci_u32_e32 v34, vcc_lo, s7, v6, vcc_lo
	s_mul_i32 s8, s0, 24
	s_mov_b64 s[6:7], 0
                                        ; implicit-def: $vgpr5_vgpr6
	s_branch .LBB350_41
.LBB350_40:                             ;   in Loop: Header=BB350_41 Depth=1
	s_or_b32 exec_lo, exec_lo, s0
	s_add_u32 s6, s6, s1
	s_addc_u32 s7, s7, 0
	v_add_co_u32 v1, vcc_lo, v1, s10
	v_cmp_ge_i64_e64 s0, s[6:7], s[4:5]
	v_cmp_lt_u64_e64 s9, 0xffff, s[6:7]
	v_add_co_ci_u32_e32 v2, vcc_lo, 0, v2, vcc_lo
	v_add_co_u32 v3, vcc_lo, v3, s10
	v_add_co_ci_u32_e32 v4, vcc_lo, 0, v4, vcc_lo
	s_delay_alu instid0(VALU_DEP_4) | instskip(NEXT) | instid1(SALU_CYCLE_1)
	s_or_b32 s0, s0, s9
	s_and_b32 vcc_lo, exec_lo, s0
	s_cbranch_vccnz .LBB350_89
.LBB350_41:                             ; =>This Inner Loop Header: Depth=1
	v_add_co_u32 v13, s0, v0, s6
	s_delay_alu instid0(VALU_DEP_1) | instskip(NEXT) | instid1(VALU_DEP_1)
	v_add_co_ci_u32_e64 v14, null, 0, s7, s0
	v_cmp_gt_i64_e32 vcc_lo, s[4:5], v[13:14]
	v_cmp_gt_u64_e64 s0, 0x10000, v[13:14]
	s_delay_alu instid0(VALU_DEP_1) | instskip(NEXT) | instid1(SALU_CYCLE_1)
	s_and_b32 s9, vcc_lo, s0
	s_and_saveexec_b32 s0, s9
	s_cbranch_execz .LBB350_43
; %bb.42:                               ;   in Loop: Header=BB350_41 Depth=1
	global_load_b64 v[7:8], v[1:2], off
.LBB350_43:                             ;   in Loop: Header=BB350_41 Depth=1
	s_or_b32 exec_lo, exec_lo, s0
	v_add_co_u32 v15, vcc_lo, v27, s6
	v_add_co_ci_u32_e32 v16, vcc_lo, s7, v30, vcc_lo
	s_delay_alu instid0(VALU_DEP_1) | instskip(SKIP_1) | instid1(VALU_DEP_1)
	v_cmp_gt_i64_e32 vcc_lo, s[4:5], v[15:16]
	v_cmp_gt_u64_e64 s0, 0x10000, v[15:16]
	s_and_b32 s9, vcc_lo, s0
	s_delay_alu instid0(SALU_CYCLE_1)
	s_and_saveexec_b32 s0, s9
	s_cbranch_execz .LBB350_45
; %bb.44:                               ;   in Loop: Header=BB350_41 Depth=1
	global_load_b64 v[5:6], v[3:4], off
.LBB350_45:                             ;   in Loop: Header=BB350_41 Depth=1
	s_or_b32 exec_lo, exec_lo, s0
	v_add_co_u32 v17, vcc_lo, v31, s6
	v_add_co_ci_u32_e32 v18, vcc_lo, s7, v32, vcc_lo
	s_delay_alu instid0(VALU_DEP_1) | instskip(SKIP_1) | instid1(VALU_DEP_1)
	v_cmp_gt_i64_e32 vcc_lo, s[4:5], v[17:18]
	v_cmp_gt_u64_e64 s0, 0x10000, v[17:18]
	s_and_b32 s9, vcc_lo, s0
	s_delay_alu instid0(SALU_CYCLE_1)
	s_and_saveexec_b32 s0, s9
	s_cbranch_execz .LBB350_47
; %bb.46:                               ;   in Loop: Header=BB350_41 Depth=1
	v_add_co_u32 v11, vcc_lo, v1, s11
	v_add_co_ci_u32_e32 v12, vcc_lo, 0, v2, vcc_lo
	global_load_b64 v[11:12], v[11:12], off
.LBB350_47:                             ;   in Loop: Header=BB350_41 Depth=1
	s_or_b32 exec_lo, exec_lo, s0
	v_add_co_u32 v19, vcc_lo, v25, s6
	v_add_co_ci_u32_e32 v20, vcc_lo, s7, v26, vcc_lo
	s_delay_alu instid0(VALU_DEP_1) | instskip(SKIP_1) | instid1(VALU_DEP_1)
	v_cmp_gt_i64_e32 vcc_lo, s[4:5], v[19:20]
	v_cmp_gt_u64_e64 s0, 0x10000, v[19:20]
	s_and_b32 s9, vcc_lo, s0
	s_delay_alu instid0(SALU_CYCLE_1)
	s_and_saveexec_b32 s0, s9
	s_cbranch_execz .LBB350_49
; %bb.48:                               ;   in Loop: Header=BB350_41 Depth=1
	v_add_co_u32 v9, vcc_lo, v1, s8
	v_add_co_ci_u32_e32 v10, vcc_lo, 0, v2, vcc_lo
	global_load_b64 v[9:10], v[9:10], off
.LBB350_49:                             ;   in Loop: Header=BB350_41 Depth=1
	s_or_b32 exec_lo, exec_lo, s0
	s_waitcnt vmcnt(0)
	v_xor_b32_e32 v36, v7, v8
	v_cls_i32_e32 v37, v8
	s_mov_b32 s0, exec_lo
	s_delay_alu instid0(VALU_DEP_2) | instskip(NEXT) | instid1(VALU_DEP_2)
	v_ashrrev_i32_e32 v36, 31, v36
	v_add_nc_u32_e32 v37, -1, v37
	s_delay_alu instid0(VALU_DEP_2) | instskip(NEXT) | instid1(VALU_DEP_1)
	v_add_nc_u32_e32 v36, 32, v36
	v_min_u32_e32 v38, v37, v36
	s_delay_alu instid0(VALU_DEP_1) | instskip(NEXT) | instid1(VALU_DEP_1)
	v_lshlrev_b64 v[36:37], v38, v[7:8]
	v_min_u32_e32 v36, 1, v36
	s_delay_alu instid0(VALU_DEP_1) | instskip(SKIP_1) | instid1(VALU_DEP_2)
	v_or_b32_e32 v36, v37, v36
	v_sub_nc_u32_e32 v37, 32, v38
	v_cvt_f32_i32_e32 v36, v36
	s_delay_alu instid0(VALU_DEP_1) | instskip(NEXT) | instid1(VALU_DEP_1)
	v_ldexp_f32 v36, v36, v37
                                        ; implicit-def: $vgpr37
	v_and_b32_e32 v38, 0x7fffffff, v36
	s_delay_alu instid0(VALU_DEP_1)
	v_cmpx_gt_u32_e32 0x43f00000, v38
	s_xor_b32 s0, exec_lo, s0
	s_cbranch_execz .LBB350_55
; %bb.50:                               ;   in Loop: Header=BB350_41 Depth=1
	s_mov_b32 s9, exec_lo
                                        ; implicit-def: $vgpr37
	v_cmpx_lt_u32_e32 0x3c7fffff, v38
	s_xor_b32 s9, exec_lo, s9
; %bb.51:                               ;   in Loop: Header=BB350_41 Depth=1
	v_bfe_u32 v37, v36, 20, 1
	s_delay_alu instid0(VALU_DEP_1) | instskip(NEXT) | instid1(VALU_DEP_1)
	v_add3_u32 v37, v36, v37, 0x407ffff
	v_and_b32_e32 v38, 0xff00000, v37
	v_lshrrev_b32_e32 v37, 20, v37
	s_delay_alu instid0(VALU_DEP_2) | instskip(NEXT) | instid1(VALU_DEP_2)
	v_cmp_ne_u32_e32 vcc_lo, 0x7f00000, v38
	v_cndmask_b32_e32 v37, 0x7e, v37, vcc_lo
; %bb.52:                               ;   in Loop: Header=BB350_41 Depth=1
	s_and_not1_saveexec_b32 s9, s9
; %bb.53:                               ;   in Loop: Header=BB350_41 Depth=1
	v_add_f32_e64 v37, 0x46800000, |v36|
; %bb.54:                               ;   in Loop: Header=BB350_41 Depth=1
	s_or_b32 exec_lo, exec_lo, s9
                                        ; implicit-def: $vgpr38
.LBB350_55:                             ;   in Loop: Header=BB350_41 Depth=1
	s_and_not1_saveexec_b32 s0, s0
; %bb.56:                               ;   in Loop: Header=BB350_41 Depth=1
	v_cmp_lt_u32_e32 vcc_lo, 0x7f800000, v38
	v_cndmask_b32_e32 v37, 0x7e, v35, vcc_lo
; %bb.57:                               ;   in Loop: Header=BB350_41 Depth=1
	s_or_b32 exec_lo, exec_lo, s0
	v_xor_b32_e32 v38, v5, v6
	v_cls_i32_e32 v39, v6
	s_mov_b32 s0, exec_lo
	s_delay_alu instid0(VALU_DEP_2) | instskip(NEXT) | instid1(VALU_DEP_2)
	v_ashrrev_i32_e32 v38, 31, v38
	v_add_nc_u32_e32 v39, -1, v39
	s_delay_alu instid0(VALU_DEP_2) | instskip(NEXT) | instid1(VALU_DEP_1)
	v_add_nc_u32_e32 v38, 32, v38
	v_min_u32_e32 v40, v39, v38
	s_delay_alu instid0(VALU_DEP_1) | instskip(NEXT) | instid1(VALU_DEP_1)
	v_lshlrev_b64 v[38:39], v40, v[5:6]
	v_min_u32_e32 v38, 1, v38
	s_delay_alu instid0(VALU_DEP_1) | instskip(SKIP_1) | instid1(VALU_DEP_2)
	v_or_b32_e32 v38, v39, v38
	v_sub_nc_u32_e32 v39, 32, v40
	v_cvt_f32_i32_e32 v38, v38
	s_delay_alu instid0(VALU_DEP_1) | instskip(NEXT) | instid1(VALU_DEP_1)
	v_ldexp_f32 v38, v38, v39
                                        ; implicit-def: $vgpr39
	v_and_b32_e32 v40, 0x7fffffff, v38
	s_delay_alu instid0(VALU_DEP_1)
	v_cmpx_gt_u32_e32 0x43f00000, v40
	s_xor_b32 s0, exec_lo, s0
	s_cbranch_execz .LBB350_63
; %bb.58:                               ;   in Loop: Header=BB350_41 Depth=1
	s_mov_b32 s9, exec_lo
                                        ; implicit-def: $vgpr39
	v_cmpx_lt_u32_e32 0x3c7fffff, v40
	s_xor_b32 s9, exec_lo, s9
; %bb.59:                               ;   in Loop: Header=BB350_41 Depth=1
	v_bfe_u32 v39, v38, 20, 1
	s_delay_alu instid0(VALU_DEP_1) | instskip(NEXT) | instid1(VALU_DEP_1)
	v_add3_u32 v39, v38, v39, 0x407ffff
	v_and_b32_e32 v40, 0xff00000, v39
	v_lshrrev_b32_e32 v39, 20, v39
	s_delay_alu instid0(VALU_DEP_2) | instskip(NEXT) | instid1(VALU_DEP_2)
	v_cmp_ne_u32_e32 vcc_lo, 0x7f00000, v40
	v_cndmask_b32_e32 v39, 0x7e, v39, vcc_lo
; %bb.60:                               ;   in Loop: Header=BB350_41 Depth=1
	s_and_not1_saveexec_b32 s9, s9
; %bb.61:                               ;   in Loop: Header=BB350_41 Depth=1
	v_add_f32_e64 v39, 0x46800000, |v38|
; %bb.62:                               ;   in Loop: Header=BB350_41 Depth=1
	s_or_b32 exec_lo, exec_lo, s9
                                        ; implicit-def: $vgpr40
.LBB350_63:                             ;   in Loop: Header=BB350_41 Depth=1
	s_and_not1_saveexec_b32 s0, s0
; %bb.64:                               ;   in Loop: Header=BB350_41 Depth=1
	v_cmp_lt_u32_e32 vcc_lo, 0x7f800000, v40
	v_cndmask_b32_e32 v39, 0x7e, v35, vcc_lo
; %bb.65:                               ;   in Loop: Header=BB350_41 Depth=1
	s_or_b32 exec_lo, exec_lo, s0
	v_xor_b32_e32 v40, v11, v12
	v_cls_i32_e32 v41, v12
	s_mov_b32 s0, exec_lo
	s_delay_alu instid0(VALU_DEP_2) | instskip(NEXT) | instid1(VALU_DEP_2)
	v_ashrrev_i32_e32 v40, 31, v40
	v_add_nc_u32_e32 v41, -1, v41
	s_delay_alu instid0(VALU_DEP_2) | instskip(NEXT) | instid1(VALU_DEP_1)
	v_add_nc_u32_e32 v40, 32, v40
	v_min_u32_e32 v42, v41, v40
	s_delay_alu instid0(VALU_DEP_1) | instskip(NEXT) | instid1(VALU_DEP_1)
	v_lshlrev_b64 v[40:41], v42, v[11:12]
	v_min_u32_e32 v40, 1, v40
	s_delay_alu instid0(VALU_DEP_1) | instskip(SKIP_1) | instid1(VALU_DEP_2)
	v_or_b32_e32 v40, v41, v40
	v_sub_nc_u32_e32 v41, 32, v42
	v_cvt_f32_i32_e32 v40, v40
	s_delay_alu instid0(VALU_DEP_1) | instskip(NEXT) | instid1(VALU_DEP_1)
	v_ldexp_f32 v40, v40, v41
                                        ; implicit-def: $vgpr41
	v_and_b32_e32 v42, 0x7fffffff, v40
	s_delay_alu instid0(VALU_DEP_1)
	v_cmpx_gt_u32_e32 0x43f00000, v42
	s_xor_b32 s0, exec_lo, s0
	s_cbranch_execz .LBB350_71
; %bb.66:                               ;   in Loop: Header=BB350_41 Depth=1
	s_mov_b32 s9, exec_lo
                                        ; implicit-def: $vgpr41
	v_cmpx_lt_u32_e32 0x3c7fffff, v42
	s_xor_b32 s9, exec_lo, s9
; %bb.67:                               ;   in Loop: Header=BB350_41 Depth=1
	v_bfe_u32 v41, v40, 20, 1
	s_delay_alu instid0(VALU_DEP_1) | instskip(NEXT) | instid1(VALU_DEP_1)
	v_add3_u32 v41, v40, v41, 0x407ffff
	v_and_b32_e32 v42, 0xff00000, v41
	v_lshrrev_b32_e32 v41, 20, v41
	s_delay_alu instid0(VALU_DEP_2) | instskip(NEXT) | instid1(VALU_DEP_2)
	v_cmp_ne_u32_e32 vcc_lo, 0x7f00000, v42
	v_cndmask_b32_e32 v41, 0x7e, v41, vcc_lo
; %bb.68:                               ;   in Loop: Header=BB350_41 Depth=1
	s_and_not1_saveexec_b32 s9, s9
; %bb.69:                               ;   in Loop: Header=BB350_41 Depth=1
	v_add_f32_e64 v41, 0x46800000, |v40|
; %bb.70:                               ;   in Loop: Header=BB350_41 Depth=1
	s_or_b32 exec_lo, exec_lo, s9
                                        ; implicit-def: $vgpr42
.LBB350_71:                             ;   in Loop: Header=BB350_41 Depth=1
	s_and_not1_saveexec_b32 s0, s0
; %bb.72:                               ;   in Loop: Header=BB350_41 Depth=1
	v_cmp_lt_u32_e32 vcc_lo, 0x7f800000, v42
	v_cndmask_b32_e32 v41, 0x7e, v35, vcc_lo
; %bb.73:                               ;   in Loop: Header=BB350_41 Depth=1
	s_or_b32 exec_lo, exec_lo, s0
	v_xor_b32_e32 v42, v9, v10
	v_cls_i32_e32 v43, v10
	s_mov_b32 s0, exec_lo
	s_delay_alu instid0(VALU_DEP_2) | instskip(NEXT) | instid1(VALU_DEP_2)
	v_ashrrev_i32_e32 v42, 31, v42
	v_add_nc_u32_e32 v43, -1, v43
	s_delay_alu instid0(VALU_DEP_2) | instskip(NEXT) | instid1(VALU_DEP_1)
	v_add_nc_u32_e32 v42, 32, v42
	v_min_u32_e32 v44, v43, v42
	s_delay_alu instid0(VALU_DEP_1) | instskip(NEXT) | instid1(VALU_DEP_1)
	v_lshlrev_b64 v[42:43], v44, v[9:10]
	v_min_u32_e32 v42, 1, v42
	s_delay_alu instid0(VALU_DEP_1) | instskip(SKIP_1) | instid1(VALU_DEP_2)
	v_or_b32_e32 v42, v43, v42
	v_sub_nc_u32_e32 v43, 32, v44
	v_cvt_f32_i32_e32 v42, v42
	s_delay_alu instid0(VALU_DEP_1) | instskip(NEXT) | instid1(VALU_DEP_1)
	v_ldexp_f32 v42, v42, v43
                                        ; implicit-def: $vgpr43
	v_and_b32_e32 v44, 0x7fffffff, v42
	s_delay_alu instid0(VALU_DEP_1)
	v_cmpx_gt_u32_e32 0x43f00000, v44
	s_xor_b32 s0, exec_lo, s0
	s_cbranch_execz .LBB350_79
; %bb.74:                               ;   in Loop: Header=BB350_41 Depth=1
	s_mov_b32 s9, exec_lo
                                        ; implicit-def: $vgpr43
	v_cmpx_lt_u32_e32 0x3c7fffff, v44
	s_xor_b32 s9, exec_lo, s9
; %bb.75:                               ;   in Loop: Header=BB350_41 Depth=1
	v_bfe_u32 v43, v42, 20, 1
	s_delay_alu instid0(VALU_DEP_1) | instskip(NEXT) | instid1(VALU_DEP_1)
	v_add3_u32 v43, v42, v43, 0x407ffff
	v_and_b32_e32 v44, 0xff00000, v43
	v_lshrrev_b32_e32 v43, 20, v43
	s_delay_alu instid0(VALU_DEP_2) | instskip(NEXT) | instid1(VALU_DEP_2)
	v_cmp_ne_u32_e32 vcc_lo, 0x7f00000, v44
	v_cndmask_b32_e32 v43, 0x7e, v43, vcc_lo
; %bb.76:                               ;   in Loop: Header=BB350_41 Depth=1
	s_and_not1_saveexec_b32 s9, s9
; %bb.77:                               ;   in Loop: Header=BB350_41 Depth=1
	v_add_f32_e64 v43, 0x46800000, |v42|
; %bb.78:                               ;   in Loop: Header=BB350_41 Depth=1
	s_or_b32 exec_lo, exec_lo, s9
                                        ; implicit-def: $vgpr44
.LBB350_79:                             ;   in Loop: Header=BB350_41 Depth=1
	s_and_not1_saveexec_b32 s0, s0
; %bb.80:                               ;   in Loop: Header=BB350_41 Depth=1
	v_cmp_lt_u32_e32 vcc_lo, 0x7f800000, v44
	v_cndmask_b32_e32 v43, 0x7e, v35, vcc_lo
; %bb.81:                               ;   in Loop: Header=BB350_41 Depth=1
	s_or_b32 exec_lo, exec_lo, s0
	s_delay_alu instid0(SALU_CYCLE_1)
	s_mov_b32 s0, exec_lo
	v_cmpx_gt_u64_e64 s[2:3], v[13:14]
	s_xor_b32 s0, exec_lo, s0
	s_cbranch_execnz .LBB350_85
; %bb.82:                               ;   in Loop: Header=BB350_41 Depth=1
	s_or_b32 exec_lo, exec_lo, s0
	s_delay_alu instid0(SALU_CYCLE_1)
	s_mov_b32 s0, exec_lo
	v_cmpx_gt_u64_e64 s[2:3], v[15:16]
	s_cbranch_execnz .LBB350_86
.LBB350_83:                             ;   in Loop: Header=BB350_41 Depth=1
	s_or_b32 exec_lo, exec_lo, s0
	s_delay_alu instid0(SALU_CYCLE_1)
	s_mov_b32 s0, exec_lo
	v_cmpx_gt_u64_e64 s[2:3], v[17:18]
	s_cbranch_execnz .LBB350_87
.LBB350_84:                             ;   in Loop: Header=BB350_41 Depth=1
	s_or_b32 exec_lo, exec_lo, s0
	s_delay_alu instid0(SALU_CYCLE_1)
	s_mov_b32 s0, exec_lo
	v_cmpx_gt_u64_e64 s[2:3], v[19:20]
	s_cbranch_execz .LBB350_40
	s_branch .LBB350_88
.LBB350_85:                             ;   in Loop: Header=BB350_41 Depth=1
	v_lshrrev_b32_e32 v13, 24, v36
	s_delay_alu instid0(VALU_DEP_1) | instskip(SKIP_4) | instid1(SALU_CYCLE_1)
	v_and_or_b32 v36, 0x80, v13, v37
	v_add_co_u32 v13, vcc_lo, v21, s6
	v_add_co_ci_u32_e32 v14, vcc_lo, s7, v22, vcc_lo
	global_store_b8 v[13:14], v36, off
	s_or_b32 exec_lo, exec_lo, s0
	s_mov_b32 s0, exec_lo
	v_cmpx_gt_u64_e64 s[2:3], v[15:16]
	s_cbranch_execz .LBB350_83
.LBB350_86:                             ;   in Loop: Header=BB350_41 Depth=1
	v_lshrrev_b32_e32 v13, 24, v38
	s_delay_alu instid0(VALU_DEP_1) | instskip(SKIP_4) | instid1(SALU_CYCLE_1)
	v_and_or_b32 v15, 0x80, v13, v39
	v_add_co_u32 v13, vcc_lo, v33, s6
	v_add_co_ci_u32_e32 v14, vcc_lo, s7, v34, vcc_lo
	global_store_b8 v[13:14], v15, off
	s_or_b32 exec_lo, exec_lo, s0
	s_mov_b32 s0, exec_lo
	v_cmpx_gt_u64_e64 s[2:3], v[17:18]
	s_cbranch_execz .LBB350_84
.LBB350_87:                             ;   in Loop: Header=BB350_41 Depth=1
	v_lshrrev_b32_e32 v13, 24, v40
	s_delay_alu instid0(VALU_DEP_1) | instskip(SKIP_4) | instid1(SALU_CYCLE_1)
	v_and_or_b32 v15, 0x80, v13, v41
	v_add_co_u32 v13, vcc_lo, v28, s6
	v_add_co_ci_u32_e32 v14, vcc_lo, s7, v29, vcc_lo
	global_store_b8 v[13:14], v15, off
	s_or_b32 exec_lo, exec_lo, s0
	s_mov_b32 s0, exec_lo
	v_cmpx_gt_u64_e64 s[2:3], v[19:20]
	s_cbranch_execz .LBB350_40
.LBB350_88:                             ;   in Loop: Header=BB350_41 Depth=1
	v_lshrrev_b32_e32 v13, 24, v42
	s_delay_alu instid0(VALU_DEP_1)
	v_and_or_b32 v15, 0x80, v13, v43
	v_add_co_u32 v13, vcc_lo, v23, s6
	v_add_co_ci_u32_e32 v14, vcc_lo, s7, v24, vcc_lo
	global_store_b8 v[13:14], v15, off
	s_branch .LBB350_40
.LBB350_89:
	s_nop 0
	s_sendmsg sendmsg(MSG_DEALLOC_VGPRS)
	s_endpgm
	.section	.rodata,"a",@progbits
	.p2align	6, 0x0
	.amdhsa_kernel _ZN2at6native12_GLOBAL__N_125multi_tensor_apply_kernelINS1_18TensorListMetadataILi2EEENS1_11CopyFunctorIN3c1013Float8_e4m3fnElLi2ELi1ELi1EEEJNS0_4CopyIS7_lEEEEEvT_T0_DpT1_
		.amdhsa_group_segment_fixed_size 0
		.amdhsa_private_segment_fixed_size 0
		.amdhsa_kernarg_size 3408
		.amdhsa_user_sgpr_count 15
		.amdhsa_user_sgpr_dispatch_ptr 0
		.amdhsa_user_sgpr_queue_ptr 0
		.amdhsa_user_sgpr_kernarg_segment_ptr 1
		.amdhsa_user_sgpr_dispatch_id 0
		.amdhsa_user_sgpr_private_segment_size 0
		.amdhsa_wavefront_size32 1
		.amdhsa_uses_dynamic_stack 0
		.amdhsa_enable_private_segment 0
		.amdhsa_system_sgpr_workgroup_id_x 1
		.amdhsa_system_sgpr_workgroup_id_y 0
		.amdhsa_system_sgpr_workgroup_id_z 0
		.amdhsa_system_sgpr_workgroup_info 0
		.amdhsa_system_vgpr_workitem_id 0
		.amdhsa_next_free_vgpr 45
		.amdhsa_next_free_sgpr 20
		.amdhsa_reserve_vcc 1
		.amdhsa_float_round_mode_32 0
		.amdhsa_float_round_mode_16_64 0
		.amdhsa_float_denorm_mode_32 3
		.amdhsa_float_denorm_mode_16_64 3
		.amdhsa_dx10_clamp 1
		.amdhsa_ieee_mode 1
		.amdhsa_fp16_overflow 0
		.amdhsa_workgroup_processor_mode 1
		.amdhsa_memory_ordered 1
		.amdhsa_forward_progress 0
		.amdhsa_shared_vgpr_count 0
		.amdhsa_exception_fp_ieee_invalid_op 0
		.amdhsa_exception_fp_denorm_src 0
		.amdhsa_exception_fp_ieee_div_zero 0
		.amdhsa_exception_fp_ieee_overflow 0
		.amdhsa_exception_fp_ieee_underflow 0
		.amdhsa_exception_fp_ieee_inexact 0
		.amdhsa_exception_int_div_zero 0
	.end_amdhsa_kernel
	.section	.text._ZN2at6native12_GLOBAL__N_125multi_tensor_apply_kernelINS1_18TensorListMetadataILi2EEENS1_11CopyFunctorIN3c1013Float8_e4m3fnElLi2ELi1ELi1EEEJNS0_4CopyIS7_lEEEEEvT_T0_DpT1_,"axG",@progbits,_ZN2at6native12_GLOBAL__N_125multi_tensor_apply_kernelINS1_18TensorListMetadataILi2EEENS1_11CopyFunctorIN3c1013Float8_e4m3fnElLi2ELi1ELi1EEEJNS0_4CopyIS7_lEEEEEvT_T0_DpT1_,comdat
.Lfunc_end350:
	.size	_ZN2at6native12_GLOBAL__N_125multi_tensor_apply_kernelINS1_18TensorListMetadataILi2EEENS1_11CopyFunctorIN3c1013Float8_e4m3fnElLi2ELi1ELi1EEEJNS0_4CopyIS7_lEEEEEvT_T0_DpT1_, .Lfunc_end350-_ZN2at6native12_GLOBAL__N_125multi_tensor_apply_kernelINS1_18TensorListMetadataILi2EEENS1_11CopyFunctorIN3c1013Float8_e4m3fnElLi2ELi1ELi1EEEJNS0_4CopyIS7_lEEEEEvT_T0_DpT1_
                                        ; -- End function
	.section	.AMDGPU.csdata,"",@progbits
; Kernel info:
; codeLenInByte = 3328
; NumSgprs: 22
; NumVgprs: 45
; ScratchSize: 0
; MemoryBound: 1
; FloatMode: 240
; IeeeMode: 1
; LDSByteSize: 0 bytes/workgroup (compile time only)
; SGPRBlocks: 2
; VGPRBlocks: 5
; NumSGPRsForWavesPerEU: 22
; NumVGPRsForWavesPerEU: 45
; Occupancy: 16
; WaveLimiterHint : 0
; COMPUTE_PGM_RSRC2:SCRATCH_EN: 0
; COMPUTE_PGM_RSRC2:USER_SGPR: 15
; COMPUTE_PGM_RSRC2:TRAP_HANDLER: 0
; COMPUTE_PGM_RSRC2:TGID_X_EN: 1
; COMPUTE_PGM_RSRC2:TGID_Y_EN: 0
; COMPUTE_PGM_RSRC2:TGID_Z_EN: 0
; COMPUTE_PGM_RSRC2:TIDIG_COMP_CNT: 0
	.section	.text._ZN2at6native12_GLOBAL__N_125multi_tensor_apply_kernelINS1_18TensorListMetadataILi2EEENS1_11CopyFunctorIN3c1013Float8_e4m3fnEsLi2ELi1ELi1EEEJNS0_4CopyIS7_sEEEEEvT_T0_DpT1_,"axG",@progbits,_ZN2at6native12_GLOBAL__N_125multi_tensor_apply_kernelINS1_18TensorListMetadataILi2EEENS1_11CopyFunctorIN3c1013Float8_e4m3fnEsLi2ELi1ELi1EEEJNS0_4CopyIS7_sEEEEEvT_T0_DpT1_,comdat
	.globl	_ZN2at6native12_GLOBAL__N_125multi_tensor_apply_kernelINS1_18TensorListMetadataILi2EEENS1_11CopyFunctorIN3c1013Float8_e4m3fnEsLi2ELi1ELi1EEEJNS0_4CopyIS7_sEEEEEvT_T0_DpT1_ ; -- Begin function _ZN2at6native12_GLOBAL__N_125multi_tensor_apply_kernelINS1_18TensorListMetadataILi2EEENS1_11CopyFunctorIN3c1013Float8_e4m3fnEsLi2ELi1ELi1EEEJNS0_4CopyIS7_sEEEEEvT_T0_DpT1_
	.p2align	8
	.type	_ZN2at6native12_GLOBAL__N_125multi_tensor_apply_kernelINS1_18TensorListMetadataILi2EEENS1_11CopyFunctorIN3c1013Float8_e4m3fnEsLi2ELi1ELi1EEEJNS0_4CopyIS7_sEEEEEvT_T0_DpT1_,@function
_ZN2at6native12_GLOBAL__N_125multi_tensor_apply_kernelINS1_18TensorListMetadataILi2EEENS1_11CopyFunctorIN3c1013Float8_e4m3fnEsLi2ELi1ELi1EEEJNS0_4CopyIS7_sEEEEEvT_T0_DpT1_: ; @_ZN2at6native12_GLOBAL__N_125multi_tensor_apply_kernelINS1_18TensorListMetadataILi2EEENS1_11CopyFunctorIN3c1013Float8_e4m3fnEsLi2ELi1ELi1EEEJNS0_4CopyIS7_sEEEEEvT_T0_DpT1_
; %bb.0:
	v_mov_b32_e32 v1, s15
	s_add_u32 s2, s0, s15
	s_mul_i32 s4, s15, 3
	s_addc_u32 s3, s1, 0
	s_mul_hi_u32 s5, s15, 3
	global_load_u8 v1, v1, s[0:1] offset:1536
	s_add_u32 s2, s2, s4
	s_addc_u32 s3, s3, s5
	s_mov_b32 s17, 0
	s_load_b32 s10, s[2:3], 0x740
	s_waitcnt lgkmcnt(0)
	s_ashr_i32 s11, s10, 31
	s_delay_alu instid0(SALU_CYCLE_1) | instskip(SKIP_2) | instid1(VALU_DEP_1)
	s_lshl_b64 s[8:9], s[10:11], 16
	s_waitcnt vmcnt(0)
	v_readfirstlane_b32 s4, v1
	s_lshl_b32 s4, s4, 3
	s_clause 0x2
	s_load_b64 s[6:7], s[0:1], s4 offset:0x200
	s_load_b64 s[2:3], s[0:1], s4 offset:0x400
	;; [unrolled: 1-line block ×3, first 2 shown]
	s_waitcnt lgkmcnt(0)
	s_add_u32 s14, s6, s8
	s_addc_u32 s15, s7, s9
	s_delay_alu instid0(SALU_CYCLE_1) | instskip(SKIP_2) | instid1(SALU_CYCLE_1)
	s_or_b64 s[4:5], s[2:3], s[14:15]
	s_and_b32 s5, s12, 7
	s_and_b32 s4, s4, 3
	s_or_b32 s16, s4, s5
	s_sub_u32 s4, s2, s8
	s_subb_u32 s5, s3, s9
	s_cmp_eq_u64 s[16:17], 0
	s_mov_b32 s2, -1
	s_cbranch_scc0 .LBB351_37
; %bb.1:
	v_dual_mov_b32 v2, 0 :: v_dual_lshlrev_b32 v1, 2, v0
	s_mov_b32 s3, exec_lo
	s_delay_alu instid0(VALU_DEP_1)
	v_cmpx_gt_i64_e64 s[4:5], v[1:2]
	s_cbranch_execz .LBB351_36
; %bb.2:
	s_load_b32 s2, s[0:1], 0xc5c
	v_lshlrev_b32_e32 v3, 3, v0
	s_lshl_b64 s[16:17], s[10:11], 17
	v_mov_b32_e32 v7, 0x7f
	s_waitcnt lgkmcnt(0)
	s_and_b32 s2, s2, 0xffff
	s_add_u32 s16, s12, s16
	s_addc_u32 s17, s13, s17
	v_add_co_u32 v3, s16, s16, v3
	s_delay_alu instid0(VALU_DEP_1)
	v_add_co_ci_u32_e64 v4, null, s17, 0, s16
	s_mov_b32 s16, 0
	s_lshl_b32 s17, s2, 3
	s_lshl_b32 s18, s2, 2
	s_branch .LBB351_4
.LBB351_3:                              ;   in Loop: Header=BB351_4 Depth=1
	s_or_b32 exec_lo, exec_lo, s2
	v_lshrrev_b32_e32 v11, 24, v11
	v_lshrrev_b32_e32 v5, 24, v5
	v_add_co_u32 v14, vcc_lo, s14, v1
	v_add_co_ci_u32_e32 v15, vcc_lo, s15, v2, vcc_lo
	s_delay_alu instid0(VALU_DEP_4) | instskip(NEXT) | instid1(VALU_DEP_4)
	v_and_b32_e32 v11, 0x80, v11
	v_and_b32_e32 v5, 0x80, v5
	v_add_co_u32 v1, vcc_lo, s18, v1
	v_add_co_ci_u32_e32 v2, vcc_lo, 0, v2, vcc_lo
	s_delay_alu instid0(VALU_DEP_4)
	v_and_or_b32 v11, 0xff, v12, v11
	v_lshrrev_b32_e32 v9, 24, v9
	v_lshlrev_b32_e32 v13, 24, v13
	v_and_or_b32 v5, 0xff, v10, v5
	v_and_b32_e32 v6, 0x80000000, v6
	v_and_b32_e32 v8, 0xff, v8
	v_lshlrev_b32_e32 v10, 16, v11
	v_cmp_le_i64_e32 vcc_lo, s[4:5], v[1:2]
	v_cmp_lt_u64_e64 s2, 0xffff, v[1:2]
	v_lshlrev_b32_e32 v5, 8, v5
	v_and_or_b32 v8, 0x80, v9, v8
	v_or3_b32 v6, v6, v13, v10
	s_delay_alu instid0(VALU_DEP_4) | instskip(SKIP_1) | instid1(VALU_DEP_2)
	s_or_b32 s2, vcc_lo, s2
	v_add_co_u32 v3, vcc_lo, v3, s17
	v_or3_b32 v5, v6, v5, v8
	v_add_co_ci_u32_e32 v4, vcc_lo, 0, v4, vcc_lo
	s_and_b32 s2, exec_lo, s2
	s_delay_alu instid0(SALU_CYCLE_1)
	s_or_b32 s16, s2, s16
	global_store_b32 v[14:15], v5, off
	s_and_not1_b32 exec_lo, exec_lo, s16
	s_cbranch_execz .LBB351_36
.LBB351_4:                              ; =>This Inner Loop Header: Depth=1
	global_load_b64 v[5:6], v[3:4], off
	s_mov_b32 s2, exec_lo
	s_waitcnt vmcnt(0)
	v_bfe_i32 v8, v5, 0, 16
	s_delay_alu instid0(VALU_DEP_1) | instskip(NEXT) | instid1(VALU_DEP_1)
	v_cvt_f32_i32_e32 v9, v8
                                        ; implicit-def: $vgpr8
	v_and_b32_e32 v10, 0x7fffffff, v9
	s_delay_alu instid0(VALU_DEP_1)
	v_cmpx_gt_u32_e32 0x43f00000, v10
	s_xor_b32 s2, exec_lo, s2
	s_cbranch_execz .LBB351_10
; %bb.5:                                ;   in Loop: Header=BB351_4 Depth=1
	s_mov_b32 s19, exec_lo
                                        ; implicit-def: $vgpr8
	v_cmpx_lt_u32_e32 0x3c7fffff, v10
	s_xor_b32 s19, exec_lo, s19
; %bb.6:                                ;   in Loop: Header=BB351_4 Depth=1
	v_bfe_u32 v8, v9, 20, 1
	s_delay_alu instid0(VALU_DEP_1) | instskip(NEXT) | instid1(VALU_DEP_1)
	v_add3_u32 v8, v9, v8, 0x407ffff
	v_and_b32_e32 v10, 0xff00000, v8
	v_lshrrev_b32_e32 v8, 20, v8
	s_delay_alu instid0(VALU_DEP_2) | instskip(NEXT) | instid1(VALU_DEP_2)
	v_cmp_ne_u32_e32 vcc_lo, 0x7f00000, v10
	v_cndmask_b32_e32 v8, 0x7e, v8, vcc_lo
; %bb.7:                                ;   in Loop: Header=BB351_4 Depth=1
	s_and_not1_saveexec_b32 s19, s19
; %bb.8:                                ;   in Loop: Header=BB351_4 Depth=1
	v_add_f32_e64 v8, 0x46800000, |v9|
; %bb.9:                                ;   in Loop: Header=BB351_4 Depth=1
	s_or_b32 exec_lo, exec_lo, s19
                                        ; implicit-def: $vgpr10
.LBB351_10:                             ;   in Loop: Header=BB351_4 Depth=1
	s_and_not1_saveexec_b32 s2, s2
; %bb.11:                               ;   in Loop: Header=BB351_4 Depth=1
	v_cmp_lt_u32_e32 vcc_lo, 0x7f800000, v10
	v_cndmask_b32_e32 v8, 0x7e, v7, vcc_lo
; %bb.12:                               ;   in Loop: Header=BB351_4 Depth=1
	s_or_b32 exec_lo, exec_lo, s2
	v_ashrrev_i32_e32 v5, 16, v5
	s_mov_b32 s2, exec_lo
                                        ; implicit-def: $vgpr10
	s_delay_alu instid0(VALU_DEP_1) | instskip(NEXT) | instid1(VALU_DEP_1)
	v_cvt_f32_i32_e32 v5, v5
	v_and_b32_e32 v11, 0x7fffffff, v5
	s_delay_alu instid0(VALU_DEP_1)
	v_cmpx_gt_u32_e32 0x43f00000, v11
	s_xor_b32 s2, exec_lo, s2
	s_cbranch_execz .LBB351_18
; %bb.13:                               ;   in Loop: Header=BB351_4 Depth=1
	s_mov_b32 s19, exec_lo
                                        ; implicit-def: $vgpr10
	v_cmpx_lt_u32_e32 0x3c7fffff, v11
	s_xor_b32 s19, exec_lo, s19
; %bb.14:                               ;   in Loop: Header=BB351_4 Depth=1
	v_bfe_u32 v10, v5, 20, 1
	s_delay_alu instid0(VALU_DEP_1) | instskip(NEXT) | instid1(VALU_DEP_1)
	v_add3_u32 v10, v5, v10, 0x407ffff
	v_and_b32_e32 v11, 0xff00000, v10
	v_lshrrev_b32_e32 v10, 20, v10
	s_delay_alu instid0(VALU_DEP_2) | instskip(NEXT) | instid1(VALU_DEP_2)
	v_cmp_ne_u32_e32 vcc_lo, 0x7f00000, v11
	v_cndmask_b32_e32 v10, 0x7e, v10, vcc_lo
; %bb.15:                               ;   in Loop: Header=BB351_4 Depth=1
	s_and_not1_saveexec_b32 s19, s19
; %bb.16:                               ;   in Loop: Header=BB351_4 Depth=1
	v_add_f32_e64 v10, 0x46800000, |v5|
; %bb.17:                               ;   in Loop: Header=BB351_4 Depth=1
	s_or_b32 exec_lo, exec_lo, s19
                                        ; implicit-def: $vgpr11
.LBB351_18:                             ;   in Loop: Header=BB351_4 Depth=1
	s_and_not1_saveexec_b32 s2, s2
; %bb.19:                               ;   in Loop: Header=BB351_4 Depth=1
	v_cmp_lt_u32_e32 vcc_lo, 0x7f800000, v11
	v_cndmask_b32_e32 v10, 0x7e, v7, vcc_lo
; %bb.20:                               ;   in Loop: Header=BB351_4 Depth=1
	s_or_b32 exec_lo, exec_lo, s2
	v_bfe_i32 v11, v6, 0, 16
	s_mov_b32 s2, exec_lo
                                        ; implicit-def: $vgpr12
	s_delay_alu instid0(VALU_DEP_1) | instskip(NEXT) | instid1(VALU_DEP_1)
	v_cvt_f32_i32_e32 v11, v11
	v_and_b32_e32 v13, 0x7fffffff, v11
	s_delay_alu instid0(VALU_DEP_1)
	v_cmpx_gt_u32_e32 0x43f00000, v13
	s_xor_b32 s2, exec_lo, s2
	s_cbranch_execz .LBB351_26
; %bb.21:                               ;   in Loop: Header=BB351_4 Depth=1
	s_mov_b32 s19, exec_lo
                                        ; implicit-def: $vgpr12
	v_cmpx_lt_u32_e32 0x3c7fffff, v13
	s_xor_b32 s19, exec_lo, s19
; %bb.22:                               ;   in Loop: Header=BB351_4 Depth=1
	v_bfe_u32 v12, v11, 20, 1
	s_delay_alu instid0(VALU_DEP_1) | instskip(NEXT) | instid1(VALU_DEP_1)
	v_add3_u32 v12, v11, v12, 0x407ffff
	v_and_b32_e32 v13, 0xff00000, v12
	v_lshrrev_b32_e32 v12, 20, v12
	s_delay_alu instid0(VALU_DEP_2) | instskip(NEXT) | instid1(VALU_DEP_2)
	v_cmp_ne_u32_e32 vcc_lo, 0x7f00000, v13
	v_cndmask_b32_e32 v12, 0x7e, v12, vcc_lo
; %bb.23:                               ;   in Loop: Header=BB351_4 Depth=1
	s_and_not1_saveexec_b32 s19, s19
; %bb.24:                               ;   in Loop: Header=BB351_4 Depth=1
	v_add_f32_e64 v12, 0x46800000, |v11|
; %bb.25:                               ;   in Loop: Header=BB351_4 Depth=1
	s_or_b32 exec_lo, exec_lo, s19
                                        ; implicit-def: $vgpr13
.LBB351_26:                             ;   in Loop: Header=BB351_4 Depth=1
	s_and_not1_saveexec_b32 s2, s2
; %bb.27:                               ;   in Loop: Header=BB351_4 Depth=1
	v_cmp_lt_u32_e32 vcc_lo, 0x7f800000, v13
	v_cndmask_b32_e32 v12, 0x7e, v7, vcc_lo
; %bb.28:                               ;   in Loop: Header=BB351_4 Depth=1
	s_or_b32 exec_lo, exec_lo, s2
	v_ashrrev_i32_e32 v6, 16, v6
	s_mov_b32 s2, exec_lo
                                        ; implicit-def: $vgpr13
	s_delay_alu instid0(VALU_DEP_1) | instskip(NEXT) | instid1(VALU_DEP_1)
	v_cvt_f32_i32_e32 v6, v6
	v_and_b32_e32 v14, 0x7fffffff, v6
	s_delay_alu instid0(VALU_DEP_1)
	v_cmpx_gt_u32_e32 0x43f00000, v14
	s_xor_b32 s2, exec_lo, s2
	s_cbranch_execz .LBB351_34
; %bb.29:                               ;   in Loop: Header=BB351_4 Depth=1
	s_mov_b32 s19, exec_lo
                                        ; implicit-def: $vgpr13
	v_cmpx_lt_u32_e32 0x3c7fffff, v14
	s_xor_b32 s19, exec_lo, s19
; %bb.30:                               ;   in Loop: Header=BB351_4 Depth=1
	v_bfe_u32 v13, v6, 20, 1
	s_delay_alu instid0(VALU_DEP_1) | instskip(NEXT) | instid1(VALU_DEP_1)
	v_add3_u32 v13, v6, v13, 0x407ffff
	v_and_b32_e32 v14, 0xff00000, v13
	v_lshrrev_b32_e32 v13, 20, v13
	s_delay_alu instid0(VALU_DEP_2) | instskip(NEXT) | instid1(VALU_DEP_2)
	v_cmp_ne_u32_e32 vcc_lo, 0x7f00000, v14
	v_cndmask_b32_e32 v13, 0x7e, v13, vcc_lo
; %bb.31:                               ;   in Loop: Header=BB351_4 Depth=1
	s_and_not1_saveexec_b32 s19, s19
; %bb.32:                               ;   in Loop: Header=BB351_4 Depth=1
	v_add_f32_e64 v13, 0x46800000, |v6|
; %bb.33:                               ;   in Loop: Header=BB351_4 Depth=1
	s_or_b32 exec_lo, exec_lo, s19
                                        ; implicit-def: $vgpr14
.LBB351_34:                             ;   in Loop: Header=BB351_4 Depth=1
	s_and_not1_saveexec_b32 s2, s2
	s_cbranch_execz .LBB351_3
; %bb.35:                               ;   in Loop: Header=BB351_4 Depth=1
	v_cmp_lt_u32_e32 vcc_lo, 0x7f800000, v14
	v_cndmask_b32_e32 v13, 0x7e, v7, vcc_lo
	s_branch .LBB351_3
.LBB351_36:
	s_or_b32 exec_lo, exec_lo, s3
	s_mov_b32 s2, 0
.LBB351_37:
	s_delay_alu instid0(SALU_CYCLE_1)
	s_and_not1_b32 vcc_lo, exec_lo, s2
	s_cbranch_vccnz .LBB351_89
; %bb.38:
	v_cmp_lt_i64_e64 s2, s[4:5], 1
	s_delay_alu instid0(VALU_DEP_1)
	s_and_b32 vcc_lo, exec_lo, s2
	s_cbranch_vccnz .LBB351_89
; %bb.39:
	s_load_b32 s0, s[0:1], 0xc5c
	v_cmp_gt_u64_e64 s1, 0x10000, s[4:5]
	v_add_co_u32 v5, s2, s8, v0
	v_lshlrev_b32_e32 v1, 1, v0
	v_add_co_ci_u32_e64 v6, null, s9, 0, s2
	s_delay_alu instid0(VALU_DEP_3) | instskip(SKIP_1) | instid1(VALU_DEP_3)
	v_add_co_u32 v15, vcc_lo, s6, v5
	v_mov_b32_e32 v29, 0x7f
	v_add_co_ci_u32_e32 v16, vcc_lo, s7, v6, vcc_lo
	s_waitcnt lgkmcnt(0)
	s_and_b32 s0, s0, 0xffff
	s_and_b32 s1, s1, exec_lo
	s_cselect_b32 s3, s5, 0
	s_cselect_b32 s2, s4, 0x10000
	s_lshl_b64 s[10:11], s[10:11], 17
	s_lshl_b32 s14, s0, 1
	s_lshl_b32 s1, s0, 2
	s_add_u32 s12, s12, s10
	s_mul_i32 s15, s0, 3
	s_addc_u32 s11, s13, s11
	s_lshl_b32 s10, s0, 3
	v_add_co_u32 v1, s16, s12, v1
	s_add_u32 s13, s8, s15
	v_add_co_ci_u32_e64 v2, null, s11, 0, s16
	s_addc_u32 s16, s9, 0
	s_add_u32 s13, s6, s13
	s_addc_u32 s16, s7, s16
	v_add_co_u32 v17, s13, s13, v0
	s_delay_alu instid0(VALU_DEP_1) | instskip(SKIP_1) | instid1(VALU_DEP_1)
	v_add_co_ci_u32_e64 v18, null, s16, 0, s13
	v_add_co_u32 v19, s13, s15, v0
	v_add_co_ci_u32_e64 v20, null, 0, 0, s13
	v_add_co_u32 v21, s13, v0, s0
	s_add_u32 s8, s8, s14
	s_addc_u32 s9, s9, 0
	s_add_u32 s8, s6, s8
	s_delay_alu instid0(VALU_DEP_1) | instskip(SKIP_2) | instid1(VALU_DEP_1)
	v_lshlrev_b32_e32 v3, 1, v21
	s_addc_u32 s9, s7, s9
	v_add_co_u32 v22, s8, s8, v0
	v_add_co_ci_u32_e64 v23, null, s9, 0, s8
	v_add_co_u32 v25, s8, s14, v0
	s_add_u32 s6, s6, s0
	v_add_co_ci_u32_e64 v26, null, 0, 0, s8
	v_add_co_u32 v3, s8, s12, v3
	s_addc_u32 s7, s7, 0
	v_add_co_u32 v27, vcc_lo, s6, v5
	v_add_co_ci_u32_e64 v24, null, 0, 0, s13
	v_add_co_ci_u32_e64 v4, null, s11, 0, s8
	v_add_co_ci_u32_e32 v28, vcc_lo, s7, v6, vcc_lo
	s_mul_i32 s8, s0, 6
	s_mov_b64 s[6:7], 0
                                        ; implicit-def: $vgpr5_vgpr6
	s_branch .LBB351_41
.LBB351_40:                             ;   in Loop: Header=BB351_41 Depth=1
	s_or_b32 exec_lo, exec_lo, s0
	s_add_u32 s6, s6, s1
	s_addc_u32 s7, s7, 0
	v_add_co_u32 v1, vcc_lo, v1, s10
	v_cmp_ge_i64_e64 s0, s[6:7], s[4:5]
	v_cmp_lt_u64_e64 s9, 0xffff, s[6:7]
	v_add_co_ci_u32_e32 v2, vcc_lo, 0, v2, vcc_lo
	v_add_co_u32 v3, vcc_lo, v3, s10
	v_add_co_ci_u32_e32 v4, vcc_lo, 0, v4, vcc_lo
	s_delay_alu instid0(VALU_DEP_4) | instskip(NEXT) | instid1(SALU_CYCLE_1)
	s_or_b32 s0, s0, s9
	s_and_b32 vcc_lo, exec_lo, s0
	s_cbranch_vccnz .LBB351_89
.LBB351_41:                             ; =>This Inner Loop Header: Depth=1
	v_add_co_u32 v7, s0, v0, s6
	s_delay_alu instid0(VALU_DEP_1) | instskip(NEXT) | instid1(VALU_DEP_1)
	v_add_co_ci_u32_e64 v8, null, 0, s7, s0
	v_cmp_gt_i64_e32 vcc_lo, s[4:5], v[7:8]
	v_cmp_gt_u64_e64 s0, 0x10000, v[7:8]
	s_delay_alu instid0(VALU_DEP_1) | instskip(NEXT) | instid1(SALU_CYCLE_1)
	s_and_b32 s9, vcc_lo, s0
	s_and_saveexec_b32 s0, s9
	s_cbranch_execz .LBB351_43
; %bb.42:                               ;   in Loop: Header=BB351_41 Depth=1
	global_load_d16_b16 v5, v[1:2], off
.LBB351_43:                             ;   in Loop: Header=BB351_41 Depth=1
	s_or_b32 exec_lo, exec_lo, s0
	v_add_co_u32 v9, vcc_lo, v21, s6
	v_add_co_ci_u32_e32 v10, vcc_lo, s7, v24, vcc_lo
	s_delay_alu instid0(VALU_DEP_1) | instskip(SKIP_1) | instid1(VALU_DEP_1)
	v_cmp_gt_i64_e32 vcc_lo, s[4:5], v[9:10]
	v_cmp_gt_u64_e64 s0, 0x10000, v[9:10]
	s_and_b32 s9, vcc_lo, s0
	s_delay_alu instid0(SALU_CYCLE_1)
	s_and_saveexec_b32 s0, s9
	s_cbranch_execz .LBB351_45
; %bb.44:                               ;   in Loop: Header=BB351_41 Depth=1
	global_load_d16_hi_b16 v5, v[3:4], off
.LBB351_45:                             ;   in Loop: Header=BB351_41 Depth=1
	s_or_b32 exec_lo, exec_lo, s0
	v_add_co_u32 v11, vcc_lo, v25, s6
	v_add_co_ci_u32_e32 v12, vcc_lo, s7, v26, vcc_lo
	s_delay_alu instid0(VALU_DEP_1) | instskip(SKIP_1) | instid1(VALU_DEP_1)
	v_cmp_gt_i64_e32 vcc_lo, s[4:5], v[11:12]
	v_cmp_gt_u64_e64 s0, 0x10000, v[11:12]
	s_and_b32 s9, vcc_lo, s0
	s_delay_alu instid0(SALU_CYCLE_1)
	s_and_saveexec_b32 s0, s9
	s_cbranch_execz .LBB351_47
; %bb.46:                               ;   in Loop: Header=BB351_41 Depth=1
	v_add_co_u32 v13, vcc_lo, v1, s1
	v_add_co_ci_u32_e32 v14, vcc_lo, 0, v2, vcc_lo
	global_load_d16_b16 v6, v[13:14], off
.LBB351_47:                             ;   in Loop: Header=BB351_41 Depth=1
	s_or_b32 exec_lo, exec_lo, s0
	v_add_co_u32 v13, vcc_lo, v19, s6
	v_add_co_ci_u32_e32 v14, vcc_lo, s7, v20, vcc_lo
	s_delay_alu instid0(VALU_DEP_1) | instskip(SKIP_1) | instid1(VALU_DEP_1)
	v_cmp_gt_i64_e32 vcc_lo, s[4:5], v[13:14]
	v_cmp_gt_u64_e64 s0, 0x10000, v[13:14]
	s_and_b32 s9, vcc_lo, s0
	s_delay_alu instid0(SALU_CYCLE_1)
	s_and_saveexec_b32 s0, s9
	s_cbranch_execz .LBB351_49
; %bb.48:                               ;   in Loop: Header=BB351_41 Depth=1
	v_add_co_u32 v30, vcc_lo, v1, s8
	v_add_co_ci_u32_e32 v31, vcc_lo, 0, v2, vcc_lo
	global_load_d16_hi_b16 v6, v[30:31], off
.LBB351_49:                             ;   in Loop: Header=BB351_41 Depth=1
	s_or_b32 exec_lo, exec_lo, s0
	s_waitcnt vmcnt(0)
	v_bfe_i32 v30, v5, 0, 16
	s_mov_b32 s0, exec_lo
                                        ; implicit-def: $vgpr31
	s_delay_alu instid0(VALU_DEP_1) | instskip(NEXT) | instid1(VALU_DEP_1)
	v_cvt_f32_i32_e32 v30, v30
	v_and_b32_e32 v32, 0x7fffffff, v30
	s_delay_alu instid0(VALU_DEP_1)
	v_cmpx_gt_u32_e32 0x43f00000, v32
	s_xor_b32 s0, exec_lo, s0
	s_cbranch_execz .LBB351_55
; %bb.50:                               ;   in Loop: Header=BB351_41 Depth=1
	s_mov_b32 s9, exec_lo
                                        ; implicit-def: $vgpr31
	v_cmpx_lt_u32_e32 0x3c7fffff, v32
	s_xor_b32 s9, exec_lo, s9
; %bb.51:                               ;   in Loop: Header=BB351_41 Depth=1
	v_bfe_u32 v31, v30, 20, 1
	s_delay_alu instid0(VALU_DEP_1) | instskip(NEXT) | instid1(VALU_DEP_1)
	v_add3_u32 v31, v30, v31, 0x407ffff
	v_and_b32_e32 v32, 0xff00000, v31
	v_lshrrev_b32_e32 v31, 20, v31
	s_delay_alu instid0(VALU_DEP_2) | instskip(NEXT) | instid1(VALU_DEP_2)
	v_cmp_ne_u32_e32 vcc_lo, 0x7f00000, v32
	v_cndmask_b32_e32 v31, 0x7e, v31, vcc_lo
; %bb.52:                               ;   in Loop: Header=BB351_41 Depth=1
	s_and_not1_saveexec_b32 s9, s9
; %bb.53:                               ;   in Loop: Header=BB351_41 Depth=1
	v_add_f32_e64 v31, 0x46800000, |v30|
; %bb.54:                               ;   in Loop: Header=BB351_41 Depth=1
	s_or_b32 exec_lo, exec_lo, s9
                                        ; implicit-def: $vgpr32
.LBB351_55:                             ;   in Loop: Header=BB351_41 Depth=1
	s_and_not1_saveexec_b32 s0, s0
; %bb.56:                               ;   in Loop: Header=BB351_41 Depth=1
	v_cmp_lt_u32_e32 vcc_lo, 0x7f800000, v32
	v_cndmask_b32_e32 v31, 0x7e, v29, vcc_lo
; %bb.57:                               ;   in Loop: Header=BB351_41 Depth=1
	s_or_b32 exec_lo, exec_lo, s0
	v_ashrrev_i32_e32 v32, 16, v5
	s_mov_b32 s0, exec_lo
                                        ; implicit-def: $vgpr33
	s_delay_alu instid0(VALU_DEP_1) | instskip(NEXT) | instid1(VALU_DEP_1)
	v_cvt_f32_i32_e32 v32, v32
	v_and_b32_e32 v34, 0x7fffffff, v32
	s_delay_alu instid0(VALU_DEP_1)
	v_cmpx_gt_u32_e32 0x43f00000, v34
	s_xor_b32 s0, exec_lo, s0
	s_cbranch_execz .LBB351_63
; %bb.58:                               ;   in Loop: Header=BB351_41 Depth=1
	s_mov_b32 s9, exec_lo
                                        ; implicit-def: $vgpr33
	v_cmpx_lt_u32_e32 0x3c7fffff, v34
	s_xor_b32 s9, exec_lo, s9
; %bb.59:                               ;   in Loop: Header=BB351_41 Depth=1
	v_bfe_u32 v33, v32, 20, 1
	s_delay_alu instid0(VALU_DEP_1) | instskip(NEXT) | instid1(VALU_DEP_1)
	v_add3_u32 v33, v32, v33, 0x407ffff
	v_and_b32_e32 v34, 0xff00000, v33
	v_lshrrev_b32_e32 v33, 20, v33
	s_delay_alu instid0(VALU_DEP_2) | instskip(NEXT) | instid1(VALU_DEP_2)
	v_cmp_ne_u32_e32 vcc_lo, 0x7f00000, v34
	v_cndmask_b32_e32 v33, 0x7e, v33, vcc_lo
; %bb.60:                               ;   in Loop: Header=BB351_41 Depth=1
	s_and_not1_saveexec_b32 s9, s9
; %bb.61:                               ;   in Loop: Header=BB351_41 Depth=1
	v_add_f32_e64 v33, 0x46800000, |v32|
; %bb.62:                               ;   in Loop: Header=BB351_41 Depth=1
	s_or_b32 exec_lo, exec_lo, s9
                                        ; implicit-def: $vgpr34
.LBB351_63:                             ;   in Loop: Header=BB351_41 Depth=1
	s_and_not1_saveexec_b32 s0, s0
; %bb.64:                               ;   in Loop: Header=BB351_41 Depth=1
	v_cmp_lt_u32_e32 vcc_lo, 0x7f800000, v34
	v_cndmask_b32_e32 v33, 0x7e, v29, vcc_lo
; %bb.65:                               ;   in Loop: Header=BB351_41 Depth=1
	s_or_b32 exec_lo, exec_lo, s0
	v_bfe_i32 v34, v6, 0, 16
	s_mov_b32 s0, exec_lo
                                        ; implicit-def: $vgpr35
	s_delay_alu instid0(VALU_DEP_1) | instskip(NEXT) | instid1(VALU_DEP_1)
	v_cvt_f32_i32_e32 v34, v34
	v_and_b32_e32 v36, 0x7fffffff, v34
	s_delay_alu instid0(VALU_DEP_1)
	v_cmpx_gt_u32_e32 0x43f00000, v36
	s_xor_b32 s0, exec_lo, s0
	s_cbranch_execz .LBB351_71
; %bb.66:                               ;   in Loop: Header=BB351_41 Depth=1
	s_mov_b32 s9, exec_lo
                                        ; implicit-def: $vgpr35
	v_cmpx_lt_u32_e32 0x3c7fffff, v36
	s_xor_b32 s9, exec_lo, s9
; %bb.67:                               ;   in Loop: Header=BB351_41 Depth=1
	v_bfe_u32 v35, v34, 20, 1
	s_delay_alu instid0(VALU_DEP_1) | instskip(NEXT) | instid1(VALU_DEP_1)
	v_add3_u32 v35, v34, v35, 0x407ffff
	v_and_b32_e32 v36, 0xff00000, v35
	v_lshrrev_b32_e32 v35, 20, v35
	s_delay_alu instid0(VALU_DEP_2) | instskip(NEXT) | instid1(VALU_DEP_2)
	v_cmp_ne_u32_e32 vcc_lo, 0x7f00000, v36
	v_cndmask_b32_e32 v35, 0x7e, v35, vcc_lo
; %bb.68:                               ;   in Loop: Header=BB351_41 Depth=1
	s_and_not1_saveexec_b32 s9, s9
; %bb.69:                               ;   in Loop: Header=BB351_41 Depth=1
	v_add_f32_e64 v35, 0x46800000, |v34|
; %bb.70:                               ;   in Loop: Header=BB351_41 Depth=1
	s_or_b32 exec_lo, exec_lo, s9
                                        ; implicit-def: $vgpr36
.LBB351_71:                             ;   in Loop: Header=BB351_41 Depth=1
	s_and_not1_saveexec_b32 s0, s0
; %bb.72:                               ;   in Loop: Header=BB351_41 Depth=1
	v_cmp_lt_u32_e32 vcc_lo, 0x7f800000, v36
	v_cndmask_b32_e32 v35, 0x7e, v29, vcc_lo
; %bb.73:                               ;   in Loop: Header=BB351_41 Depth=1
	s_or_b32 exec_lo, exec_lo, s0
	v_ashrrev_i32_e32 v36, 16, v6
	s_mov_b32 s0, exec_lo
                                        ; implicit-def: $vgpr37
	s_delay_alu instid0(VALU_DEP_1) | instskip(NEXT) | instid1(VALU_DEP_1)
	v_cvt_f32_i32_e32 v36, v36
	v_and_b32_e32 v38, 0x7fffffff, v36
	s_delay_alu instid0(VALU_DEP_1)
	v_cmpx_gt_u32_e32 0x43f00000, v38
	s_xor_b32 s0, exec_lo, s0
	s_cbranch_execz .LBB351_79
; %bb.74:                               ;   in Loop: Header=BB351_41 Depth=1
	s_mov_b32 s9, exec_lo
                                        ; implicit-def: $vgpr37
	v_cmpx_lt_u32_e32 0x3c7fffff, v38
	s_xor_b32 s9, exec_lo, s9
; %bb.75:                               ;   in Loop: Header=BB351_41 Depth=1
	v_bfe_u32 v37, v36, 20, 1
	s_delay_alu instid0(VALU_DEP_1) | instskip(NEXT) | instid1(VALU_DEP_1)
	v_add3_u32 v37, v36, v37, 0x407ffff
	v_and_b32_e32 v38, 0xff00000, v37
	v_lshrrev_b32_e32 v37, 20, v37
	s_delay_alu instid0(VALU_DEP_2) | instskip(NEXT) | instid1(VALU_DEP_2)
	v_cmp_ne_u32_e32 vcc_lo, 0x7f00000, v38
	v_cndmask_b32_e32 v37, 0x7e, v37, vcc_lo
; %bb.76:                               ;   in Loop: Header=BB351_41 Depth=1
	s_and_not1_saveexec_b32 s9, s9
; %bb.77:                               ;   in Loop: Header=BB351_41 Depth=1
	v_add_f32_e64 v37, 0x46800000, |v36|
; %bb.78:                               ;   in Loop: Header=BB351_41 Depth=1
	s_or_b32 exec_lo, exec_lo, s9
                                        ; implicit-def: $vgpr38
.LBB351_79:                             ;   in Loop: Header=BB351_41 Depth=1
	s_and_not1_saveexec_b32 s0, s0
; %bb.80:                               ;   in Loop: Header=BB351_41 Depth=1
	v_cmp_lt_u32_e32 vcc_lo, 0x7f800000, v38
	v_cndmask_b32_e32 v37, 0x7e, v29, vcc_lo
; %bb.81:                               ;   in Loop: Header=BB351_41 Depth=1
	s_or_b32 exec_lo, exec_lo, s0
	s_delay_alu instid0(SALU_CYCLE_1)
	s_mov_b32 s0, exec_lo
	v_cmpx_gt_u64_e64 s[2:3], v[7:8]
	s_xor_b32 s0, exec_lo, s0
	s_cbranch_execnz .LBB351_85
; %bb.82:                               ;   in Loop: Header=BB351_41 Depth=1
	s_or_b32 exec_lo, exec_lo, s0
	s_delay_alu instid0(SALU_CYCLE_1)
	s_mov_b32 s0, exec_lo
	v_cmpx_gt_u64_e64 s[2:3], v[9:10]
	s_cbranch_execnz .LBB351_86
.LBB351_83:                             ;   in Loop: Header=BB351_41 Depth=1
	s_or_b32 exec_lo, exec_lo, s0
	s_delay_alu instid0(SALU_CYCLE_1)
	s_mov_b32 s0, exec_lo
	v_cmpx_gt_u64_e64 s[2:3], v[11:12]
	s_cbranch_execnz .LBB351_87
.LBB351_84:                             ;   in Loop: Header=BB351_41 Depth=1
	s_or_b32 exec_lo, exec_lo, s0
	s_delay_alu instid0(SALU_CYCLE_1)
	s_mov_b32 s0, exec_lo
	v_cmpx_gt_u64_e64 s[2:3], v[13:14]
	s_cbranch_execz .LBB351_40
	s_branch .LBB351_88
.LBB351_85:                             ;   in Loop: Header=BB351_41 Depth=1
	v_lshrrev_b32_e32 v7, 24, v30
	s_delay_alu instid0(VALU_DEP_1) | instskip(SKIP_4) | instid1(SALU_CYCLE_1)
	v_and_or_b32 v30, 0x80, v7, v31
	v_add_co_u32 v7, vcc_lo, v15, s6
	v_add_co_ci_u32_e32 v8, vcc_lo, s7, v16, vcc_lo
	global_store_b8 v[7:8], v30, off
	s_or_b32 exec_lo, exec_lo, s0
	s_mov_b32 s0, exec_lo
	v_cmpx_gt_u64_e64 s[2:3], v[9:10]
	s_cbranch_execz .LBB351_83
.LBB351_86:                             ;   in Loop: Header=BB351_41 Depth=1
	v_lshrrev_b32_e32 v7, 24, v32
	s_delay_alu instid0(VALU_DEP_1) | instskip(SKIP_4) | instid1(SALU_CYCLE_1)
	v_and_or_b32 v9, 0x80, v7, v33
	v_add_co_u32 v7, vcc_lo, v27, s6
	v_add_co_ci_u32_e32 v8, vcc_lo, s7, v28, vcc_lo
	global_store_b8 v[7:8], v9, off
	s_or_b32 exec_lo, exec_lo, s0
	s_mov_b32 s0, exec_lo
	v_cmpx_gt_u64_e64 s[2:3], v[11:12]
	s_cbranch_execz .LBB351_84
.LBB351_87:                             ;   in Loop: Header=BB351_41 Depth=1
	v_lshrrev_b32_e32 v7, 24, v34
	s_delay_alu instid0(VALU_DEP_1) | instskip(SKIP_4) | instid1(SALU_CYCLE_1)
	v_and_or_b32 v9, 0x80, v7, v35
	v_add_co_u32 v7, vcc_lo, v22, s6
	v_add_co_ci_u32_e32 v8, vcc_lo, s7, v23, vcc_lo
	global_store_b8 v[7:8], v9, off
	s_or_b32 exec_lo, exec_lo, s0
	s_mov_b32 s0, exec_lo
	v_cmpx_gt_u64_e64 s[2:3], v[13:14]
	s_cbranch_execz .LBB351_40
.LBB351_88:                             ;   in Loop: Header=BB351_41 Depth=1
	v_lshrrev_b32_e32 v7, 24, v36
	s_delay_alu instid0(VALU_DEP_1)
	v_and_or_b32 v9, 0x80, v7, v37
	v_add_co_u32 v7, vcc_lo, v17, s6
	v_add_co_ci_u32_e32 v8, vcc_lo, s7, v18, vcc_lo
	global_store_b8 v[7:8], v9, off
	s_branch .LBB351_40
.LBB351_89:
	s_nop 0
	s_sendmsg sendmsg(MSG_DEALLOC_VGPRS)
	s_endpgm
	.section	.rodata,"a",@progbits
	.p2align	6, 0x0
	.amdhsa_kernel _ZN2at6native12_GLOBAL__N_125multi_tensor_apply_kernelINS1_18TensorListMetadataILi2EEENS1_11CopyFunctorIN3c1013Float8_e4m3fnEsLi2ELi1ELi1EEEJNS0_4CopyIS7_sEEEEEvT_T0_DpT1_
		.amdhsa_group_segment_fixed_size 0
		.amdhsa_private_segment_fixed_size 0
		.amdhsa_kernarg_size 3408
		.amdhsa_user_sgpr_count 15
		.amdhsa_user_sgpr_dispatch_ptr 0
		.amdhsa_user_sgpr_queue_ptr 0
		.amdhsa_user_sgpr_kernarg_segment_ptr 1
		.amdhsa_user_sgpr_dispatch_id 0
		.amdhsa_user_sgpr_private_segment_size 0
		.amdhsa_wavefront_size32 1
		.amdhsa_uses_dynamic_stack 0
		.amdhsa_enable_private_segment 0
		.amdhsa_system_sgpr_workgroup_id_x 1
		.amdhsa_system_sgpr_workgroup_id_y 0
		.amdhsa_system_sgpr_workgroup_id_z 0
		.amdhsa_system_sgpr_workgroup_info 0
		.amdhsa_system_vgpr_workitem_id 0
		.amdhsa_next_free_vgpr 39
		.amdhsa_next_free_sgpr 20
		.amdhsa_reserve_vcc 1
		.amdhsa_float_round_mode_32 0
		.amdhsa_float_round_mode_16_64 0
		.amdhsa_float_denorm_mode_32 3
		.amdhsa_float_denorm_mode_16_64 3
		.amdhsa_dx10_clamp 1
		.amdhsa_ieee_mode 1
		.amdhsa_fp16_overflow 0
		.amdhsa_workgroup_processor_mode 1
		.amdhsa_memory_ordered 1
		.amdhsa_forward_progress 0
		.amdhsa_shared_vgpr_count 0
		.amdhsa_exception_fp_ieee_invalid_op 0
		.amdhsa_exception_fp_denorm_src 0
		.amdhsa_exception_fp_ieee_div_zero 0
		.amdhsa_exception_fp_ieee_overflow 0
		.amdhsa_exception_fp_ieee_underflow 0
		.amdhsa_exception_fp_ieee_inexact 0
		.amdhsa_exception_int_div_zero 0
	.end_amdhsa_kernel
	.section	.text._ZN2at6native12_GLOBAL__N_125multi_tensor_apply_kernelINS1_18TensorListMetadataILi2EEENS1_11CopyFunctorIN3c1013Float8_e4m3fnEsLi2ELi1ELi1EEEJNS0_4CopyIS7_sEEEEEvT_T0_DpT1_,"axG",@progbits,_ZN2at6native12_GLOBAL__N_125multi_tensor_apply_kernelINS1_18TensorListMetadataILi2EEENS1_11CopyFunctorIN3c1013Float8_e4m3fnEsLi2ELi1ELi1EEEJNS0_4CopyIS7_sEEEEEvT_T0_DpT1_,comdat
.Lfunc_end351:
	.size	_ZN2at6native12_GLOBAL__N_125multi_tensor_apply_kernelINS1_18TensorListMetadataILi2EEENS1_11CopyFunctorIN3c1013Float8_e4m3fnEsLi2ELi1ELi1EEEJNS0_4CopyIS7_sEEEEEvT_T0_DpT1_, .Lfunc_end351-_ZN2at6native12_GLOBAL__N_125multi_tensor_apply_kernelINS1_18TensorListMetadataILi2EEENS1_11CopyFunctorIN3c1013Float8_e4m3fnEsLi2ELi1ELi1EEEJNS0_4CopyIS7_sEEEEEvT_T0_DpT1_
                                        ; -- End function
	.section	.AMDGPU.csdata,"",@progbits
; Kernel info:
; codeLenInByte = 2812
; NumSgprs: 22
; NumVgprs: 39
; ScratchSize: 0
; MemoryBound: 0
; FloatMode: 240
; IeeeMode: 1
; LDSByteSize: 0 bytes/workgroup (compile time only)
; SGPRBlocks: 2
; VGPRBlocks: 4
; NumSGPRsForWavesPerEU: 22
; NumVGPRsForWavesPerEU: 39
; Occupancy: 16
; WaveLimiterHint : 0
; COMPUTE_PGM_RSRC2:SCRATCH_EN: 0
; COMPUTE_PGM_RSRC2:USER_SGPR: 15
; COMPUTE_PGM_RSRC2:TRAP_HANDLER: 0
; COMPUTE_PGM_RSRC2:TGID_X_EN: 1
; COMPUTE_PGM_RSRC2:TGID_Y_EN: 0
; COMPUTE_PGM_RSRC2:TGID_Z_EN: 0
; COMPUTE_PGM_RSRC2:TIDIG_COMP_CNT: 0
	.section	.text._ZN2at6native12_GLOBAL__N_125multi_tensor_apply_kernelINS1_18TensorListMetadataILi2EEENS1_11CopyFunctorIN3c1013Float8_e4m3fnEiLi2ELi1ELi1EEEJNS0_4CopyIS7_iEEEEEvT_T0_DpT1_,"axG",@progbits,_ZN2at6native12_GLOBAL__N_125multi_tensor_apply_kernelINS1_18TensorListMetadataILi2EEENS1_11CopyFunctorIN3c1013Float8_e4m3fnEiLi2ELi1ELi1EEEJNS0_4CopyIS7_iEEEEEvT_T0_DpT1_,comdat
	.globl	_ZN2at6native12_GLOBAL__N_125multi_tensor_apply_kernelINS1_18TensorListMetadataILi2EEENS1_11CopyFunctorIN3c1013Float8_e4m3fnEiLi2ELi1ELi1EEEJNS0_4CopyIS7_iEEEEEvT_T0_DpT1_ ; -- Begin function _ZN2at6native12_GLOBAL__N_125multi_tensor_apply_kernelINS1_18TensorListMetadataILi2EEENS1_11CopyFunctorIN3c1013Float8_e4m3fnEiLi2ELi1ELi1EEEJNS0_4CopyIS7_iEEEEEvT_T0_DpT1_
	.p2align	8
	.type	_ZN2at6native12_GLOBAL__N_125multi_tensor_apply_kernelINS1_18TensorListMetadataILi2EEENS1_11CopyFunctorIN3c1013Float8_e4m3fnEiLi2ELi1ELi1EEEJNS0_4CopyIS7_iEEEEEvT_T0_DpT1_,@function
_ZN2at6native12_GLOBAL__N_125multi_tensor_apply_kernelINS1_18TensorListMetadataILi2EEENS1_11CopyFunctorIN3c1013Float8_e4m3fnEiLi2ELi1ELi1EEEJNS0_4CopyIS7_iEEEEEvT_T0_DpT1_: ; @_ZN2at6native12_GLOBAL__N_125multi_tensor_apply_kernelINS1_18TensorListMetadataILi2EEENS1_11CopyFunctorIN3c1013Float8_e4m3fnEiLi2ELi1ELi1EEEJNS0_4CopyIS7_iEEEEEvT_T0_DpT1_
; %bb.0:
	v_mov_b32_e32 v1, s15
	s_add_u32 s2, s0, s15
	s_mul_i32 s4, s15, 3
	s_addc_u32 s3, s1, 0
	s_mul_hi_u32 s5, s15, 3
	global_load_u8 v1, v1, s[0:1] offset:1536
	s_add_u32 s2, s2, s4
	s_addc_u32 s3, s3, s5
	s_mov_b32 s17, 0
	s_load_b32 s10, s[2:3], 0x740
	s_waitcnt lgkmcnt(0)
	s_ashr_i32 s11, s10, 31
	s_delay_alu instid0(SALU_CYCLE_1) | instskip(SKIP_2) | instid1(VALU_DEP_1)
	s_lshl_b64 s[8:9], s[10:11], 16
	s_waitcnt vmcnt(0)
	v_readfirstlane_b32 s4, v1
	s_lshl_b32 s4, s4, 3
	s_clause 0x2
	s_load_b64 s[6:7], s[0:1], s4 offset:0x200
	s_load_b64 s[2:3], s[0:1], s4 offset:0x400
	;; [unrolled: 1-line block ×3, first 2 shown]
	s_waitcnt lgkmcnt(0)
	s_add_u32 s14, s6, s8
	s_addc_u32 s15, s7, s9
	s_delay_alu instid0(SALU_CYCLE_1) | instskip(SKIP_2) | instid1(SALU_CYCLE_1)
	s_or_b64 s[4:5], s[2:3], s[14:15]
	s_and_b32 s5, s12, 15
	s_and_b32 s4, s4, 3
	s_or_b32 s16, s4, s5
	s_sub_u32 s4, s2, s8
	s_subb_u32 s5, s3, s9
	s_cmp_eq_u64 s[16:17], 0
	s_mov_b32 s2, -1
	s_cbranch_scc0 .LBB352_37
; %bb.1:
	v_dual_mov_b32 v6, 0 :: v_dual_lshlrev_b32 v5, 2, v0
	s_mov_b32 s3, exec_lo
	s_delay_alu instid0(VALU_DEP_1)
	v_cmpx_gt_i64_e64 s[4:5], v[5:6]
	s_cbranch_execz .LBB352_36
; %bb.2:
	s_load_b32 s2, s[0:1], 0xc5c
	v_lshlrev_b32_e32 v1, 4, v0
	s_lshl_b64 s[18:19], s[10:11], 18
	v_mov_b32_e32 v9, 0x7f
	s_waitcnt lgkmcnt(0)
	s_and_b32 s2, s2, 0xffff
	s_delay_alu instid0(SALU_CYCLE_1) | instskip(SKIP_3) | instid1(VALU_DEP_1)
	s_lshl_b32 s16, s2, 2
	s_add_u32 s17, s12, s18
	s_addc_u32 s18, s13, s19
	v_add_co_u32 v7, s17, s17, v1
	v_add_co_ci_u32_e64 v8, null, s18, 0, s17
	s_mov_b32 s17, 0
	s_lshl_b32 s18, s2, 4
	s_branch .LBB352_4
.LBB352_3:                              ;   in Loop: Header=BB352_4 Depth=1
	s_or_b32 exec_lo, exec_lo, s2
	v_lshrrev_b32_e32 v3, 24, v3
	v_lshrrev_b32_e32 v2, 24, v2
	;; [unrolled: 1-line block ×3, first 2 shown]
	v_lshlrev_b32_e32 v13, 24, v13
	v_and_b32_e32 v4, 0x80000000, v4
	v_and_b32_e32 v14, 0x80, v3
	;; [unrolled: 1-line block ×3, first 2 shown]
	v_add_co_u32 v2, vcc_lo, s14, v5
	v_add_co_ci_u32_e32 v3, vcc_lo, s15, v6, vcc_lo
	s_delay_alu instid0(VALU_DEP_4)
	v_and_or_b32 v12, 0xff, v12, v14
	v_add_co_u32 v5, vcc_lo, s16, v5
	v_add_co_ci_u32_e32 v6, vcc_lo, 0, v6, vcc_lo
	v_and_or_b32 v11, 0xff, v11, v15
	v_and_b32_e32 v1, 0xff, v1
	v_lshlrev_b32_e32 v12, 16, v12
	s_delay_alu instid0(VALU_DEP_4) | instskip(SKIP_4) | instid1(VALU_DEP_4)
	v_cmp_le_i64_e32 vcc_lo, s[4:5], v[5:6]
	v_cmp_lt_u64_e64 s2, 0xffff, v[5:6]
	v_lshlrev_b32_e32 v11, 8, v11
	v_and_or_b32 v1, 0x80, v10, v1
	v_or3_b32 v4, v4, v13, v12
	s_or_b32 s2, vcc_lo, s2
	v_add_co_u32 v7, vcc_lo, v7, s18
	s_delay_alu instid0(VALU_DEP_2) | instskip(SKIP_2) | instid1(SALU_CYCLE_1)
	v_or3_b32 v1, v4, v11, v1
	v_add_co_ci_u32_e32 v8, vcc_lo, 0, v8, vcc_lo
	s_and_b32 s2, exec_lo, s2
	s_or_b32 s17, s2, s17
	global_store_b32 v[2:3], v1, off
	s_and_not1_b32 exec_lo, exec_lo, s17
	s_cbranch_execz .LBB352_36
.LBB352_4:                              ; =>This Inner Loop Header: Depth=1
	global_load_b128 v[1:4], v[7:8], off
	s_mov_b32 s2, exec_lo
	s_waitcnt vmcnt(0)
	v_cvt_f32_i32_e32 v10, v1
                                        ; implicit-def: $vgpr1
	s_delay_alu instid0(VALU_DEP_1) | instskip(NEXT) | instid1(VALU_DEP_1)
	v_and_b32_e32 v11, 0x7fffffff, v10
	v_cmpx_gt_u32_e32 0x43f00000, v11
	s_xor_b32 s2, exec_lo, s2
	s_cbranch_execz .LBB352_10
; %bb.5:                                ;   in Loop: Header=BB352_4 Depth=1
	s_mov_b32 s19, exec_lo
                                        ; implicit-def: $vgpr1
	v_cmpx_lt_u32_e32 0x3c7fffff, v11
	s_xor_b32 s19, exec_lo, s19
; %bb.6:                                ;   in Loop: Header=BB352_4 Depth=1
	v_bfe_u32 v1, v10, 20, 1
	s_delay_alu instid0(VALU_DEP_1) | instskip(NEXT) | instid1(VALU_DEP_1)
	v_add3_u32 v1, v10, v1, 0x407ffff
	v_and_b32_e32 v11, 0xff00000, v1
	v_lshrrev_b32_e32 v1, 20, v1
	s_delay_alu instid0(VALU_DEP_2) | instskip(NEXT) | instid1(VALU_DEP_2)
	v_cmp_ne_u32_e32 vcc_lo, 0x7f00000, v11
	v_cndmask_b32_e32 v1, 0x7e, v1, vcc_lo
; %bb.7:                                ;   in Loop: Header=BB352_4 Depth=1
	s_and_not1_saveexec_b32 s19, s19
; %bb.8:                                ;   in Loop: Header=BB352_4 Depth=1
	v_add_f32_e64 v1, 0x46800000, |v10|
; %bb.9:                                ;   in Loop: Header=BB352_4 Depth=1
	s_or_b32 exec_lo, exec_lo, s19
                                        ; implicit-def: $vgpr11
.LBB352_10:                             ;   in Loop: Header=BB352_4 Depth=1
	s_and_not1_saveexec_b32 s2, s2
; %bb.11:                               ;   in Loop: Header=BB352_4 Depth=1
	v_cmp_lt_u32_e32 vcc_lo, 0x7f800000, v11
	v_cndmask_b32_e32 v1, 0x7e, v9, vcc_lo
; %bb.12:                               ;   in Loop: Header=BB352_4 Depth=1
	s_or_b32 exec_lo, exec_lo, s2
	v_cvt_f32_i32_e32 v2, v2
	s_mov_b32 s2, exec_lo
                                        ; implicit-def: $vgpr11
	s_delay_alu instid0(VALU_DEP_1) | instskip(NEXT) | instid1(VALU_DEP_1)
	v_and_b32_e32 v12, 0x7fffffff, v2
	v_cmpx_gt_u32_e32 0x43f00000, v12
	s_xor_b32 s2, exec_lo, s2
	s_cbranch_execz .LBB352_18
; %bb.13:                               ;   in Loop: Header=BB352_4 Depth=1
	s_mov_b32 s19, exec_lo
                                        ; implicit-def: $vgpr11
	v_cmpx_lt_u32_e32 0x3c7fffff, v12
	s_xor_b32 s19, exec_lo, s19
; %bb.14:                               ;   in Loop: Header=BB352_4 Depth=1
	v_bfe_u32 v11, v2, 20, 1
	s_delay_alu instid0(VALU_DEP_1) | instskip(NEXT) | instid1(VALU_DEP_1)
	v_add3_u32 v11, v2, v11, 0x407ffff
	v_and_b32_e32 v12, 0xff00000, v11
	v_lshrrev_b32_e32 v11, 20, v11
	s_delay_alu instid0(VALU_DEP_2) | instskip(NEXT) | instid1(VALU_DEP_2)
	v_cmp_ne_u32_e32 vcc_lo, 0x7f00000, v12
	v_cndmask_b32_e32 v11, 0x7e, v11, vcc_lo
; %bb.15:                               ;   in Loop: Header=BB352_4 Depth=1
	s_and_not1_saveexec_b32 s19, s19
; %bb.16:                               ;   in Loop: Header=BB352_4 Depth=1
	v_add_f32_e64 v11, 0x46800000, |v2|
; %bb.17:                               ;   in Loop: Header=BB352_4 Depth=1
	s_or_b32 exec_lo, exec_lo, s19
                                        ; implicit-def: $vgpr12
.LBB352_18:                             ;   in Loop: Header=BB352_4 Depth=1
	s_and_not1_saveexec_b32 s2, s2
; %bb.19:                               ;   in Loop: Header=BB352_4 Depth=1
	v_cmp_lt_u32_e32 vcc_lo, 0x7f800000, v12
	v_cndmask_b32_e32 v11, 0x7e, v9, vcc_lo
; %bb.20:                               ;   in Loop: Header=BB352_4 Depth=1
	s_or_b32 exec_lo, exec_lo, s2
	v_cvt_f32_i32_e32 v3, v3
	s_mov_b32 s2, exec_lo
                                        ; implicit-def: $vgpr12
	s_delay_alu instid0(VALU_DEP_1) | instskip(NEXT) | instid1(VALU_DEP_1)
	v_and_b32_e32 v13, 0x7fffffff, v3
	v_cmpx_gt_u32_e32 0x43f00000, v13
	s_xor_b32 s2, exec_lo, s2
	s_cbranch_execz .LBB352_26
; %bb.21:                               ;   in Loop: Header=BB352_4 Depth=1
	s_mov_b32 s19, exec_lo
                                        ; implicit-def: $vgpr12
	v_cmpx_lt_u32_e32 0x3c7fffff, v13
	s_xor_b32 s19, exec_lo, s19
; %bb.22:                               ;   in Loop: Header=BB352_4 Depth=1
	v_bfe_u32 v12, v3, 20, 1
	s_delay_alu instid0(VALU_DEP_1) | instskip(NEXT) | instid1(VALU_DEP_1)
	v_add3_u32 v12, v3, v12, 0x407ffff
	v_and_b32_e32 v13, 0xff00000, v12
	v_lshrrev_b32_e32 v12, 20, v12
	s_delay_alu instid0(VALU_DEP_2) | instskip(NEXT) | instid1(VALU_DEP_2)
	v_cmp_ne_u32_e32 vcc_lo, 0x7f00000, v13
	v_cndmask_b32_e32 v12, 0x7e, v12, vcc_lo
; %bb.23:                               ;   in Loop: Header=BB352_4 Depth=1
	s_and_not1_saveexec_b32 s19, s19
; %bb.24:                               ;   in Loop: Header=BB352_4 Depth=1
	v_add_f32_e64 v12, 0x46800000, |v3|
; %bb.25:                               ;   in Loop: Header=BB352_4 Depth=1
	s_or_b32 exec_lo, exec_lo, s19
                                        ; implicit-def: $vgpr13
.LBB352_26:                             ;   in Loop: Header=BB352_4 Depth=1
	s_and_not1_saveexec_b32 s2, s2
; %bb.27:                               ;   in Loop: Header=BB352_4 Depth=1
	v_cmp_lt_u32_e32 vcc_lo, 0x7f800000, v13
	v_cndmask_b32_e32 v12, 0x7e, v9, vcc_lo
; %bb.28:                               ;   in Loop: Header=BB352_4 Depth=1
	s_or_b32 exec_lo, exec_lo, s2
	v_cvt_f32_i32_e32 v4, v4
	s_mov_b32 s2, exec_lo
                                        ; implicit-def: $vgpr13
	s_delay_alu instid0(VALU_DEP_1) | instskip(NEXT) | instid1(VALU_DEP_1)
	v_and_b32_e32 v14, 0x7fffffff, v4
	v_cmpx_gt_u32_e32 0x43f00000, v14
	s_xor_b32 s2, exec_lo, s2
	s_cbranch_execz .LBB352_34
; %bb.29:                               ;   in Loop: Header=BB352_4 Depth=1
	s_mov_b32 s19, exec_lo
                                        ; implicit-def: $vgpr13
	v_cmpx_lt_u32_e32 0x3c7fffff, v14
	s_xor_b32 s19, exec_lo, s19
; %bb.30:                               ;   in Loop: Header=BB352_4 Depth=1
	v_bfe_u32 v13, v4, 20, 1
	s_delay_alu instid0(VALU_DEP_1) | instskip(NEXT) | instid1(VALU_DEP_1)
	v_add3_u32 v13, v4, v13, 0x407ffff
	v_and_b32_e32 v14, 0xff00000, v13
	v_lshrrev_b32_e32 v13, 20, v13
	s_delay_alu instid0(VALU_DEP_2) | instskip(NEXT) | instid1(VALU_DEP_2)
	v_cmp_ne_u32_e32 vcc_lo, 0x7f00000, v14
	v_cndmask_b32_e32 v13, 0x7e, v13, vcc_lo
; %bb.31:                               ;   in Loop: Header=BB352_4 Depth=1
	s_and_not1_saveexec_b32 s19, s19
; %bb.32:                               ;   in Loop: Header=BB352_4 Depth=1
	v_add_f32_e64 v13, 0x46800000, |v4|
; %bb.33:                               ;   in Loop: Header=BB352_4 Depth=1
	s_or_b32 exec_lo, exec_lo, s19
                                        ; implicit-def: $vgpr14
.LBB352_34:                             ;   in Loop: Header=BB352_4 Depth=1
	s_and_not1_saveexec_b32 s2, s2
	s_cbranch_execz .LBB352_3
; %bb.35:                               ;   in Loop: Header=BB352_4 Depth=1
	v_cmp_lt_u32_e32 vcc_lo, 0x7f800000, v14
	v_cndmask_b32_e32 v13, 0x7e, v9, vcc_lo
	s_branch .LBB352_3
.LBB352_36:
	s_or_b32 exec_lo, exec_lo, s3
	s_mov_b32 s2, 0
.LBB352_37:
	s_delay_alu instid0(SALU_CYCLE_1)
	s_and_not1_b32 vcc_lo, exec_lo, s2
	s_cbranch_vccnz .LBB352_89
; %bb.38:
	v_cmp_lt_i64_e64 s2, s[4:5], 1
	s_delay_alu instid0(VALU_DEP_1)
	s_and_b32 vcc_lo, exec_lo, s2
	s_cbranch_vccnz .LBB352_89
; %bb.39:
	s_load_b32 s0, s[0:1], 0xc5c
	v_cmp_gt_u64_e64 s1, 0x10000, s[4:5]
	v_add_co_u32 v5, s2, s8, v0
	v_lshlrev_b32_e32 v1, 2, v0
	v_add_co_ci_u32_e64 v6, null, s9, 0, s2
	s_delay_alu instid0(VALU_DEP_3) | instskip(SKIP_1) | instid1(VALU_DEP_3)
	v_add_co_u32 v13, vcc_lo, s6, v5
	v_mov_b32_e32 v27, 0x7f
	v_add_co_ci_u32_e32 v14, vcc_lo, s7, v6, vcc_lo
                                        ; implicit-def: $vgpr30
                                        ; implicit-def: $vgpr31
                                        ; implicit-def: $vgpr28
                                        ; implicit-def: $vgpr29
	s_waitcnt lgkmcnt(0)
	s_and_b32 s0, s0, 0xffff
	s_and_b32 s1, s1, exec_lo
	s_cselect_b32 s3, s5, 0
	s_cselect_b32 s2, s4, 0x10000
	s_lshl_b64 s[10:11], s[10:11], 18
	s_lshl_b32 s14, s0, 1
	s_lshl_b32 s1, s0, 2
	s_add_u32 s12, s12, s10
	s_mul_i32 s15, s0, 3
	s_addc_u32 s13, s13, s11
	s_lshl_b32 s10, s0, 4
	v_add_co_u32 v1, s16, s12, v1
	s_add_u32 s11, s8, s15
	v_add_co_ci_u32_e64 v2, null, s13, 0, s16
	s_addc_u32 s16, s9, 0
	s_add_u32 s11, s6, s11
	s_addc_u32 s16, s7, s16
	v_add_co_u32 v15, s11, s11, v0
	s_delay_alu instid0(VALU_DEP_1)
	v_add_co_ci_u32_e64 v16, null, s16, 0, s11
	v_add_co_u32 v17, s11, s15, v0
	v_add_co_u32 v19, s15, v0, s0
	v_add_co_ci_u32_e64 v18, null, 0, 0, s11
	s_lshl_b32 s11, s0, 3
	s_add_u32 s8, s8, s14
	s_addc_u32 s9, s9, 0
	s_add_u32 s8, s6, s8
	v_lshlrev_b32_e32 v3, 2, v19
	s_addc_u32 s9, s7, s9
	v_add_co_u32 v20, s8, s8, v0
	s_delay_alu instid0(VALU_DEP_1)
	v_add_co_ci_u32_e64 v21, null, s9, 0, s8
	v_add_co_u32 v23, s8, s14, v0
	s_add_u32 s6, s6, s0
	v_add_co_ci_u32_e64 v24, null, 0, 0, s8
	v_add_co_u32 v3, s8, s12, v3
	s_addc_u32 s7, s7, 0
	v_add_co_u32 v25, vcc_lo, s6, v5
	v_add_co_ci_u32_e64 v22, null, 0, 0, s15
	v_add_co_ci_u32_e64 v4, null, s13, 0, s8
	v_add_co_ci_u32_e32 v26, vcc_lo, s7, v6, vcc_lo
	s_mul_i32 s8, s0, 12
	s_mov_b64 s[6:7], 0
	s_branch .LBB352_41
.LBB352_40:                             ;   in Loop: Header=BB352_41 Depth=1
	s_or_b32 exec_lo, exec_lo, s0
	s_add_u32 s6, s6, s1
	s_addc_u32 s7, s7, 0
	v_add_co_u32 v1, vcc_lo, v1, s10
	v_cmp_ge_i64_e64 s0, s[6:7], s[4:5]
	v_cmp_lt_u64_e64 s9, 0xffff, s[6:7]
	v_add_co_ci_u32_e32 v2, vcc_lo, 0, v2, vcc_lo
	v_add_co_u32 v3, vcc_lo, v3, s10
	v_add_co_ci_u32_e32 v4, vcc_lo, 0, v4, vcc_lo
	s_delay_alu instid0(VALU_DEP_4) | instskip(NEXT) | instid1(SALU_CYCLE_1)
	s_or_b32 s0, s0, s9
	s_and_b32 vcc_lo, exec_lo, s0
	s_cbranch_vccnz .LBB352_89
.LBB352_41:                             ; =>This Inner Loop Header: Depth=1
	v_add_co_u32 v5, s0, v0, s6
	s_delay_alu instid0(VALU_DEP_1) | instskip(NEXT) | instid1(VALU_DEP_1)
	v_add_co_ci_u32_e64 v6, null, 0, s7, s0
	v_cmp_gt_i64_e32 vcc_lo, s[4:5], v[5:6]
	v_cmp_gt_u64_e64 s0, 0x10000, v[5:6]
	s_delay_alu instid0(VALU_DEP_1) | instskip(NEXT) | instid1(SALU_CYCLE_1)
	s_and_b32 s9, vcc_lo, s0
	s_and_saveexec_b32 s0, s9
	s_cbranch_execz .LBB352_43
; %bb.42:                               ;   in Loop: Header=BB352_41 Depth=1
	global_load_b32 v29, v[1:2], off
.LBB352_43:                             ;   in Loop: Header=BB352_41 Depth=1
	s_or_b32 exec_lo, exec_lo, s0
	v_add_co_u32 v7, vcc_lo, v19, s6
	v_add_co_ci_u32_e32 v8, vcc_lo, s7, v22, vcc_lo
	s_delay_alu instid0(VALU_DEP_1) | instskip(SKIP_1) | instid1(VALU_DEP_1)
	v_cmp_gt_i64_e32 vcc_lo, s[4:5], v[7:8]
	v_cmp_gt_u64_e64 s0, 0x10000, v[7:8]
	s_and_b32 s9, vcc_lo, s0
	s_delay_alu instid0(SALU_CYCLE_1)
	s_and_saveexec_b32 s0, s9
	s_cbranch_execz .LBB352_45
; %bb.44:                               ;   in Loop: Header=BB352_41 Depth=1
	global_load_b32 v28, v[3:4], off
.LBB352_45:                             ;   in Loop: Header=BB352_41 Depth=1
	s_or_b32 exec_lo, exec_lo, s0
	v_add_co_u32 v9, vcc_lo, v23, s6
	v_add_co_ci_u32_e32 v10, vcc_lo, s7, v24, vcc_lo
	s_delay_alu instid0(VALU_DEP_1) | instskip(SKIP_1) | instid1(VALU_DEP_1)
	v_cmp_gt_i64_e32 vcc_lo, s[4:5], v[9:10]
	v_cmp_gt_u64_e64 s0, 0x10000, v[9:10]
	s_and_b32 s9, vcc_lo, s0
	s_delay_alu instid0(SALU_CYCLE_1)
	s_and_saveexec_b32 s0, s9
	s_cbranch_execz .LBB352_47
; %bb.46:                               ;   in Loop: Header=BB352_41 Depth=1
	v_add_co_u32 v11, vcc_lo, v1, s11
	v_add_co_ci_u32_e32 v12, vcc_lo, 0, v2, vcc_lo
	global_load_b32 v31, v[11:12], off
.LBB352_47:                             ;   in Loop: Header=BB352_41 Depth=1
	s_or_b32 exec_lo, exec_lo, s0
	v_add_co_u32 v11, vcc_lo, v17, s6
	v_add_co_ci_u32_e32 v12, vcc_lo, s7, v18, vcc_lo
	s_delay_alu instid0(VALU_DEP_1) | instskip(SKIP_1) | instid1(VALU_DEP_1)
	v_cmp_gt_i64_e32 vcc_lo, s[4:5], v[11:12]
	v_cmp_gt_u64_e64 s0, 0x10000, v[11:12]
	s_and_b32 s9, vcc_lo, s0
	s_delay_alu instid0(SALU_CYCLE_1)
	s_and_saveexec_b32 s0, s9
	s_cbranch_execz .LBB352_49
; %bb.48:                               ;   in Loop: Header=BB352_41 Depth=1
	v_add_co_u32 v32, vcc_lo, v1, s8
	v_add_co_ci_u32_e32 v33, vcc_lo, 0, v2, vcc_lo
	global_load_b32 v30, v[32:33], off
.LBB352_49:                             ;   in Loop: Header=BB352_41 Depth=1
	s_or_b32 exec_lo, exec_lo, s0
	s_waitcnt vmcnt(0)
	v_cvt_f32_i32_e32 v32, v29
	s_mov_b32 s0, exec_lo
                                        ; implicit-def: $vgpr33
	s_delay_alu instid0(VALU_DEP_1) | instskip(NEXT) | instid1(VALU_DEP_1)
	v_and_b32_e32 v34, 0x7fffffff, v32
	v_cmpx_gt_u32_e32 0x43f00000, v34
	s_xor_b32 s0, exec_lo, s0
	s_cbranch_execz .LBB352_55
; %bb.50:                               ;   in Loop: Header=BB352_41 Depth=1
	s_mov_b32 s9, exec_lo
                                        ; implicit-def: $vgpr33
	v_cmpx_lt_u32_e32 0x3c7fffff, v34
	s_xor_b32 s9, exec_lo, s9
; %bb.51:                               ;   in Loop: Header=BB352_41 Depth=1
	v_bfe_u32 v33, v32, 20, 1
	s_delay_alu instid0(VALU_DEP_1) | instskip(NEXT) | instid1(VALU_DEP_1)
	v_add3_u32 v33, v32, v33, 0x407ffff
	v_and_b32_e32 v34, 0xff00000, v33
	v_lshrrev_b32_e32 v33, 20, v33
	s_delay_alu instid0(VALU_DEP_2) | instskip(NEXT) | instid1(VALU_DEP_2)
	v_cmp_ne_u32_e32 vcc_lo, 0x7f00000, v34
	v_cndmask_b32_e32 v33, 0x7e, v33, vcc_lo
; %bb.52:                               ;   in Loop: Header=BB352_41 Depth=1
	s_and_not1_saveexec_b32 s9, s9
; %bb.53:                               ;   in Loop: Header=BB352_41 Depth=1
	v_add_f32_e64 v33, 0x46800000, |v32|
; %bb.54:                               ;   in Loop: Header=BB352_41 Depth=1
	s_or_b32 exec_lo, exec_lo, s9
                                        ; implicit-def: $vgpr34
.LBB352_55:                             ;   in Loop: Header=BB352_41 Depth=1
	s_and_not1_saveexec_b32 s0, s0
; %bb.56:                               ;   in Loop: Header=BB352_41 Depth=1
	v_cmp_lt_u32_e32 vcc_lo, 0x7f800000, v34
	v_cndmask_b32_e32 v33, 0x7e, v27, vcc_lo
; %bb.57:                               ;   in Loop: Header=BB352_41 Depth=1
	s_or_b32 exec_lo, exec_lo, s0
	v_cvt_f32_i32_e32 v34, v28
	s_mov_b32 s0, exec_lo
                                        ; implicit-def: $vgpr35
	s_delay_alu instid0(VALU_DEP_1) | instskip(NEXT) | instid1(VALU_DEP_1)
	v_and_b32_e32 v36, 0x7fffffff, v34
	v_cmpx_gt_u32_e32 0x43f00000, v36
	s_xor_b32 s0, exec_lo, s0
	s_cbranch_execz .LBB352_63
; %bb.58:                               ;   in Loop: Header=BB352_41 Depth=1
	s_mov_b32 s9, exec_lo
                                        ; implicit-def: $vgpr35
	v_cmpx_lt_u32_e32 0x3c7fffff, v36
	s_xor_b32 s9, exec_lo, s9
; %bb.59:                               ;   in Loop: Header=BB352_41 Depth=1
	v_bfe_u32 v35, v34, 20, 1
	s_delay_alu instid0(VALU_DEP_1) | instskip(NEXT) | instid1(VALU_DEP_1)
	v_add3_u32 v35, v34, v35, 0x407ffff
	v_and_b32_e32 v36, 0xff00000, v35
	v_lshrrev_b32_e32 v35, 20, v35
	s_delay_alu instid0(VALU_DEP_2) | instskip(NEXT) | instid1(VALU_DEP_2)
	v_cmp_ne_u32_e32 vcc_lo, 0x7f00000, v36
	v_cndmask_b32_e32 v35, 0x7e, v35, vcc_lo
; %bb.60:                               ;   in Loop: Header=BB352_41 Depth=1
	s_and_not1_saveexec_b32 s9, s9
; %bb.61:                               ;   in Loop: Header=BB352_41 Depth=1
	v_add_f32_e64 v35, 0x46800000, |v34|
; %bb.62:                               ;   in Loop: Header=BB352_41 Depth=1
	s_or_b32 exec_lo, exec_lo, s9
                                        ; implicit-def: $vgpr36
.LBB352_63:                             ;   in Loop: Header=BB352_41 Depth=1
	s_and_not1_saveexec_b32 s0, s0
; %bb.64:                               ;   in Loop: Header=BB352_41 Depth=1
	v_cmp_lt_u32_e32 vcc_lo, 0x7f800000, v36
	v_cndmask_b32_e32 v35, 0x7e, v27, vcc_lo
; %bb.65:                               ;   in Loop: Header=BB352_41 Depth=1
	s_or_b32 exec_lo, exec_lo, s0
	v_cvt_f32_i32_e32 v36, v31
	s_mov_b32 s0, exec_lo
                                        ; implicit-def: $vgpr37
	s_delay_alu instid0(VALU_DEP_1) | instskip(NEXT) | instid1(VALU_DEP_1)
	v_and_b32_e32 v38, 0x7fffffff, v36
	v_cmpx_gt_u32_e32 0x43f00000, v38
	s_xor_b32 s0, exec_lo, s0
	s_cbranch_execz .LBB352_71
; %bb.66:                               ;   in Loop: Header=BB352_41 Depth=1
	s_mov_b32 s9, exec_lo
                                        ; implicit-def: $vgpr37
	v_cmpx_lt_u32_e32 0x3c7fffff, v38
	s_xor_b32 s9, exec_lo, s9
; %bb.67:                               ;   in Loop: Header=BB352_41 Depth=1
	v_bfe_u32 v37, v36, 20, 1
	s_delay_alu instid0(VALU_DEP_1) | instskip(NEXT) | instid1(VALU_DEP_1)
	v_add3_u32 v37, v36, v37, 0x407ffff
	v_and_b32_e32 v38, 0xff00000, v37
	v_lshrrev_b32_e32 v37, 20, v37
	s_delay_alu instid0(VALU_DEP_2) | instskip(NEXT) | instid1(VALU_DEP_2)
	v_cmp_ne_u32_e32 vcc_lo, 0x7f00000, v38
	v_cndmask_b32_e32 v37, 0x7e, v37, vcc_lo
; %bb.68:                               ;   in Loop: Header=BB352_41 Depth=1
	s_and_not1_saveexec_b32 s9, s9
; %bb.69:                               ;   in Loop: Header=BB352_41 Depth=1
	v_add_f32_e64 v37, 0x46800000, |v36|
; %bb.70:                               ;   in Loop: Header=BB352_41 Depth=1
	s_or_b32 exec_lo, exec_lo, s9
                                        ; implicit-def: $vgpr38
.LBB352_71:                             ;   in Loop: Header=BB352_41 Depth=1
	s_and_not1_saveexec_b32 s0, s0
; %bb.72:                               ;   in Loop: Header=BB352_41 Depth=1
	v_cmp_lt_u32_e32 vcc_lo, 0x7f800000, v38
	v_cndmask_b32_e32 v37, 0x7e, v27, vcc_lo
; %bb.73:                               ;   in Loop: Header=BB352_41 Depth=1
	s_or_b32 exec_lo, exec_lo, s0
	v_cvt_f32_i32_e32 v38, v30
	s_mov_b32 s0, exec_lo
                                        ; implicit-def: $vgpr39
	s_delay_alu instid0(VALU_DEP_1) | instskip(NEXT) | instid1(VALU_DEP_1)
	v_and_b32_e32 v40, 0x7fffffff, v38
	v_cmpx_gt_u32_e32 0x43f00000, v40
	s_xor_b32 s0, exec_lo, s0
	s_cbranch_execz .LBB352_79
; %bb.74:                               ;   in Loop: Header=BB352_41 Depth=1
	s_mov_b32 s9, exec_lo
                                        ; implicit-def: $vgpr39
	v_cmpx_lt_u32_e32 0x3c7fffff, v40
	s_xor_b32 s9, exec_lo, s9
; %bb.75:                               ;   in Loop: Header=BB352_41 Depth=1
	v_bfe_u32 v39, v38, 20, 1
	s_delay_alu instid0(VALU_DEP_1) | instskip(NEXT) | instid1(VALU_DEP_1)
	v_add3_u32 v39, v38, v39, 0x407ffff
	v_and_b32_e32 v40, 0xff00000, v39
	v_lshrrev_b32_e32 v39, 20, v39
	s_delay_alu instid0(VALU_DEP_2) | instskip(NEXT) | instid1(VALU_DEP_2)
	v_cmp_ne_u32_e32 vcc_lo, 0x7f00000, v40
	v_cndmask_b32_e32 v39, 0x7e, v39, vcc_lo
; %bb.76:                               ;   in Loop: Header=BB352_41 Depth=1
	s_and_not1_saveexec_b32 s9, s9
; %bb.77:                               ;   in Loop: Header=BB352_41 Depth=1
	v_add_f32_e64 v39, 0x46800000, |v38|
; %bb.78:                               ;   in Loop: Header=BB352_41 Depth=1
	s_or_b32 exec_lo, exec_lo, s9
                                        ; implicit-def: $vgpr40
.LBB352_79:                             ;   in Loop: Header=BB352_41 Depth=1
	s_and_not1_saveexec_b32 s0, s0
; %bb.80:                               ;   in Loop: Header=BB352_41 Depth=1
	v_cmp_lt_u32_e32 vcc_lo, 0x7f800000, v40
	v_cndmask_b32_e32 v39, 0x7e, v27, vcc_lo
; %bb.81:                               ;   in Loop: Header=BB352_41 Depth=1
	s_or_b32 exec_lo, exec_lo, s0
	s_delay_alu instid0(SALU_CYCLE_1)
	s_mov_b32 s0, exec_lo
	v_cmpx_gt_u64_e64 s[2:3], v[5:6]
	s_xor_b32 s0, exec_lo, s0
	s_cbranch_execnz .LBB352_85
; %bb.82:                               ;   in Loop: Header=BB352_41 Depth=1
	s_or_b32 exec_lo, exec_lo, s0
	s_delay_alu instid0(SALU_CYCLE_1)
	s_mov_b32 s0, exec_lo
	v_cmpx_gt_u64_e64 s[2:3], v[7:8]
	s_cbranch_execnz .LBB352_86
.LBB352_83:                             ;   in Loop: Header=BB352_41 Depth=1
	s_or_b32 exec_lo, exec_lo, s0
	s_delay_alu instid0(SALU_CYCLE_1)
	s_mov_b32 s0, exec_lo
	v_cmpx_gt_u64_e64 s[2:3], v[9:10]
	s_cbranch_execnz .LBB352_87
.LBB352_84:                             ;   in Loop: Header=BB352_41 Depth=1
	s_or_b32 exec_lo, exec_lo, s0
	s_delay_alu instid0(SALU_CYCLE_1)
	s_mov_b32 s0, exec_lo
	v_cmpx_gt_u64_e64 s[2:3], v[11:12]
	s_cbranch_execz .LBB352_40
	s_branch .LBB352_88
.LBB352_85:                             ;   in Loop: Header=BB352_41 Depth=1
	v_lshrrev_b32_e32 v5, 24, v32
	s_delay_alu instid0(VALU_DEP_1) | instskip(SKIP_4) | instid1(SALU_CYCLE_1)
	v_and_or_b32 v32, 0x80, v5, v33
	v_add_co_u32 v5, vcc_lo, v13, s6
	v_add_co_ci_u32_e32 v6, vcc_lo, s7, v14, vcc_lo
	global_store_b8 v[5:6], v32, off
	s_or_b32 exec_lo, exec_lo, s0
	s_mov_b32 s0, exec_lo
	v_cmpx_gt_u64_e64 s[2:3], v[7:8]
	s_cbranch_execz .LBB352_83
.LBB352_86:                             ;   in Loop: Header=BB352_41 Depth=1
	v_lshrrev_b32_e32 v5, 24, v34
	s_delay_alu instid0(VALU_DEP_1) | instskip(SKIP_4) | instid1(SALU_CYCLE_1)
	v_and_or_b32 v7, 0x80, v5, v35
	v_add_co_u32 v5, vcc_lo, v25, s6
	v_add_co_ci_u32_e32 v6, vcc_lo, s7, v26, vcc_lo
	global_store_b8 v[5:6], v7, off
	s_or_b32 exec_lo, exec_lo, s0
	s_mov_b32 s0, exec_lo
	v_cmpx_gt_u64_e64 s[2:3], v[9:10]
	s_cbranch_execz .LBB352_84
.LBB352_87:                             ;   in Loop: Header=BB352_41 Depth=1
	v_lshrrev_b32_e32 v5, 24, v36
	s_delay_alu instid0(VALU_DEP_1) | instskip(SKIP_4) | instid1(SALU_CYCLE_1)
	v_and_or_b32 v7, 0x80, v5, v37
	v_add_co_u32 v5, vcc_lo, v20, s6
	v_add_co_ci_u32_e32 v6, vcc_lo, s7, v21, vcc_lo
	global_store_b8 v[5:6], v7, off
	s_or_b32 exec_lo, exec_lo, s0
	s_mov_b32 s0, exec_lo
	v_cmpx_gt_u64_e64 s[2:3], v[11:12]
	s_cbranch_execz .LBB352_40
.LBB352_88:                             ;   in Loop: Header=BB352_41 Depth=1
	v_lshrrev_b32_e32 v5, 24, v38
	s_delay_alu instid0(VALU_DEP_1)
	v_and_or_b32 v7, 0x80, v5, v39
	v_add_co_u32 v5, vcc_lo, v15, s6
	v_add_co_ci_u32_e32 v6, vcc_lo, s7, v16, vcc_lo
	global_store_b8 v[5:6], v7, off
	s_branch .LBB352_40
.LBB352_89:
	s_nop 0
	s_sendmsg sendmsg(MSG_DEALLOC_VGPRS)
	s_endpgm
	.section	.rodata,"a",@progbits
	.p2align	6, 0x0
	.amdhsa_kernel _ZN2at6native12_GLOBAL__N_125multi_tensor_apply_kernelINS1_18TensorListMetadataILi2EEENS1_11CopyFunctorIN3c1013Float8_e4m3fnEiLi2ELi1ELi1EEEJNS0_4CopyIS7_iEEEEEvT_T0_DpT1_
		.amdhsa_group_segment_fixed_size 0
		.amdhsa_private_segment_fixed_size 0
		.amdhsa_kernarg_size 3408
		.amdhsa_user_sgpr_count 15
		.amdhsa_user_sgpr_dispatch_ptr 0
		.amdhsa_user_sgpr_queue_ptr 0
		.amdhsa_user_sgpr_kernarg_segment_ptr 1
		.amdhsa_user_sgpr_dispatch_id 0
		.amdhsa_user_sgpr_private_segment_size 0
		.amdhsa_wavefront_size32 1
		.amdhsa_uses_dynamic_stack 0
		.amdhsa_enable_private_segment 0
		.amdhsa_system_sgpr_workgroup_id_x 1
		.amdhsa_system_sgpr_workgroup_id_y 0
		.amdhsa_system_sgpr_workgroup_id_z 0
		.amdhsa_system_sgpr_workgroup_info 0
		.amdhsa_system_vgpr_workitem_id 0
		.amdhsa_next_free_vgpr 41
		.amdhsa_next_free_sgpr 20
		.amdhsa_reserve_vcc 1
		.amdhsa_float_round_mode_32 0
		.amdhsa_float_round_mode_16_64 0
		.amdhsa_float_denorm_mode_32 3
		.amdhsa_float_denorm_mode_16_64 3
		.amdhsa_dx10_clamp 1
		.amdhsa_ieee_mode 1
		.amdhsa_fp16_overflow 0
		.amdhsa_workgroup_processor_mode 1
		.amdhsa_memory_ordered 1
		.amdhsa_forward_progress 0
		.amdhsa_shared_vgpr_count 0
		.amdhsa_exception_fp_ieee_invalid_op 0
		.amdhsa_exception_fp_denorm_src 0
		.amdhsa_exception_fp_ieee_div_zero 0
		.amdhsa_exception_fp_ieee_overflow 0
		.amdhsa_exception_fp_ieee_underflow 0
		.amdhsa_exception_fp_ieee_inexact 0
		.amdhsa_exception_int_div_zero 0
	.end_amdhsa_kernel
	.section	.text._ZN2at6native12_GLOBAL__N_125multi_tensor_apply_kernelINS1_18TensorListMetadataILi2EEENS1_11CopyFunctorIN3c1013Float8_e4m3fnEiLi2ELi1ELi1EEEJNS0_4CopyIS7_iEEEEEvT_T0_DpT1_,"axG",@progbits,_ZN2at6native12_GLOBAL__N_125multi_tensor_apply_kernelINS1_18TensorListMetadataILi2EEENS1_11CopyFunctorIN3c1013Float8_e4m3fnEiLi2ELi1ELi1EEEJNS0_4CopyIS7_iEEEEEvT_T0_DpT1_,comdat
.Lfunc_end352:
	.size	_ZN2at6native12_GLOBAL__N_125multi_tensor_apply_kernelINS1_18TensorListMetadataILi2EEENS1_11CopyFunctorIN3c1013Float8_e4m3fnEiLi2ELi1ELi1EEEJNS0_4CopyIS7_iEEEEEvT_T0_DpT1_, .Lfunc_end352-_ZN2at6native12_GLOBAL__N_125multi_tensor_apply_kernelINS1_18TensorListMetadataILi2EEENS1_11CopyFunctorIN3c1013Float8_e4m3fnEiLi2ELi1ELi1EEEJNS0_4CopyIS7_iEEEEEvT_T0_DpT1_
                                        ; -- End function
	.section	.AMDGPU.csdata,"",@progbits
; Kernel info:
; codeLenInByte = 2732
; NumSgprs: 22
; NumVgprs: 41
; ScratchSize: 0
; MemoryBound: 0
; FloatMode: 240
; IeeeMode: 1
; LDSByteSize: 0 bytes/workgroup (compile time only)
; SGPRBlocks: 2
; VGPRBlocks: 5
; NumSGPRsForWavesPerEU: 22
; NumVGPRsForWavesPerEU: 41
; Occupancy: 16
; WaveLimiterHint : 0
; COMPUTE_PGM_RSRC2:SCRATCH_EN: 0
; COMPUTE_PGM_RSRC2:USER_SGPR: 15
; COMPUTE_PGM_RSRC2:TRAP_HANDLER: 0
; COMPUTE_PGM_RSRC2:TGID_X_EN: 1
; COMPUTE_PGM_RSRC2:TGID_Y_EN: 0
; COMPUTE_PGM_RSRC2:TGID_Z_EN: 0
; COMPUTE_PGM_RSRC2:TIDIG_COMP_CNT: 0
	.section	.text._ZN2at6native12_GLOBAL__N_125multi_tensor_apply_kernelINS1_18TensorListMetadataILi2EEENS1_11CopyFunctorIN3c1013Float8_e4m3fnEdLi2ELi1ELi1EEEJNS0_4CopyIS7_dEEEEEvT_T0_DpT1_,"axG",@progbits,_ZN2at6native12_GLOBAL__N_125multi_tensor_apply_kernelINS1_18TensorListMetadataILi2EEENS1_11CopyFunctorIN3c1013Float8_e4m3fnEdLi2ELi1ELi1EEEJNS0_4CopyIS7_dEEEEEvT_T0_DpT1_,comdat
	.globl	_ZN2at6native12_GLOBAL__N_125multi_tensor_apply_kernelINS1_18TensorListMetadataILi2EEENS1_11CopyFunctorIN3c1013Float8_e4m3fnEdLi2ELi1ELi1EEEJNS0_4CopyIS7_dEEEEEvT_T0_DpT1_ ; -- Begin function _ZN2at6native12_GLOBAL__N_125multi_tensor_apply_kernelINS1_18TensorListMetadataILi2EEENS1_11CopyFunctorIN3c1013Float8_e4m3fnEdLi2ELi1ELi1EEEJNS0_4CopyIS7_dEEEEEvT_T0_DpT1_
	.p2align	8
	.type	_ZN2at6native12_GLOBAL__N_125multi_tensor_apply_kernelINS1_18TensorListMetadataILi2EEENS1_11CopyFunctorIN3c1013Float8_e4m3fnEdLi2ELi1ELi1EEEJNS0_4CopyIS7_dEEEEEvT_T0_DpT1_,@function
_ZN2at6native12_GLOBAL__N_125multi_tensor_apply_kernelINS1_18TensorListMetadataILi2EEENS1_11CopyFunctorIN3c1013Float8_e4m3fnEdLi2ELi1ELi1EEEJNS0_4CopyIS7_dEEEEEvT_T0_DpT1_: ; @_ZN2at6native12_GLOBAL__N_125multi_tensor_apply_kernelINS1_18TensorListMetadataILi2EEENS1_11CopyFunctorIN3c1013Float8_e4m3fnEdLi2ELi1ELi1EEEJNS0_4CopyIS7_dEEEEEvT_T0_DpT1_
; %bb.0:
	v_mov_b32_e32 v1, s15
	s_add_u32 s2, s0, s15
	s_mul_i32 s4, s15, 3
	s_addc_u32 s3, s1, 0
	s_mul_hi_u32 s5, s15, 3
	global_load_u8 v1, v1, s[0:1] offset:1536
	s_add_u32 s2, s2, s4
	s_addc_u32 s3, s3, s5
	s_mov_b32 s17, 0
	s_load_b32 s10, s[2:3], 0x740
	s_waitcnt lgkmcnt(0)
	s_ashr_i32 s11, s10, 31
	s_delay_alu instid0(SALU_CYCLE_1) | instskip(SKIP_2) | instid1(VALU_DEP_1)
	s_lshl_b64 s[8:9], s[10:11], 16
	s_waitcnt vmcnt(0)
	v_readfirstlane_b32 s4, v1
	s_lshl_b32 s4, s4, 3
	s_clause 0x2
	s_load_b64 s[6:7], s[0:1], s4 offset:0x200
	s_load_b64 s[2:3], s[0:1], s4 offset:0x400
	;; [unrolled: 1-line block ×3, first 2 shown]
	s_waitcnt lgkmcnt(0)
	s_add_u32 s14, s6, s8
	s_addc_u32 s15, s7, s9
	s_delay_alu instid0(SALU_CYCLE_1) | instskip(SKIP_2) | instid1(SALU_CYCLE_1)
	s_or_b64 s[4:5], s[2:3], s[14:15]
	s_and_b32 s5, s12, 31
	s_and_b32 s4, s4, 3
	s_or_b32 s16, s4, s5
	s_sub_u32 s4, s2, s8
	s_subb_u32 s5, s3, s9
	s_cmp_eq_u64 s[16:17], 0
	s_mov_b32 s2, -1
	s_cbranch_scc0 .LBB353_37
; %bb.1:
	v_dual_mov_b32 v10, 0 :: v_dual_lshlrev_b32 v9, 2, v0
	s_mov_b32 s3, exec_lo
	s_delay_alu instid0(VALU_DEP_1)
	v_cmpx_gt_i64_e64 s[4:5], v[9:10]
	s_cbranch_execz .LBB353_36
; %bb.2:
	s_load_b32 s2, s[0:1], 0xc5c
	v_lshlrev_b32_e32 v1, 5, v0
	s_lshl_b64 s[18:19], s[10:11], 19
	v_mov_b32_e32 v13, 0x7f
	s_waitcnt lgkmcnt(0)
	s_and_b32 s2, s2, 0xffff
	s_delay_alu instid0(SALU_CYCLE_1) | instskip(SKIP_3) | instid1(VALU_DEP_1)
	s_lshl_b32 s16, s2, 2
	s_add_u32 s17, s12, s18
	s_addc_u32 s18, s13, s19
	v_add_co_u32 v11, s17, s17, v1
	v_add_co_ci_u32_e64 v12, null, s18, 0, s17
	s_mov_b32 s17, 0
	s_lshl_b32 s18, s2, 5
	s_branch .LBB353_4
.LBB353_3:                              ;   in Loop: Header=BB353_4 Depth=1
	s_or_b32 exec_lo, exec_lo, s2
	v_lshrrev_b32_e32 v1, 24, v1
	v_lshrrev_b32_e32 v7, 24, v7
	;; [unrolled: 1-line block ×3, first 2 shown]
	v_add_co_u32 v6, vcc_lo, s14, v9
	s_delay_alu instid0(VALU_DEP_4) | instskip(NEXT) | instid1(VALU_DEP_4)
	v_and_b32_e32 v1, 0x80, v1
	v_and_b32_e32 v15, 0x80, v7
	v_add_co_ci_u32_e32 v7, vcc_lo, s15, v10, vcc_lo
	v_add_co_u32 v9, vcc_lo, s16, v9
	s_delay_alu instid0(VALU_DEP_4)
	v_and_or_b32 v1, 0xff, v2, v1
	v_add_co_ci_u32_e32 v10, vcc_lo, 0, v10, vcc_lo
	v_lshlrev_b32_e32 v4, 24, v4
	v_and_or_b32 v2, 0xff, v8, v15
	v_and_b32_e32 v3, 0x80000000, v3
	v_and_b32_e32 v5, 0xff, v5
	v_lshlrev_b32_e32 v1, 16, v1
	v_cmp_le_i64_e32 vcc_lo, s[4:5], v[9:10]
	v_cmp_lt_u64_e64 s2, 0xffff, v[9:10]
	v_lshlrev_b32_e32 v2, 8, v2
	v_and_or_b32 v5, 0x80, v14, v5
	v_or3_b32 v1, v3, v4, v1
	s_delay_alu instid0(VALU_DEP_4) | instskip(SKIP_1) | instid1(VALU_DEP_2)
	s_or_b32 s2, vcc_lo, s2
	v_add_co_u32 v11, vcc_lo, v11, s18
	v_or3_b32 v1, v1, v2, v5
	v_add_co_ci_u32_e32 v12, vcc_lo, 0, v12, vcc_lo
	s_and_b32 s2, exec_lo, s2
	s_delay_alu instid0(SALU_CYCLE_1)
	s_or_b32 s17, s2, s17
	global_store_b32 v[6:7], v1, off
	s_and_not1_b32 exec_lo, exec_lo, s17
	s_cbranch_execz .LBB353_36
.LBB353_4:                              ; =>This Inner Loop Header: Depth=1
	s_clause 0x1
	global_load_b128 v[5:8], v[11:12], off
	global_load_b128 v[1:4], v[11:12], off offset:16
	s_mov_b32 s2, exec_lo
	s_waitcnt vmcnt(1)
	v_cvt_f32_f64_e32 v6, v[5:6]
                                        ; implicit-def: $vgpr5
	s_delay_alu instid0(VALU_DEP_1) | instskip(NEXT) | instid1(VALU_DEP_1)
	v_and_b32_e32 v14, 0x7fffffff, v6
	v_cmpx_gt_u32_e32 0x43f00000, v14
	s_xor_b32 s2, exec_lo, s2
	s_cbranch_execz .LBB353_10
; %bb.5:                                ;   in Loop: Header=BB353_4 Depth=1
	s_mov_b32 s19, exec_lo
                                        ; implicit-def: $vgpr5
	v_cmpx_lt_u32_e32 0x3c7fffff, v14
	s_xor_b32 s19, exec_lo, s19
; %bb.6:                                ;   in Loop: Header=BB353_4 Depth=1
	v_bfe_u32 v5, v6, 20, 1
	s_delay_alu instid0(VALU_DEP_1) | instskip(NEXT) | instid1(VALU_DEP_1)
	v_add3_u32 v5, v6, v5, 0x407ffff
	v_and_b32_e32 v14, 0xff00000, v5
	v_lshrrev_b32_e32 v5, 20, v5
	s_delay_alu instid0(VALU_DEP_2) | instskip(NEXT) | instid1(VALU_DEP_2)
	v_cmp_ne_u32_e32 vcc_lo, 0x7f00000, v14
	v_cndmask_b32_e32 v5, 0x7e, v5, vcc_lo
; %bb.7:                                ;   in Loop: Header=BB353_4 Depth=1
	s_and_not1_saveexec_b32 s19, s19
; %bb.8:                                ;   in Loop: Header=BB353_4 Depth=1
	v_add_f32_e64 v5, 0x46800000, |v6|
; %bb.9:                                ;   in Loop: Header=BB353_4 Depth=1
	s_or_b32 exec_lo, exec_lo, s19
                                        ; implicit-def: $vgpr14
.LBB353_10:                             ;   in Loop: Header=BB353_4 Depth=1
	s_and_not1_saveexec_b32 s2, s2
; %bb.11:                               ;   in Loop: Header=BB353_4 Depth=1
	v_cmp_lt_u32_e32 vcc_lo, 0x7f800000, v14
	v_cndmask_b32_e32 v5, 0x7e, v13, vcc_lo
; %bb.12:                               ;   in Loop: Header=BB353_4 Depth=1
	s_or_b32 exec_lo, exec_lo, s2
	v_cvt_f32_f64_e32 v7, v[7:8]
	s_mov_b32 s2, exec_lo
                                        ; implicit-def: $vgpr8
	s_delay_alu instid0(VALU_DEP_1) | instskip(NEXT) | instid1(VALU_DEP_1)
	v_and_b32_e32 v14, 0x7fffffff, v7
	v_cmpx_gt_u32_e32 0x43f00000, v14
	s_xor_b32 s2, exec_lo, s2
	s_cbranch_execz .LBB353_18
; %bb.13:                               ;   in Loop: Header=BB353_4 Depth=1
	s_mov_b32 s19, exec_lo
                                        ; implicit-def: $vgpr8
	v_cmpx_lt_u32_e32 0x3c7fffff, v14
	s_xor_b32 s19, exec_lo, s19
; %bb.14:                               ;   in Loop: Header=BB353_4 Depth=1
	v_bfe_u32 v8, v7, 20, 1
	s_delay_alu instid0(VALU_DEP_1) | instskip(NEXT) | instid1(VALU_DEP_1)
	v_add3_u32 v8, v7, v8, 0x407ffff
	v_and_b32_e32 v14, 0xff00000, v8
	v_lshrrev_b32_e32 v8, 20, v8
	s_delay_alu instid0(VALU_DEP_2) | instskip(NEXT) | instid1(VALU_DEP_2)
	v_cmp_ne_u32_e32 vcc_lo, 0x7f00000, v14
	v_cndmask_b32_e32 v8, 0x7e, v8, vcc_lo
; %bb.15:                               ;   in Loop: Header=BB353_4 Depth=1
	s_and_not1_saveexec_b32 s19, s19
; %bb.16:                               ;   in Loop: Header=BB353_4 Depth=1
	v_add_f32_e64 v8, 0x46800000, |v7|
; %bb.17:                               ;   in Loop: Header=BB353_4 Depth=1
	s_or_b32 exec_lo, exec_lo, s19
                                        ; implicit-def: $vgpr14
.LBB353_18:                             ;   in Loop: Header=BB353_4 Depth=1
	s_and_not1_saveexec_b32 s2, s2
; %bb.19:                               ;   in Loop: Header=BB353_4 Depth=1
	v_cmp_lt_u32_e32 vcc_lo, 0x7f800000, v14
	v_cndmask_b32_e32 v8, 0x7e, v13, vcc_lo
; %bb.20:                               ;   in Loop: Header=BB353_4 Depth=1
	s_or_b32 exec_lo, exec_lo, s2
	s_waitcnt vmcnt(0)
	v_cvt_f32_f64_e32 v1, v[1:2]
	s_mov_b32 s2, exec_lo
                                        ; implicit-def: $vgpr2
	s_delay_alu instid0(VALU_DEP_1) | instskip(NEXT) | instid1(VALU_DEP_1)
	v_and_b32_e32 v14, 0x7fffffff, v1
	v_cmpx_gt_u32_e32 0x43f00000, v14
	s_xor_b32 s2, exec_lo, s2
	s_cbranch_execz .LBB353_26
; %bb.21:                               ;   in Loop: Header=BB353_4 Depth=1
	s_mov_b32 s19, exec_lo
                                        ; implicit-def: $vgpr2
	v_cmpx_lt_u32_e32 0x3c7fffff, v14
	s_xor_b32 s19, exec_lo, s19
; %bb.22:                               ;   in Loop: Header=BB353_4 Depth=1
	v_bfe_u32 v2, v1, 20, 1
	s_delay_alu instid0(VALU_DEP_1) | instskip(NEXT) | instid1(VALU_DEP_1)
	v_add3_u32 v2, v1, v2, 0x407ffff
	v_and_b32_e32 v14, 0xff00000, v2
	v_lshrrev_b32_e32 v2, 20, v2
	s_delay_alu instid0(VALU_DEP_2) | instskip(NEXT) | instid1(VALU_DEP_2)
	v_cmp_ne_u32_e32 vcc_lo, 0x7f00000, v14
	v_cndmask_b32_e32 v2, 0x7e, v2, vcc_lo
; %bb.23:                               ;   in Loop: Header=BB353_4 Depth=1
	s_and_not1_saveexec_b32 s19, s19
; %bb.24:                               ;   in Loop: Header=BB353_4 Depth=1
	v_add_f32_e64 v2, 0x46800000, |v1|
; %bb.25:                               ;   in Loop: Header=BB353_4 Depth=1
	s_or_b32 exec_lo, exec_lo, s19
                                        ; implicit-def: $vgpr14
.LBB353_26:                             ;   in Loop: Header=BB353_4 Depth=1
	s_and_not1_saveexec_b32 s2, s2
; %bb.27:                               ;   in Loop: Header=BB353_4 Depth=1
	v_cmp_lt_u32_e32 vcc_lo, 0x7f800000, v14
	v_cndmask_b32_e32 v2, 0x7e, v13, vcc_lo
; %bb.28:                               ;   in Loop: Header=BB353_4 Depth=1
	s_or_b32 exec_lo, exec_lo, s2
	v_cvt_f32_f64_e32 v3, v[3:4]
	s_mov_b32 s2, exec_lo
                                        ; implicit-def: $vgpr4
	s_delay_alu instid0(VALU_DEP_1) | instskip(NEXT) | instid1(VALU_DEP_1)
	v_and_b32_e32 v14, 0x7fffffff, v3
	v_cmpx_gt_u32_e32 0x43f00000, v14
	s_xor_b32 s2, exec_lo, s2
	s_cbranch_execz .LBB353_34
; %bb.29:                               ;   in Loop: Header=BB353_4 Depth=1
	s_mov_b32 s19, exec_lo
                                        ; implicit-def: $vgpr4
	v_cmpx_lt_u32_e32 0x3c7fffff, v14
	s_xor_b32 s19, exec_lo, s19
; %bb.30:                               ;   in Loop: Header=BB353_4 Depth=1
	v_bfe_u32 v4, v3, 20, 1
	s_delay_alu instid0(VALU_DEP_1) | instskip(NEXT) | instid1(VALU_DEP_1)
	v_add3_u32 v4, v3, v4, 0x407ffff
	v_and_b32_e32 v14, 0xff00000, v4
	v_lshrrev_b32_e32 v4, 20, v4
	s_delay_alu instid0(VALU_DEP_2) | instskip(NEXT) | instid1(VALU_DEP_2)
	v_cmp_ne_u32_e32 vcc_lo, 0x7f00000, v14
	v_cndmask_b32_e32 v4, 0x7e, v4, vcc_lo
; %bb.31:                               ;   in Loop: Header=BB353_4 Depth=1
	s_and_not1_saveexec_b32 s19, s19
; %bb.32:                               ;   in Loop: Header=BB353_4 Depth=1
	v_add_f32_e64 v4, 0x46800000, |v3|
; %bb.33:                               ;   in Loop: Header=BB353_4 Depth=1
	s_or_b32 exec_lo, exec_lo, s19
                                        ; implicit-def: $vgpr14
.LBB353_34:                             ;   in Loop: Header=BB353_4 Depth=1
	s_and_not1_saveexec_b32 s2, s2
	s_cbranch_execz .LBB353_3
; %bb.35:                               ;   in Loop: Header=BB353_4 Depth=1
	v_cmp_lt_u32_e32 vcc_lo, 0x7f800000, v14
	v_cndmask_b32_e32 v4, 0x7e, v13, vcc_lo
	s_branch .LBB353_3
.LBB353_36:
	s_or_b32 exec_lo, exec_lo, s3
	s_mov_b32 s2, 0
.LBB353_37:
	s_delay_alu instid0(SALU_CYCLE_1)
	s_and_not1_b32 vcc_lo, exec_lo, s2
	s_cbranch_vccnz .LBB353_89
; %bb.38:
	v_cmp_lt_i64_e64 s2, s[4:5], 1
	s_delay_alu instid0(VALU_DEP_1)
	s_and_b32 vcc_lo, exec_lo, s2
	s_cbranch_vccnz .LBB353_89
; %bb.39:
	s_load_b32 s0, s[0:1], 0xc5c
	v_cmp_gt_u64_e64 s1, 0x10000, s[4:5]
	v_add_co_u32 v5, s2, s8, v0
	v_lshlrev_b32_e32 v1, 3, v0
	v_add_co_ci_u32_e64 v6, null, s9, 0, s2
	s_delay_alu instid0(VALU_DEP_3) | instskip(SKIP_1) | instid1(VALU_DEP_3)
	v_add_co_u32 v21, vcc_lo, s6, v5
	v_mov_b32_e32 v35, 0x7f
	v_add_co_ci_u32_e32 v22, vcc_lo, s7, v6, vcc_lo
                                        ; implicit-def: $vgpr9_vgpr10
                                        ; implicit-def: $vgpr11_vgpr12
                                        ; implicit-def: $vgpr7_vgpr8
	s_waitcnt lgkmcnt(0)
	s_and_b32 s0, s0, 0xffff
	s_and_b32 s1, s1, exec_lo
	s_cselect_b32 s3, s5, 0
	s_cselect_b32 s2, s4, 0x10000
	s_lshl_b64 s[10:11], s[10:11], 19
	s_lshl_b32 s14, s0, 1
	s_lshl_b32 s1, s0, 2
	s_add_u32 s12, s12, s10
	s_mul_i32 s15, s0, 3
	s_addc_u32 s13, s13, s11
	s_lshl_b32 s10, s0, 5
	v_add_co_u32 v1, s16, s12, v1
	s_add_u32 s11, s8, s15
	v_add_co_ci_u32_e64 v2, null, s13, 0, s16
	s_addc_u32 s16, s9, 0
	s_add_u32 s11, s6, s11
	s_addc_u32 s16, s7, s16
	v_add_co_u32 v23, s11, s11, v0
	s_delay_alu instid0(VALU_DEP_1)
	v_add_co_ci_u32_e64 v24, null, s16, 0, s11
	v_add_co_u32 v25, s11, s15, v0
	v_add_co_u32 v27, s15, v0, s0
	v_add_co_ci_u32_e64 v26, null, 0, 0, s11
	s_lshl_b32 s11, s0, 4
	s_add_u32 s8, s8, s14
	s_addc_u32 s9, s9, 0
	s_add_u32 s8, s6, s8
	v_lshlrev_b32_e32 v3, 3, v27
	s_addc_u32 s9, s7, s9
	v_add_co_u32 v28, s8, s8, v0
	s_delay_alu instid0(VALU_DEP_1)
	v_add_co_ci_u32_e64 v29, null, s9, 0, s8
	v_add_co_u32 v31, s8, s14, v0
	s_add_u32 s6, s6, s0
	v_add_co_ci_u32_e64 v32, null, 0, 0, s8
	v_add_co_u32 v3, s8, s12, v3
	s_addc_u32 s7, s7, 0
	v_add_co_u32 v33, vcc_lo, s6, v5
	v_add_co_ci_u32_e64 v30, null, 0, 0, s15
	v_add_co_ci_u32_e64 v4, null, s13, 0, s8
	v_add_co_ci_u32_e32 v34, vcc_lo, s7, v6, vcc_lo
	s_mul_i32 s8, s0, 24
	s_mov_b64 s[6:7], 0
                                        ; implicit-def: $vgpr5_vgpr6
	s_branch .LBB353_41
.LBB353_40:                             ;   in Loop: Header=BB353_41 Depth=1
	s_or_b32 exec_lo, exec_lo, s0
	s_add_u32 s6, s6, s1
	s_addc_u32 s7, s7, 0
	v_add_co_u32 v1, vcc_lo, v1, s10
	v_cmp_ge_i64_e64 s0, s[6:7], s[4:5]
	v_cmp_lt_u64_e64 s9, 0xffff, s[6:7]
	v_add_co_ci_u32_e32 v2, vcc_lo, 0, v2, vcc_lo
	v_add_co_u32 v3, vcc_lo, v3, s10
	v_add_co_ci_u32_e32 v4, vcc_lo, 0, v4, vcc_lo
	s_delay_alu instid0(VALU_DEP_4) | instskip(NEXT) | instid1(SALU_CYCLE_1)
	s_or_b32 s0, s0, s9
	s_and_b32 vcc_lo, exec_lo, s0
	s_cbranch_vccnz .LBB353_89
.LBB353_41:                             ; =>This Inner Loop Header: Depth=1
	v_add_co_u32 v13, s0, v0, s6
	s_delay_alu instid0(VALU_DEP_1) | instskip(NEXT) | instid1(VALU_DEP_1)
	v_add_co_ci_u32_e64 v14, null, 0, s7, s0
	v_cmp_gt_i64_e32 vcc_lo, s[4:5], v[13:14]
	v_cmp_gt_u64_e64 s0, 0x10000, v[13:14]
	s_delay_alu instid0(VALU_DEP_1) | instskip(NEXT) | instid1(SALU_CYCLE_1)
	s_and_b32 s9, vcc_lo, s0
	s_and_saveexec_b32 s0, s9
	s_cbranch_execz .LBB353_43
; %bb.42:                               ;   in Loop: Header=BB353_41 Depth=1
	global_load_b64 v[7:8], v[1:2], off
.LBB353_43:                             ;   in Loop: Header=BB353_41 Depth=1
	s_or_b32 exec_lo, exec_lo, s0
	v_add_co_u32 v15, vcc_lo, v27, s6
	v_add_co_ci_u32_e32 v16, vcc_lo, s7, v30, vcc_lo
	s_delay_alu instid0(VALU_DEP_1) | instskip(SKIP_1) | instid1(VALU_DEP_1)
	v_cmp_gt_i64_e32 vcc_lo, s[4:5], v[15:16]
	v_cmp_gt_u64_e64 s0, 0x10000, v[15:16]
	s_and_b32 s9, vcc_lo, s0
	s_delay_alu instid0(SALU_CYCLE_1)
	s_and_saveexec_b32 s0, s9
	s_cbranch_execz .LBB353_45
; %bb.44:                               ;   in Loop: Header=BB353_41 Depth=1
	global_load_b64 v[5:6], v[3:4], off
.LBB353_45:                             ;   in Loop: Header=BB353_41 Depth=1
	s_or_b32 exec_lo, exec_lo, s0
	v_add_co_u32 v17, vcc_lo, v31, s6
	v_add_co_ci_u32_e32 v18, vcc_lo, s7, v32, vcc_lo
	s_delay_alu instid0(VALU_DEP_1) | instskip(SKIP_1) | instid1(VALU_DEP_1)
	v_cmp_gt_i64_e32 vcc_lo, s[4:5], v[17:18]
	v_cmp_gt_u64_e64 s0, 0x10000, v[17:18]
	s_and_b32 s9, vcc_lo, s0
	s_delay_alu instid0(SALU_CYCLE_1)
	s_and_saveexec_b32 s0, s9
	s_cbranch_execz .LBB353_47
; %bb.46:                               ;   in Loop: Header=BB353_41 Depth=1
	v_add_co_u32 v11, vcc_lo, v1, s11
	v_add_co_ci_u32_e32 v12, vcc_lo, 0, v2, vcc_lo
	global_load_b64 v[11:12], v[11:12], off
.LBB353_47:                             ;   in Loop: Header=BB353_41 Depth=1
	s_or_b32 exec_lo, exec_lo, s0
	v_add_co_u32 v19, vcc_lo, v25, s6
	v_add_co_ci_u32_e32 v20, vcc_lo, s7, v26, vcc_lo
	s_delay_alu instid0(VALU_DEP_1) | instskip(SKIP_1) | instid1(VALU_DEP_1)
	v_cmp_gt_i64_e32 vcc_lo, s[4:5], v[19:20]
	v_cmp_gt_u64_e64 s0, 0x10000, v[19:20]
	s_and_b32 s9, vcc_lo, s0
	s_delay_alu instid0(SALU_CYCLE_1)
	s_and_saveexec_b32 s0, s9
	s_cbranch_execz .LBB353_49
; %bb.48:                               ;   in Loop: Header=BB353_41 Depth=1
	v_add_co_u32 v9, vcc_lo, v1, s8
	v_add_co_ci_u32_e32 v10, vcc_lo, 0, v2, vcc_lo
	global_load_b64 v[9:10], v[9:10], off
.LBB353_49:                             ;   in Loop: Header=BB353_41 Depth=1
	s_or_b32 exec_lo, exec_lo, s0
	s_waitcnt vmcnt(0)
	v_cvt_f32_f64_e32 v36, v[7:8]
	s_mov_b32 s0, exec_lo
                                        ; implicit-def: $vgpr37
	s_delay_alu instid0(VALU_DEP_1) | instskip(NEXT) | instid1(VALU_DEP_1)
	v_and_b32_e32 v38, 0x7fffffff, v36
	v_cmpx_gt_u32_e32 0x43f00000, v38
	s_xor_b32 s0, exec_lo, s0
	s_cbranch_execz .LBB353_55
; %bb.50:                               ;   in Loop: Header=BB353_41 Depth=1
	s_mov_b32 s9, exec_lo
                                        ; implicit-def: $vgpr37
	v_cmpx_lt_u32_e32 0x3c7fffff, v38
	s_xor_b32 s9, exec_lo, s9
; %bb.51:                               ;   in Loop: Header=BB353_41 Depth=1
	v_bfe_u32 v37, v36, 20, 1
	s_delay_alu instid0(VALU_DEP_1) | instskip(NEXT) | instid1(VALU_DEP_1)
	v_add3_u32 v37, v36, v37, 0x407ffff
	v_and_b32_e32 v38, 0xff00000, v37
	v_lshrrev_b32_e32 v37, 20, v37
	s_delay_alu instid0(VALU_DEP_2) | instskip(NEXT) | instid1(VALU_DEP_2)
	v_cmp_ne_u32_e32 vcc_lo, 0x7f00000, v38
	v_cndmask_b32_e32 v37, 0x7e, v37, vcc_lo
; %bb.52:                               ;   in Loop: Header=BB353_41 Depth=1
	s_and_not1_saveexec_b32 s9, s9
; %bb.53:                               ;   in Loop: Header=BB353_41 Depth=1
	v_add_f32_e64 v37, 0x46800000, |v36|
; %bb.54:                               ;   in Loop: Header=BB353_41 Depth=1
	s_or_b32 exec_lo, exec_lo, s9
                                        ; implicit-def: $vgpr38
.LBB353_55:                             ;   in Loop: Header=BB353_41 Depth=1
	s_and_not1_saveexec_b32 s0, s0
; %bb.56:                               ;   in Loop: Header=BB353_41 Depth=1
	v_cmp_lt_u32_e32 vcc_lo, 0x7f800000, v38
	v_cndmask_b32_e32 v37, 0x7e, v35, vcc_lo
; %bb.57:                               ;   in Loop: Header=BB353_41 Depth=1
	s_or_b32 exec_lo, exec_lo, s0
	v_cvt_f32_f64_e32 v38, v[5:6]
	s_mov_b32 s0, exec_lo
                                        ; implicit-def: $vgpr39
	s_delay_alu instid0(VALU_DEP_1) | instskip(NEXT) | instid1(VALU_DEP_1)
	v_and_b32_e32 v40, 0x7fffffff, v38
	v_cmpx_gt_u32_e32 0x43f00000, v40
	s_xor_b32 s0, exec_lo, s0
	s_cbranch_execz .LBB353_63
; %bb.58:                               ;   in Loop: Header=BB353_41 Depth=1
	s_mov_b32 s9, exec_lo
                                        ; implicit-def: $vgpr39
	v_cmpx_lt_u32_e32 0x3c7fffff, v40
	s_xor_b32 s9, exec_lo, s9
; %bb.59:                               ;   in Loop: Header=BB353_41 Depth=1
	v_bfe_u32 v39, v38, 20, 1
	s_delay_alu instid0(VALU_DEP_1) | instskip(NEXT) | instid1(VALU_DEP_1)
	v_add3_u32 v39, v38, v39, 0x407ffff
	v_and_b32_e32 v40, 0xff00000, v39
	v_lshrrev_b32_e32 v39, 20, v39
	s_delay_alu instid0(VALU_DEP_2) | instskip(NEXT) | instid1(VALU_DEP_2)
	v_cmp_ne_u32_e32 vcc_lo, 0x7f00000, v40
	v_cndmask_b32_e32 v39, 0x7e, v39, vcc_lo
; %bb.60:                               ;   in Loop: Header=BB353_41 Depth=1
	s_and_not1_saveexec_b32 s9, s9
; %bb.61:                               ;   in Loop: Header=BB353_41 Depth=1
	v_add_f32_e64 v39, 0x46800000, |v38|
; %bb.62:                               ;   in Loop: Header=BB353_41 Depth=1
	s_or_b32 exec_lo, exec_lo, s9
                                        ; implicit-def: $vgpr40
.LBB353_63:                             ;   in Loop: Header=BB353_41 Depth=1
	s_and_not1_saveexec_b32 s0, s0
; %bb.64:                               ;   in Loop: Header=BB353_41 Depth=1
	v_cmp_lt_u32_e32 vcc_lo, 0x7f800000, v40
	v_cndmask_b32_e32 v39, 0x7e, v35, vcc_lo
; %bb.65:                               ;   in Loop: Header=BB353_41 Depth=1
	s_or_b32 exec_lo, exec_lo, s0
	v_cvt_f32_f64_e32 v40, v[11:12]
	s_mov_b32 s0, exec_lo
                                        ; implicit-def: $vgpr41
	s_delay_alu instid0(VALU_DEP_1) | instskip(NEXT) | instid1(VALU_DEP_1)
	v_and_b32_e32 v42, 0x7fffffff, v40
	v_cmpx_gt_u32_e32 0x43f00000, v42
	s_xor_b32 s0, exec_lo, s0
	s_cbranch_execz .LBB353_71
; %bb.66:                               ;   in Loop: Header=BB353_41 Depth=1
	s_mov_b32 s9, exec_lo
                                        ; implicit-def: $vgpr41
	v_cmpx_lt_u32_e32 0x3c7fffff, v42
	s_xor_b32 s9, exec_lo, s9
; %bb.67:                               ;   in Loop: Header=BB353_41 Depth=1
	v_bfe_u32 v41, v40, 20, 1
	s_delay_alu instid0(VALU_DEP_1) | instskip(NEXT) | instid1(VALU_DEP_1)
	v_add3_u32 v41, v40, v41, 0x407ffff
	v_and_b32_e32 v42, 0xff00000, v41
	v_lshrrev_b32_e32 v41, 20, v41
	s_delay_alu instid0(VALU_DEP_2) | instskip(NEXT) | instid1(VALU_DEP_2)
	v_cmp_ne_u32_e32 vcc_lo, 0x7f00000, v42
	v_cndmask_b32_e32 v41, 0x7e, v41, vcc_lo
; %bb.68:                               ;   in Loop: Header=BB353_41 Depth=1
	s_and_not1_saveexec_b32 s9, s9
; %bb.69:                               ;   in Loop: Header=BB353_41 Depth=1
	v_add_f32_e64 v41, 0x46800000, |v40|
; %bb.70:                               ;   in Loop: Header=BB353_41 Depth=1
	s_or_b32 exec_lo, exec_lo, s9
                                        ; implicit-def: $vgpr42
.LBB353_71:                             ;   in Loop: Header=BB353_41 Depth=1
	s_and_not1_saveexec_b32 s0, s0
; %bb.72:                               ;   in Loop: Header=BB353_41 Depth=1
	v_cmp_lt_u32_e32 vcc_lo, 0x7f800000, v42
	v_cndmask_b32_e32 v41, 0x7e, v35, vcc_lo
; %bb.73:                               ;   in Loop: Header=BB353_41 Depth=1
	s_or_b32 exec_lo, exec_lo, s0
	v_cvt_f32_f64_e32 v42, v[9:10]
	s_mov_b32 s0, exec_lo
                                        ; implicit-def: $vgpr43
	s_delay_alu instid0(VALU_DEP_1) | instskip(NEXT) | instid1(VALU_DEP_1)
	v_and_b32_e32 v44, 0x7fffffff, v42
	v_cmpx_gt_u32_e32 0x43f00000, v44
	s_xor_b32 s0, exec_lo, s0
	s_cbranch_execz .LBB353_79
; %bb.74:                               ;   in Loop: Header=BB353_41 Depth=1
	s_mov_b32 s9, exec_lo
                                        ; implicit-def: $vgpr43
	v_cmpx_lt_u32_e32 0x3c7fffff, v44
	s_xor_b32 s9, exec_lo, s9
; %bb.75:                               ;   in Loop: Header=BB353_41 Depth=1
	v_bfe_u32 v43, v42, 20, 1
	s_delay_alu instid0(VALU_DEP_1) | instskip(NEXT) | instid1(VALU_DEP_1)
	v_add3_u32 v43, v42, v43, 0x407ffff
	v_and_b32_e32 v44, 0xff00000, v43
	v_lshrrev_b32_e32 v43, 20, v43
	s_delay_alu instid0(VALU_DEP_2) | instskip(NEXT) | instid1(VALU_DEP_2)
	v_cmp_ne_u32_e32 vcc_lo, 0x7f00000, v44
	v_cndmask_b32_e32 v43, 0x7e, v43, vcc_lo
; %bb.76:                               ;   in Loop: Header=BB353_41 Depth=1
	s_and_not1_saveexec_b32 s9, s9
; %bb.77:                               ;   in Loop: Header=BB353_41 Depth=1
	v_add_f32_e64 v43, 0x46800000, |v42|
; %bb.78:                               ;   in Loop: Header=BB353_41 Depth=1
	s_or_b32 exec_lo, exec_lo, s9
                                        ; implicit-def: $vgpr44
.LBB353_79:                             ;   in Loop: Header=BB353_41 Depth=1
	s_and_not1_saveexec_b32 s0, s0
; %bb.80:                               ;   in Loop: Header=BB353_41 Depth=1
	v_cmp_lt_u32_e32 vcc_lo, 0x7f800000, v44
	v_cndmask_b32_e32 v43, 0x7e, v35, vcc_lo
; %bb.81:                               ;   in Loop: Header=BB353_41 Depth=1
	s_or_b32 exec_lo, exec_lo, s0
	s_delay_alu instid0(SALU_CYCLE_1)
	s_mov_b32 s0, exec_lo
	v_cmpx_gt_u64_e64 s[2:3], v[13:14]
	s_xor_b32 s0, exec_lo, s0
	s_cbranch_execnz .LBB353_85
; %bb.82:                               ;   in Loop: Header=BB353_41 Depth=1
	s_or_b32 exec_lo, exec_lo, s0
	s_delay_alu instid0(SALU_CYCLE_1)
	s_mov_b32 s0, exec_lo
	v_cmpx_gt_u64_e64 s[2:3], v[15:16]
	s_cbranch_execnz .LBB353_86
.LBB353_83:                             ;   in Loop: Header=BB353_41 Depth=1
	s_or_b32 exec_lo, exec_lo, s0
	s_delay_alu instid0(SALU_CYCLE_1)
	s_mov_b32 s0, exec_lo
	v_cmpx_gt_u64_e64 s[2:3], v[17:18]
	s_cbranch_execnz .LBB353_87
.LBB353_84:                             ;   in Loop: Header=BB353_41 Depth=1
	s_or_b32 exec_lo, exec_lo, s0
	s_delay_alu instid0(SALU_CYCLE_1)
	s_mov_b32 s0, exec_lo
	v_cmpx_gt_u64_e64 s[2:3], v[19:20]
	s_cbranch_execz .LBB353_40
	s_branch .LBB353_88
.LBB353_85:                             ;   in Loop: Header=BB353_41 Depth=1
	v_lshrrev_b32_e32 v13, 24, v36
	s_delay_alu instid0(VALU_DEP_1) | instskip(SKIP_4) | instid1(SALU_CYCLE_1)
	v_and_or_b32 v36, 0x80, v13, v37
	v_add_co_u32 v13, vcc_lo, v21, s6
	v_add_co_ci_u32_e32 v14, vcc_lo, s7, v22, vcc_lo
	global_store_b8 v[13:14], v36, off
	s_or_b32 exec_lo, exec_lo, s0
	s_mov_b32 s0, exec_lo
	v_cmpx_gt_u64_e64 s[2:3], v[15:16]
	s_cbranch_execz .LBB353_83
.LBB353_86:                             ;   in Loop: Header=BB353_41 Depth=1
	v_lshrrev_b32_e32 v13, 24, v38
	s_delay_alu instid0(VALU_DEP_1) | instskip(SKIP_4) | instid1(SALU_CYCLE_1)
	v_and_or_b32 v15, 0x80, v13, v39
	v_add_co_u32 v13, vcc_lo, v33, s6
	v_add_co_ci_u32_e32 v14, vcc_lo, s7, v34, vcc_lo
	global_store_b8 v[13:14], v15, off
	s_or_b32 exec_lo, exec_lo, s0
	s_mov_b32 s0, exec_lo
	v_cmpx_gt_u64_e64 s[2:3], v[17:18]
	s_cbranch_execz .LBB353_84
.LBB353_87:                             ;   in Loop: Header=BB353_41 Depth=1
	v_lshrrev_b32_e32 v13, 24, v40
	s_delay_alu instid0(VALU_DEP_1) | instskip(SKIP_4) | instid1(SALU_CYCLE_1)
	v_and_or_b32 v15, 0x80, v13, v41
	v_add_co_u32 v13, vcc_lo, v28, s6
	v_add_co_ci_u32_e32 v14, vcc_lo, s7, v29, vcc_lo
	global_store_b8 v[13:14], v15, off
	s_or_b32 exec_lo, exec_lo, s0
	s_mov_b32 s0, exec_lo
	v_cmpx_gt_u64_e64 s[2:3], v[19:20]
	s_cbranch_execz .LBB353_40
.LBB353_88:                             ;   in Loop: Header=BB353_41 Depth=1
	v_lshrrev_b32_e32 v13, 24, v42
	s_delay_alu instid0(VALU_DEP_1)
	v_and_or_b32 v15, 0x80, v13, v43
	v_add_co_u32 v13, vcc_lo, v23, s6
	v_add_co_ci_u32_e32 v14, vcc_lo, s7, v24, vcc_lo
	global_store_b8 v[13:14], v15, off
	s_branch .LBB353_40
.LBB353_89:
	s_nop 0
	s_sendmsg sendmsg(MSG_DEALLOC_VGPRS)
	s_endpgm
	.section	.rodata,"a",@progbits
	.p2align	6, 0x0
	.amdhsa_kernel _ZN2at6native12_GLOBAL__N_125multi_tensor_apply_kernelINS1_18TensorListMetadataILi2EEENS1_11CopyFunctorIN3c1013Float8_e4m3fnEdLi2ELi1ELi1EEEJNS0_4CopyIS7_dEEEEEvT_T0_DpT1_
		.amdhsa_group_segment_fixed_size 0
		.amdhsa_private_segment_fixed_size 0
		.amdhsa_kernarg_size 3408
		.amdhsa_user_sgpr_count 15
		.amdhsa_user_sgpr_dispatch_ptr 0
		.amdhsa_user_sgpr_queue_ptr 0
		.amdhsa_user_sgpr_kernarg_segment_ptr 1
		.amdhsa_user_sgpr_dispatch_id 0
		.amdhsa_user_sgpr_private_segment_size 0
		.amdhsa_wavefront_size32 1
		.amdhsa_uses_dynamic_stack 0
		.amdhsa_enable_private_segment 0
		.amdhsa_system_sgpr_workgroup_id_x 1
		.amdhsa_system_sgpr_workgroup_id_y 0
		.amdhsa_system_sgpr_workgroup_id_z 0
		.amdhsa_system_sgpr_workgroup_info 0
		.amdhsa_system_vgpr_workitem_id 0
		.amdhsa_next_free_vgpr 45
		.amdhsa_next_free_sgpr 20
		.amdhsa_reserve_vcc 1
		.amdhsa_float_round_mode_32 0
		.amdhsa_float_round_mode_16_64 0
		.amdhsa_float_denorm_mode_32 3
		.amdhsa_float_denorm_mode_16_64 3
		.amdhsa_dx10_clamp 1
		.amdhsa_ieee_mode 1
		.amdhsa_fp16_overflow 0
		.amdhsa_workgroup_processor_mode 1
		.amdhsa_memory_ordered 1
		.amdhsa_forward_progress 0
		.amdhsa_shared_vgpr_count 0
		.amdhsa_exception_fp_ieee_invalid_op 0
		.amdhsa_exception_fp_denorm_src 0
		.amdhsa_exception_fp_ieee_div_zero 0
		.amdhsa_exception_fp_ieee_overflow 0
		.amdhsa_exception_fp_ieee_underflow 0
		.amdhsa_exception_fp_ieee_inexact 0
		.amdhsa_exception_int_div_zero 0
	.end_amdhsa_kernel
	.section	.text._ZN2at6native12_GLOBAL__N_125multi_tensor_apply_kernelINS1_18TensorListMetadataILi2EEENS1_11CopyFunctorIN3c1013Float8_e4m3fnEdLi2ELi1ELi1EEEJNS0_4CopyIS7_dEEEEEvT_T0_DpT1_,"axG",@progbits,_ZN2at6native12_GLOBAL__N_125multi_tensor_apply_kernelINS1_18TensorListMetadataILi2EEENS1_11CopyFunctorIN3c1013Float8_e4m3fnEdLi2ELi1ELi1EEEJNS0_4CopyIS7_dEEEEEvT_T0_DpT1_,comdat
.Lfunc_end353:
	.size	_ZN2at6native12_GLOBAL__N_125multi_tensor_apply_kernelINS1_18TensorListMetadataILi2EEENS1_11CopyFunctorIN3c1013Float8_e4m3fnEdLi2ELi1ELi1EEEJNS0_4CopyIS7_dEEEEEvT_T0_DpT1_, .Lfunc_end353-_ZN2at6native12_GLOBAL__N_125multi_tensor_apply_kernelINS1_18TensorListMetadataILi2EEENS1_11CopyFunctorIN3c1013Float8_e4m3fnEdLi2ELi1ELi1EEEJNS0_4CopyIS7_dEEEEEvT_T0_DpT1_
                                        ; -- End function
	.section	.AMDGPU.csdata,"",@progbits
; Kernel info:
; codeLenInByte = 2752
; NumSgprs: 22
; NumVgprs: 45
; ScratchSize: 0
; MemoryBound: 1
; FloatMode: 240
; IeeeMode: 1
; LDSByteSize: 0 bytes/workgroup (compile time only)
; SGPRBlocks: 2
; VGPRBlocks: 5
; NumSGPRsForWavesPerEU: 22
; NumVGPRsForWavesPerEU: 45
; Occupancy: 16
; WaveLimiterHint : 0
; COMPUTE_PGM_RSRC2:SCRATCH_EN: 0
; COMPUTE_PGM_RSRC2:USER_SGPR: 15
; COMPUTE_PGM_RSRC2:TRAP_HANDLER: 0
; COMPUTE_PGM_RSRC2:TGID_X_EN: 1
; COMPUTE_PGM_RSRC2:TGID_Y_EN: 0
; COMPUTE_PGM_RSRC2:TGID_Z_EN: 0
; COMPUTE_PGM_RSRC2:TIDIG_COMP_CNT: 0
	.section	.text._ZN2at6native12_GLOBAL__N_125multi_tensor_apply_kernelINS1_18TensorListMetadataILi2EEENS1_11CopyFunctorIN3c1013Float8_e4m3fnEfLi2ELi1ELi1EEEJNS0_4CopyIS7_fEEEEEvT_T0_DpT1_,"axG",@progbits,_ZN2at6native12_GLOBAL__N_125multi_tensor_apply_kernelINS1_18TensorListMetadataILi2EEENS1_11CopyFunctorIN3c1013Float8_e4m3fnEfLi2ELi1ELi1EEEJNS0_4CopyIS7_fEEEEEvT_T0_DpT1_,comdat
	.globl	_ZN2at6native12_GLOBAL__N_125multi_tensor_apply_kernelINS1_18TensorListMetadataILi2EEENS1_11CopyFunctorIN3c1013Float8_e4m3fnEfLi2ELi1ELi1EEEJNS0_4CopyIS7_fEEEEEvT_T0_DpT1_ ; -- Begin function _ZN2at6native12_GLOBAL__N_125multi_tensor_apply_kernelINS1_18TensorListMetadataILi2EEENS1_11CopyFunctorIN3c1013Float8_e4m3fnEfLi2ELi1ELi1EEEJNS0_4CopyIS7_fEEEEEvT_T0_DpT1_
	.p2align	8
	.type	_ZN2at6native12_GLOBAL__N_125multi_tensor_apply_kernelINS1_18TensorListMetadataILi2EEENS1_11CopyFunctorIN3c1013Float8_e4m3fnEfLi2ELi1ELi1EEEJNS0_4CopyIS7_fEEEEEvT_T0_DpT1_,@function
_ZN2at6native12_GLOBAL__N_125multi_tensor_apply_kernelINS1_18TensorListMetadataILi2EEENS1_11CopyFunctorIN3c1013Float8_e4m3fnEfLi2ELi1ELi1EEEJNS0_4CopyIS7_fEEEEEvT_T0_DpT1_: ; @_ZN2at6native12_GLOBAL__N_125multi_tensor_apply_kernelINS1_18TensorListMetadataILi2EEENS1_11CopyFunctorIN3c1013Float8_e4m3fnEfLi2ELi1ELi1EEEJNS0_4CopyIS7_fEEEEEvT_T0_DpT1_
; %bb.0:
	v_mov_b32_e32 v1, s15
	s_add_u32 s2, s0, s15
	s_mul_i32 s4, s15, 3
	s_addc_u32 s3, s1, 0
	s_mul_hi_u32 s5, s15, 3
	global_load_u8 v1, v1, s[0:1] offset:1536
	s_add_u32 s2, s2, s4
	s_addc_u32 s3, s3, s5
	s_mov_b32 s17, 0
	s_load_b32 s10, s[2:3], 0x740
	s_waitcnt lgkmcnt(0)
	s_ashr_i32 s11, s10, 31
	s_delay_alu instid0(SALU_CYCLE_1) | instskip(SKIP_2) | instid1(VALU_DEP_1)
	s_lshl_b64 s[8:9], s[10:11], 16
	s_waitcnt vmcnt(0)
	v_readfirstlane_b32 s4, v1
	s_lshl_b32 s4, s4, 3
	s_clause 0x2
	s_load_b64 s[6:7], s[0:1], s4 offset:0x200
	s_load_b64 s[2:3], s[0:1], s4 offset:0x400
	;; [unrolled: 1-line block ×3, first 2 shown]
	s_waitcnt lgkmcnt(0)
	s_add_u32 s14, s6, s8
	s_addc_u32 s15, s7, s9
	s_delay_alu instid0(SALU_CYCLE_1) | instskip(SKIP_2) | instid1(SALU_CYCLE_1)
	s_or_b64 s[4:5], s[2:3], s[14:15]
	s_and_b32 s5, s12, 15
	s_and_b32 s4, s4, 3
	s_or_b32 s16, s4, s5
	s_sub_u32 s4, s2, s8
	s_subb_u32 s5, s3, s9
	s_cmp_eq_u64 s[16:17], 0
	s_mov_b32 s2, -1
	s_cbranch_scc0 .LBB354_37
; %bb.1:
	v_dual_mov_b32 v6, 0 :: v_dual_lshlrev_b32 v5, 2, v0
	s_mov_b32 s3, exec_lo
	s_delay_alu instid0(VALU_DEP_1)
	v_cmpx_gt_i64_e64 s[4:5], v[5:6]
	s_cbranch_execz .LBB354_36
; %bb.2:
	s_load_b32 s2, s[0:1], 0xc5c
	v_lshlrev_b32_e32 v1, 4, v0
	s_lshl_b64 s[18:19], s[10:11], 18
	v_mov_b32_e32 v9, 0x7f
	s_waitcnt lgkmcnt(0)
	s_and_b32 s2, s2, 0xffff
	s_delay_alu instid0(SALU_CYCLE_1) | instskip(SKIP_3) | instid1(VALU_DEP_1)
	s_lshl_b32 s16, s2, 2
	s_add_u32 s17, s12, s18
	s_addc_u32 s18, s13, s19
	v_add_co_u32 v7, s17, s17, v1
	v_add_co_ci_u32_e64 v8, null, s18, 0, s17
	s_mov_b32 s17, 0
	s_lshl_b32 s18, s2, 4
	s_branch .LBB354_4
.LBB354_3:                              ;   in Loop: Header=BB354_4 Depth=1
	s_or_b32 exec_lo, exec_lo, s2
	v_lshrrev_b32_e32 v3, 24, v3
	v_lshrrev_b32_e32 v2, 24, v2
	;; [unrolled: 1-line block ×3, first 2 shown]
	v_add_co_u32 v1, vcc_lo, s14, v5
	s_delay_alu instid0(VALU_DEP_4) | instskip(NEXT) | instid1(VALU_DEP_4)
	v_and_b32_e32 v3, 0x80, v3
	v_and_b32_e32 v15, 0x80, v2
	v_add_co_ci_u32_e32 v2, vcc_lo, s15, v6, vcc_lo
	v_add_co_u32 v5, vcc_lo, s16, v5
	s_delay_alu instid0(VALU_DEP_4)
	v_and_or_b32 v3, 0xff, v12, v3
	v_add_co_ci_u32_e32 v6, vcc_lo, 0, v6, vcc_lo
	v_lshlrev_b32_e32 v13, 24, v13
	v_and_or_b32 v11, 0xff, v11, v15
	v_and_b32_e32 v4, 0x80000000, v4
	v_and_b32_e32 v10, 0xff, v10
	v_lshlrev_b32_e32 v3, 16, v3
	v_cmp_le_i64_e32 vcc_lo, s[4:5], v[5:6]
	v_cmp_lt_u64_e64 s2, 0xffff, v[5:6]
	v_lshlrev_b32_e32 v11, 8, v11
	v_and_or_b32 v10, 0x80, v14, v10
	v_or3_b32 v3, v4, v13, v3
	s_delay_alu instid0(VALU_DEP_4) | instskip(SKIP_1) | instid1(VALU_DEP_2)
	s_or_b32 s2, vcc_lo, s2
	v_add_co_u32 v7, vcc_lo, v7, s18
	v_or3_b32 v3, v3, v11, v10
	v_add_co_ci_u32_e32 v8, vcc_lo, 0, v8, vcc_lo
	s_and_b32 s2, exec_lo, s2
	s_delay_alu instid0(SALU_CYCLE_1)
	s_or_b32 s17, s2, s17
	global_store_b32 v[1:2], v3, off
	s_and_not1_b32 exec_lo, exec_lo, s17
	s_cbranch_execz .LBB354_36
.LBB354_4:                              ; =>This Inner Loop Header: Depth=1
	global_load_b128 v[1:4], v[7:8], off
	s_mov_b32 s2, exec_lo
                                        ; implicit-def: $vgpr10
	s_waitcnt vmcnt(0)
	v_and_b32_e32 v11, 0x7fffffff, v1
	s_delay_alu instid0(VALU_DEP_1)
	v_cmpx_gt_u32_e32 0x43f00000, v11
	s_xor_b32 s2, exec_lo, s2
	s_cbranch_execz .LBB354_10
; %bb.5:                                ;   in Loop: Header=BB354_4 Depth=1
	s_mov_b32 s19, exec_lo
                                        ; implicit-def: $vgpr10
	v_cmpx_lt_u32_e32 0x3c7fffff, v11
	s_xor_b32 s19, exec_lo, s19
; %bb.6:                                ;   in Loop: Header=BB354_4 Depth=1
	v_bfe_u32 v10, v1, 20, 1
	s_delay_alu instid0(VALU_DEP_1) | instskip(NEXT) | instid1(VALU_DEP_1)
	v_add3_u32 v10, v1, v10, 0x407ffff
	v_and_b32_e32 v11, 0xff00000, v10
	v_lshrrev_b32_e32 v10, 20, v10
	s_delay_alu instid0(VALU_DEP_2) | instskip(NEXT) | instid1(VALU_DEP_2)
	v_cmp_ne_u32_e32 vcc_lo, 0x7f00000, v11
	v_cndmask_b32_e32 v10, 0x7e, v10, vcc_lo
; %bb.7:                                ;   in Loop: Header=BB354_4 Depth=1
	s_and_not1_saveexec_b32 s19, s19
; %bb.8:                                ;   in Loop: Header=BB354_4 Depth=1
	v_add_f32_e64 v10, 0x46800000, |v1|
; %bb.9:                                ;   in Loop: Header=BB354_4 Depth=1
	s_or_b32 exec_lo, exec_lo, s19
                                        ; implicit-def: $vgpr11
.LBB354_10:                             ;   in Loop: Header=BB354_4 Depth=1
	s_and_not1_saveexec_b32 s2, s2
; %bb.11:                               ;   in Loop: Header=BB354_4 Depth=1
	v_cmp_lt_u32_e32 vcc_lo, 0x7f800000, v11
	v_cndmask_b32_e32 v10, 0x7e, v9, vcc_lo
; %bb.12:                               ;   in Loop: Header=BB354_4 Depth=1
	s_or_b32 exec_lo, exec_lo, s2
	v_and_b32_e32 v12, 0x7fffffff, v2
	s_mov_b32 s2, exec_lo
                                        ; implicit-def: $vgpr11
	s_delay_alu instid0(VALU_DEP_1)
	v_cmpx_gt_u32_e32 0x43f00000, v12
	s_xor_b32 s2, exec_lo, s2
	s_cbranch_execz .LBB354_18
; %bb.13:                               ;   in Loop: Header=BB354_4 Depth=1
	s_mov_b32 s19, exec_lo
                                        ; implicit-def: $vgpr11
	v_cmpx_lt_u32_e32 0x3c7fffff, v12
	s_xor_b32 s19, exec_lo, s19
; %bb.14:                               ;   in Loop: Header=BB354_4 Depth=1
	v_bfe_u32 v11, v2, 20, 1
	s_delay_alu instid0(VALU_DEP_1) | instskip(NEXT) | instid1(VALU_DEP_1)
	v_add3_u32 v11, v2, v11, 0x407ffff
	v_and_b32_e32 v12, 0xff00000, v11
	v_lshrrev_b32_e32 v11, 20, v11
	s_delay_alu instid0(VALU_DEP_2) | instskip(NEXT) | instid1(VALU_DEP_2)
	v_cmp_ne_u32_e32 vcc_lo, 0x7f00000, v12
	v_cndmask_b32_e32 v11, 0x7e, v11, vcc_lo
; %bb.15:                               ;   in Loop: Header=BB354_4 Depth=1
	s_and_not1_saveexec_b32 s19, s19
; %bb.16:                               ;   in Loop: Header=BB354_4 Depth=1
	v_add_f32_e64 v11, 0x46800000, |v2|
; %bb.17:                               ;   in Loop: Header=BB354_4 Depth=1
	s_or_b32 exec_lo, exec_lo, s19
                                        ; implicit-def: $vgpr12
.LBB354_18:                             ;   in Loop: Header=BB354_4 Depth=1
	s_and_not1_saveexec_b32 s2, s2
; %bb.19:                               ;   in Loop: Header=BB354_4 Depth=1
	v_cmp_lt_u32_e32 vcc_lo, 0x7f800000, v12
	v_cndmask_b32_e32 v11, 0x7e, v9, vcc_lo
; %bb.20:                               ;   in Loop: Header=BB354_4 Depth=1
	s_or_b32 exec_lo, exec_lo, s2
	v_and_b32_e32 v13, 0x7fffffff, v3
	s_mov_b32 s2, exec_lo
                                        ; implicit-def: $vgpr12
	s_delay_alu instid0(VALU_DEP_1)
	v_cmpx_gt_u32_e32 0x43f00000, v13
	s_xor_b32 s2, exec_lo, s2
	s_cbranch_execz .LBB354_26
; %bb.21:                               ;   in Loop: Header=BB354_4 Depth=1
	s_mov_b32 s19, exec_lo
                                        ; implicit-def: $vgpr12
	v_cmpx_lt_u32_e32 0x3c7fffff, v13
	s_xor_b32 s19, exec_lo, s19
; %bb.22:                               ;   in Loop: Header=BB354_4 Depth=1
	v_bfe_u32 v12, v3, 20, 1
	s_delay_alu instid0(VALU_DEP_1) | instskip(NEXT) | instid1(VALU_DEP_1)
	v_add3_u32 v12, v3, v12, 0x407ffff
	v_and_b32_e32 v13, 0xff00000, v12
	v_lshrrev_b32_e32 v12, 20, v12
	s_delay_alu instid0(VALU_DEP_2) | instskip(NEXT) | instid1(VALU_DEP_2)
	v_cmp_ne_u32_e32 vcc_lo, 0x7f00000, v13
	v_cndmask_b32_e32 v12, 0x7e, v12, vcc_lo
; %bb.23:                               ;   in Loop: Header=BB354_4 Depth=1
	s_and_not1_saveexec_b32 s19, s19
; %bb.24:                               ;   in Loop: Header=BB354_4 Depth=1
	v_add_f32_e64 v12, 0x46800000, |v3|
; %bb.25:                               ;   in Loop: Header=BB354_4 Depth=1
	s_or_b32 exec_lo, exec_lo, s19
                                        ; implicit-def: $vgpr13
.LBB354_26:                             ;   in Loop: Header=BB354_4 Depth=1
	s_and_not1_saveexec_b32 s2, s2
; %bb.27:                               ;   in Loop: Header=BB354_4 Depth=1
	v_cmp_lt_u32_e32 vcc_lo, 0x7f800000, v13
	v_cndmask_b32_e32 v12, 0x7e, v9, vcc_lo
; %bb.28:                               ;   in Loop: Header=BB354_4 Depth=1
	s_or_b32 exec_lo, exec_lo, s2
	v_and_b32_e32 v14, 0x7fffffff, v4
	s_mov_b32 s2, exec_lo
                                        ; implicit-def: $vgpr13
	s_delay_alu instid0(VALU_DEP_1)
	v_cmpx_gt_u32_e32 0x43f00000, v14
	s_xor_b32 s2, exec_lo, s2
	s_cbranch_execz .LBB354_34
; %bb.29:                               ;   in Loop: Header=BB354_4 Depth=1
	s_mov_b32 s19, exec_lo
                                        ; implicit-def: $vgpr13
	v_cmpx_lt_u32_e32 0x3c7fffff, v14
	s_xor_b32 s19, exec_lo, s19
; %bb.30:                               ;   in Loop: Header=BB354_4 Depth=1
	v_bfe_u32 v13, v4, 20, 1
	s_delay_alu instid0(VALU_DEP_1) | instskip(NEXT) | instid1(VALU_DEP_1)
	v_add3_u32 v13, v4, v13, 0x407ffff
	v_and_b32_e32 v14, 0xff00000, v13
	v_lshrrev_b32_e32 v13, 20, v13
	s_delay_alu instid0(VALU_DEP_2) | instskip(NEXT) | instid1(VALU_DEP_2)
	v_cmp_ne_u32_e32 vcc_lo, 0x7f00000, v14
	v_cndmask_b32_e32 v13, 0x7e, v13, vcc_lo
; %bb.31:                               ;   in Loop: Header=BB354_4 Depth=1
	s_and_not1_saveexec_b32 s19, s19
; %bb.32:                               ;   in Loop: Header=BB354_4 Depth=1
	v_add_f32_e64 v13, 0x46800000, |v4|
; %bb.33:                               ;   in Loop: Header=BB354_4 Depth=1
	s_or_b32 exec_lo, exec_lo, s19
                                        ; implicit-def: $vgpr14
.LBB354_34:                             ;   in Loop: Header=BB354_4 Depth=1
	s_and_not1_saveexec_b32 s2, s2
	s_cbranch_execz .LBB354_3
; %bb.35:                               ;   in Loop: Header=BB354_4 Depth=1
	v_cmp_lt_u32_e32 vcc_lo, 0x7f800000, v14
	v_cndmask_b32_e32 v13, 0x7e, v9, vcc_lo
	s_branch .LBB354_3
.LBB354_36:
	s_or_b32 exec_lo, exec_lo, s3
	s_mov_b32 s2, 0
.LBB354_37:
	s_delay_alu instid0(SALU_CYCLE_1)
	s_and_not1_b32 vcc_lo, exec_lo, s2
	s_cbranch_vccnz .LBB354_89
; %bb.38:
	v_cmp_lt_i64_e64 s2, s[4:5], 1
	s_delay_alu instid0(VALU_DEP_1)
	s_and_b32 vcc_lo, exec_lo, s2
	s_cbranch_vccnz .LBB354_89
; %bb.39:
	s_load_b32 s0, s[0:1], 0xc5c
	v_cmp_gt_u64_e64 s1, 0x10000, s[4:5]
	v_add_co_u32 v5, s2, s8, v0
	v_lshlrev_b32_e32 v1, 2, v0
	v_add_co_ci_u32_e64 v6, null, s9, 0, s2
	s_delay_alu instid0(VALU_DEP_3) | instskip(SKIP_1) | instid1(VALU_DEP_3)
	v_add_co_u32 v13, vcc_lo, s6, v5
	v_mov_b32_e32 v27, 0x7f
	v_add_co_ci_u32_e32 v14, vcc_lo, s7, v6, vcc_lo
                                        ; implicit-def: $vgpr30
                                        ; implicit-def: $vgpr31
                                        ; implicit-def: $vgpr28
                                        ; implicit-def: $vgpr29
	s_waitcnt lgkmcnt(0)
	s_and_b32 s0, s0, 0xffff
	s_and_b32 s1, s1, exec_lo
	s_cselect_b32 s3, s5, 0
	s_cselect_b32 s2, s4, 0x10000
	s_lshl_b64 s[10:11], s[10:11], 18
	s_lshl_b32 s14, s0, 1
	s_lshl_b32 s1, s0, 2
	s_add_u32 s12, s12, s10
	s_mul_i32 s15, s0, 3
	s_addc_u32 s13, s13, s11
	s_lshl_b32 s10, s0, 4
	v_add_co_u32 v1, s16, s12, v1
	s_add_u32 s11, s8, s15
	v_add_co_ci_u32_e64 v2, null, s13, 0, s16
	s_addc_u32 s16, s9, 0
	s_add_u32 s11, s6, s11
	s_addc_u32 s16, s7, s16
	v_add_co_u32 v15, s11, s11, v0
	s_delay_alu instid0(VALU_DEP_1)
	v_add_co_ci_u32_e64 v16, null, s16, 0, s11
	v_add_co_u32 v17, s11, s15, v0
	v_add_co_u32 v19, s15, v0, s0
	v_add_co_ci_u32_e64 v18, null, 0, 0, s11
	s_lshl_b32 s11, s0, 3
	s_add_u32 s8, s8, s14
	s_addc_u32 s9, s9, 0
	s_add_u32 s8, s6, s8
	v_lshlrev_b32_e32 v3, 2, v19
	s_addc_u32 s9, s7, s9
	v_add_co_u32 v20, s8, s8, v0
	s_delay_alu instid0(VALU_DEP_1)
	v_add_co_ci_u32_e64 v21, null, s9, 0, s8
	v_add_co_u32 v23, s8, s14, v0
	s_add_u32 s6, s6, s0
	v_add_co_ci_u32_e64 v24, null, 0, 0, s8
	v_add_co_u32 v3, s8, s12, v3
	s_addc_u32 s7, s7, 0
	v_add_co_u32 v25, vcc_lo, s6, v5
	v_add_co_ci_u32_e64 v22, null, 0, 0, s15
	v_add_co_ci_u32_e64 v4, null, s13, 0, s8
	v_add_co_ci_u32_e32 v26, vcc_lo, s7, v6, vcc_lo
	s_mul_i32 s8, s0, 12
	s_mov_b64 s[6:7], 0
	s_branch .LBB354_41
.LBB354_40:                             ;   in Loop: Header=BB354_41 Depth=1
	s_or_b32 exec_lo, exec_lo, s0
	s_add_u32 s6, s6, s1
	s_addc_u32 s7, s7, 0
	v_add_co_u32 v1, vcc_lo, v1, s10
	v_cmp_ge_i64_e64 s0, s[6:7], s[4:5]
	v_cmp_lt_u64_e64 s9, 0xffff, s[6:7]
	v_add_co_ci_u32_e32 v2, vcc_lo, 0, v2, vcc_lo
	v_add_co_u32 v3, vcc_lo, v3, s10
	v_add_co_ci_u32_e32 v4, vcc_lo, 0, v4, vcc_lo
	s_delay_alu instid0(VALU_DEP_4) | instskip(NEXT) | instid1(SALU_CYCLE_1)
	s_or_b32 s0, s0, s9
	s_and_b32 vcc_lo, exec_lo, s0
	s_cbranch_vccnz .LBB354_89
.LBB354_41:                             ; =>This Inner Loop Header: Depth=1
	v_add_co_u32 v5, s0, v0, s6
	s_delay_alu instid0(VALU_DEP_1) | instskip(NEXT) | instid1(VALU_DEP_1)
	v_add_co_ci_u32_e64 v6, null, 0, s7, s0
	v_cmp_gt_i64_e32 vcc_lo, s[4:5], v[5:6]
	v_cmp_gt_u64_e64 s0, 0x10000, v[5:6]
	s_delay_alu instid0(VALU_DEP_1) | instskip(NEXT) | instid1(SALU_CYCLE_1)
	s_and_b32 s9, vcc_lo, s0
	s_and_saveexec_b32 s0, s9
	s_cbranch_execz .LBB354_43
; %bb.42:                               ;   in Loop: Header=BB354_41 Depth=1
	global_load_b32 v29, v[1:2], off
.LBB354_43:                             ;   in Loop: Header=BB354_41 Depth=1
	s_or_b32 exec_lo, exec_lo, s0
	v_add_co_u32 v7, vcc_lo, v19, s6
	v_add_co_ci_u32_e32 v8, vcc_lo, s7, v22, vcc_lo
	s_delay_alu instid0(VALU_DEP_1) | instskip(SKIP_1) | instid1(VALU_DEP_1)
	v_cmp_gt_i64_e32 vcc_lo, s[4:5], v[7:8]
	v_cmp_gt_u64_e64 s0, 0x10000, v[7:8]
	s_and_b32 s9, vcc_lo, s0
	s_delay_alu instid0(SALU_CYCLE_1)
	s_and_saveexec_b32 s0, s9
	s_cbranch_execz .LBB354_45
; %bb.44:                               ;   in Loop: Header=BB354_41 Depth=1
	global_load_b32 v28, v[3:4], off
.LBB354_45:                             ;   in Loop: Header=BB354_41 Depth=1
	s_or_b32 exec_lo, exec_lo, s0
	v_add_co_u32 v9, vcc_lo, v23, s6
	v_add_co_ci_u32_e32 v10, vcc_lo, s7, v24, vcc_lo
	s_delay_alu instid0(VALU_DEP_1) | instskip(SKIP_1) | instid1(VALU_DEP_1)
	v_cmp_gt_i64_e32 vcc_lo, s[4:5], v[9:10]
	v_cmp_gt_u64_e64 s0, 0x10000, v[9:10]
	s_and_b32 s9, vcc_lo, s0
	s_delay_alu instid0(SALU_CYCLE_1)
	s_and_saveexec_b32 s0, s9
	s_cbranch_execz .LBB354_47
; %bb.46:                               ;   in Loop: Header=BB354_41 Depth=1
	v_add_co_u32 v11, vcc_lo, v1, s11
	v_add_co_ci_u32_e32 v12, vcc_lo, 0, v2, vcc_lo
	global_load_b32 v31, v[11:12], off
.LBB354_47:                             ;   in Loop: Header=BB354_41 Depth=1
	s_or_b32 exec_lo, exec_lo, s0
	v_add_co_u32 v11, vcc_lo, v17, s6
	v_add_co_ci_u32_e32 v12, vcc_lo, s7, v18, vcc_lo
	s_delay_alu instid0(VALU_DEP_1) | instskip(SKIP_1) | instid1(VALU_DEP_1)
	v_cmp_gt_i64_e32 vcc_lo, s[4:5], v[11:12]
	v_cmp_gt_u64_e64 s0, 0x10000, v[11:12]
	s_and_b32 s9, vcc_lo, s0
	s_delay_alu instid0(SALU_CYCLE_1)
	s_and_saveexec_b32 s0, s9
	s_cbranch_execz .LBB354_49
; %bb.48:                               ;   in Loop: Header=BB354_41 Depth=1
	v_add_co_u32 v32, vcc_lo, v1, s8
	v_add_co_ci_u32_e32 v33, vcc_lo, 0, v2, vcc_lo
	global_load_b32 v30, v[32:33], off
.LBB354_49:                             ;   in Loop: Header=BB354_41 Depth=1
	s_or_b32 exec_lo, exec_lo, s0
	s_waitcnt vmcnt(0)
	v_and_b32_e32 v33, 0x7fffffff, v29
	s_mov_b32 s0, exec_lo
                                        ; implicit-def: $vgpr32
	s_delay_alu instid0(VALU_DEP_1)
	v_cmpx_gt_u32_e32 0x43f00000, v33
	s_xor_b32 s0, exec_lo, s0
	s_cbranch_execz .LBB354_55
; %bb.50:                               ;   in Loop: Header=BB354_41 Depth=1
	s_mov_b32 s9, exec_lo
                                        ; implicit-def: $vgpr32
	v_cmpx_lt_u32_e32 0x3c7fffff, v33
	s_xor_b32 s9, exec_lo, s9
; %bb.51:                               ;   in Loop: Header=BB354_41 Depth=1
	v_bfe_u32 v32, v29, 20, 1
	s_delay_alu instid0(VALU_DEP_1) | instskip(NEXT) | instid1(VALU_DEP_1)
	v_add3_u32 v32, v29, v32, 0x407ffff
	v_and_b32_e32 v33, 0xff00000, v32
	v_lshrrev_b32_e32 v32, 20, v32
	s_delay_alu instid0(VALU_DEP_2) | instskip(NEXT) | instid1(VALU_DEP_2)
	v_cmp_ne_u32_e32 vcc_lo, 0x7f00000, v33
	v_cndmask_b32_e32 v32, 0x7e, v32, vcc_lo
; %bb.52:                               ;   in Loop: Header=BB354_41 Depth=1
	s_and_not1_saveexec_b32 s9, s9
; %bb.53:                               ;   in Loop: Header=BB354_41 Depth=1
	v_add_f32_e64 v32, 0x46800000, |v29|
; %bb.54:                               ;   in Loop: Header=BB354_41 Depth=1
	s_or_b32 exec_lo, exec_lo, s9
                                        ; implicit-def: $vgpr33
.LBB354_55:                             ;   in Loop: Header=BB354_41 Depth=1
	s_and_not1_saveexec_b32 s0, s0
; %bb.56:                               ;   in Loop: Header=BB354_41 Depth=1
	v_cmp_lt_u32_e32 vcc_lo, 0x7f800000, v33
	v_cndmask_b32_e32 v32, 0x7e, v27, vcc_lo
; %bb.57:                               ;   in Loop: Header=BB354_41 Depth=1
	s_or_b32 exec_lo, exec_lo, s0
	v_and_b32_e32 v34, 0x7fffffff, v28
	s_mov_b32 s0, exec_lo
                                        ; implicit-def: $vgpr33
	s_delay_alu instid0(VALU_DEP_1)
	v_cmpx_gt_u32_e32 0x43f00000, v34
	s_xor_b32 s0, exec_lo, s0
	s_cbranch_execz .LBB354_63
; %bb.58:                               ;   in Loop: Header=BB354_41 Depth=1
	s_mov_b32 s9, exec_lo
                                        ; implicit-def: $vgpr33
	v_cmpx_lt_u32_e32 0x3c7fffff, v34
	s_xor_b32 s9, exec_lo, s9
; %bb.59:                               ;   in Loop: Header=BB354_41 Depth=1
	v_bfe_u32 v33, v28, 20, 1
	s_delay_alu instid0(VALU_DEP_1) | instskip(NEXT) | instid1(VALU_DEP_1)
	v_add3_u32 v33, v28, v33, 0x407ffff
	v_and_b32_e32 v34, 0xff00000, v33
	v_lshrrev_b32_e32 v33, 20, v33
	s_delay_alu instid0(VALU_DEP_2) | instskip(NEXT) | instid1(VALU_DEP_2)
	v_cmp_ne_u32_e32 vcc_lo, 0x7f00000, v34
	v_cndmask_b32_e32 v33, 0x7e, v33, vcc_lo
; %bb.60:                               ;   in Loop: Header=BB354_41 Depth=1
	s_and_not1_saveexec_b32 s9, s9
; %bb.61:                               ;   in Loop: Header=BB354_41 Depth=1
	v_add_f32_e64 v33, 0x46800000, |v28|
; %bb.62:                               ;   in Loop: Header=BB354_41 Depth=1
	s_or_b32 exec_lo, exec_lo, s9
                                        ; implicit-def: $vgpr34
.LBB354_63:                             ;   in Loop: Header=BB354_41 Depth=1
	s_and_not1_saveexec_b32 s0, s0
; %bb.64:                               ;   in Loop: Header=BB354_41 Depth=1
	v_cmp_lt_u32_e32 vcc_lo, 0x7f800000, v34
	v_cndmask_b32_e32 v33, 0x7e, v27, vcc_lo
; %bb.65:                               ;   in Loop: Header=BB354_41 Depth=1
	s_or_b32 exec_lo, exec_lo, s0
	v_and_b32_e32 v35, 0x7fffffff, v31
	s_mov_b32 s0, exec_lo
                                        ; implicit-def: $vgpr34
	s_delay_alu instid0(VALU_DEP_1)
	v_cmpx_gt_u32_e32 0x43f00000, v35
	s_xor_b32 s0, exec_lo, s0
	s_cbranch_execz .LBB354_71
; %bb.66:                               ;   in Loop: Header=BB354_41 Depth=1
	s_mov_b32 s9, exec_lo
                                        ; implicit-def: $vgpr34
	v_cmpx_lt_u32_e32 0x3c7fffff, v35
	s_xor_b32 s9, exec_lo, s9
; %bb.67:                               ;   in Loop: Header=BB354_41 Depth=1
	v_bfe_u32 v34, v31, 20, 1
	s_delay_alu instid0(VALU_DEP_1) | instskip(NEXT) | instid1(VALU_DEP_1)
	v_add3_u32 v34, v31, v34, 0x407ffff
	v_and_b32_e32 v35, 0xff00000, v34
	v_lshrrev_b32_e32 v34, 20, v34
	s_delay_alu instid0(VALU_DEP_2) | instskip(NEXT) | instid1(VALU_DEP_2)
	v_cmp_ne_u32_e32 vcc_lo, 0x7f00000, v35
	v_cndmask_b32_e32 v34, 0x7e, v34, vcc_lo
; %bb.68:                               ;   in Loop: Header=BB354_41 Depth=1
	s_and_not1_saveexec_b32 s9, s9
; %bb.69:                               ;   in Loop: Header=BB354_41 Depth=1
	v_add_f32_e64 v34, 0x46800000, |v31|
; %bb.70:                               ;   in Loop: Header=BB354_41 Depth=1
	s_or_b32 exec_lo, exec_lo, s9
                                        ; implicit-def: $vgpr35
.LBB354_71:                             ;   in Loop: Header=BB354_41 Depth=1
	s_and_not1_saveexec_b32 s0, s0
; %bb.72:                               ;   in Loop: Header=BB354_41 Depth=1
	v_cmp_lt_u32_e32 vcc_lo, 0x7f800000, v35
	v_cndmask_b32_e32 v34, 0x7e, v27, vcc_lo
; %bb.73:                               ;   in Loop: Header=BB354_41 Depth=1
	s_or_b32 exec_lo, exec_lo, s0
	v_and_b32_e32 v36, 0x7fffffff, v30
	s_mov_b32 s0, exec_lo
                                        ; implicit-def: $vgpr35
	s_delay_alu instid0(VALU_DEP_1)
	v_cmpx_gt_u32_e32 0x43f00000, v36
	s_xor_b32 s0, exec_lo, s0
	s_cbranch_execz .LBB354_79
; %bb.74:                               ;   in Loop: Header=BB354_41 Depth=1
	s_mov_b32 s9, exec_lo
                                        ; implicit-def: $vgpr35
	v_cmpx_lt_u32_e32 0x3c7fffff, v36
	s_xor_b32 s9, exec_lo, s9
; %bb.75:                               ;   in Loop: Header=BB354_41 Depth=1
	v_bfe_u32 v35, v30, 20, 1
	s_delay_alu instid0(VALU_DEP_1) | instskip(NEXT) | instid1(VALU_DEP_1)
	v_add3_u32 v35, v30, v35, 0x407ffff
	v_and_b32_e32 v36, 0xff00000, v35
	v_lshrrev_b32_e32 v35, 20, v35
	s_delay_alu instid0(VALU_DEP_2) | instskip(NEXT) | instid1(VALU_DEP_2)
	v_cmp_ne_u32_e32 vcc_lo, 0x7f00000, v36
	v_cndmask_b32_e32 v35, 0x7e, v35, vcc_lo
; %bb.76:                               ;   in Loop: Header=BB354_41 Depth=1
	s_and_not1_saveexec_b32 s9, s9
; %bb.77:                               ;   in Loop: Header=BB354_41 Depth=1
	v_add_f32_e64 v35, 0x46800000, |v30|
; %bb.78:                               ;   in Loop: Header=BB354_41 Depth=1
	s_or_b32 exec_lo, exec_lo, s9
                                        ; implicit-def: $vgpr36
.LBB354_79:                             ;   in Loop: Header=BB354_41 Depth=1
	s_and_not1_saveexec_b32 s0, s0
; %bb.80:                               ;   in Loop: Header=BB354_41 Depth=1
	v_cmp_lt_u32_e32 vcc_lo, 0x7f800000, v36
	v_cndmask_b32_e32 v35, 0x7e, v27, vcc_lo
; %bb.81:                               ;   in Loop: Header=BB354_41 Depth=1
	s_or_b32 exec_lo, exec_lo, s0
	s_delay_alu instid0(SALU_CYCLE_1)
	s_mov_b32 s0, exec_lo
	v_cmpx_gt_u64_e64 s[2:3], v[5:6]
	s_xor_b32 s0, exec_lo, s0
	s_cbranch_execnz .LBB354_85
; %bb.82:                               ;   in Loop: Header=BB354_41 Depth=1
	s_or_b32 exec_lo, exec_lo, s0
	s_delay_alu instid0(SALU_CYCLE_1)
	s_mov_b32 s0, exec_lo
	v_cmpx_gt_u64_e64 s[2:3], v[7:8]
	s_cbranch_execnz .LBB354_86
.LBB354_83:                             ;   in Loop: Header=BB354_41 Depth=1
	s_or_b32 exec_lo, exec_lo, s0
	s_delay_alu instid0(SALU_CYCLE_1)
	s_mov_b32 s0, exec_lo
	v_cmpx_gt_u64_e64 s[2:3], v[9:10]
	s_cbranch_execnz .LBB354_87
.LBB354_84:                             ;   in Loop: Header=BB354_41 Depth=1
	s_or_b32 exec_lo, exec_lo, s0
	s_delay_alu instid0(SALU_CYCLE_1)
	s_mov_b32 s0, exec_lo
	v_cmpx_gt_u64_e64 s[2:3], v[11:12]
	s_cbranch_execz .LBB354_40
	s_branch .LBB354_88
.LBB354_85:                             ;   in Loop: Header=BB354_41 Depth=1
	v_lshrrev_b32_e32 v5, 24, v29
	s_delay_alu instid0(VALU_DEP_1) | instskip(SKIP_4) | instid1(SALU_CYCLE_1)
	v_and_or_b32 v32, 0x80, v5, v32
	v_add_co_u32 v5, vcc_lo, v13, s6
	v_add_co_ci_u32_e32 v6, vcc_lo, s7, v14, vcc_lo
	global_store_b8 v[5:6], v32, off
	s_or_b32 exec_lo, exec_lo, s0
	s_mov_b32 s0, exec_lo
	v_cmpx_gt_u64_e64 s[2:3], v[7:8]
	s_cbranch_execz .LBB354_83
.LBB354_86:                             ;   in Loop: Header=BB354_41 Depth=1
	v_lshrrev_b32_e32 v5, 24, v28
	s_delay_alu instid0(VALU_DEP_1) | instskip(SKIP_4) | instid1(SALU_CYCLE_1)
	v_and_or_b32 v7, 0x80, v5, v33
	v_add_co_u32 v5, vcc_lo, v25, s6
	v_add_co_ci_u32_e32 v6, vcc_lo, s7, v26, vcc_lo
	global_store_b8 v[5:6], v7, off
	s_or_b32 exec_lo, exec_lo, s0
	s_mov_b32 s0, exec_lo
	v_cmpx_gt_u64_e64 s[2:3], v[9:10]
	s_cbranch_execz .LBB354_84
.LBB354_87:                             ;   in Loop: Header=BB354_41 Depth=1
	v_lshrrev_b32_e32 v5, 24, v31
	s_delay_alu instid0(VALU_DEP_1) | instskip(SKIP_4) | instid1(SALU_CYCLE_1)
	v_and_or_b32 v7, 0x80, v5, v34
	v_add_co_u32 v5, vcc_lo, v20, s6
	v_add_co_ci_u32_e32 v6, vcc_lo, s7, v21, vcc_lo
	global_store_b8 v[5:6], v7, off
	s_or_b32 exec_lo, exec_lo, s0
	s_mov_b32 s0, exec_lo
	v_cmpx_gt_u64_e64 s[2:3], v[11:12]
	s_cbranch_execz .LBB354_40
.LBB354_88:                             ;   in Loop: Header=BB354_41 Depth=1
	v_lshrrev_b32_e32 v5, 24, v30
	s_delay_alu instid0(VALU_DEP_1)
	v_and_or_b32 v7, 0x80, v5, v35
	v_add_co_u32 v5, vcc_lo, v15, s6
	v_add_co_ci_u32_e32 v6, vcc_lo, s7, v16, vcc_lo
	global_store_b8 v[5:6], v7, off
	s_branch .LBB354_40
.LBB354_89:
	s_nop 0
	s_sendmsg sendmsg(MSG_DEALLOC_VGPRS)
	s_endpgm
	.section	.rodata,"a",@progbits
	.p2align	6, 0x0
	.amdhsa_kernel _ZN2at6native12_GLOBAL__N_125multi_tensor_apply_kernelINS1_18TensorListMetadataILi2EEENS1_11CopyFunctorIN3c1013Float8_e4m3fnEfLi2ELi1ELi1EEEJNS0_4CopyIS7_fEEEEEvT_T0_DpT1_
		.amdhsa_group_segment_fixed_size 0
		.amdhsa_private_segment_fixed_size 0
		.amdhsa_kernarg_size 3408
		.amdhsa_user_sgpr_count 15
		.amdhsa_user_sgpr_dispatch_ptr 0
		.amdhsa_user_sgpr_queue_ptr 0
		.amdhsa_user_sgpr_kernarg_segment_ptr 1
		.amdhsa_user_sgpr_dispatch_id 0
		.amdhsa_user_sgpr_private_segment_size 0
		.amdhsa_wavefront_size32 1
		.amdhsa_uses_dynamic_stack 0
		.amdhsa_enable_private_segment 0
		.amdhsa_system_sgpr_workgroup_id_x 1
		.amdhsa_system_sgpr_workgroup_id_y 0
		.amdhsa_system_sgpr_workgroup_id_z 0
		.amdhsa_system_sgpr_workgroup_info 0
		.amdhsa_system_vgpr_workitem_id 0
		.amdhsa_next_free_vgpr 37
		.amdhsa_next_free_sgpr 20
		.amdhsa_reserve_vcc 1
		.amdhsa_float_round_mode_32 0
		.amdhsa_float_round_mode_16_64 0
		.amdhsa_float_denorm_mode_32 3
		.amdhsa_float_denorm_mode_16_64 3
		.amdhsa_dx10_clamp 1
		.amdhsa_ieee_mode 1
		.amdhsa_fp16_overflow 0
		.amdhsa_workgroup_processor_mode 1
		.amdhsa_memory_ordered 1
		.amdhsa_forward_progress 0
		.amdhsa_shared_vgpr_count 0
		.amdhsa_exception_fp_ieee_invalid_op 0
		.amdhsa_exception_fp_denorm_src 0
		.amdhsa_exception_fp_ieee_div_zero 0
		.amdhsa_exception_fp_ieee_overflow 0
		.amdhsa_exception_fp_ieee_underflow 0
		.amdhsa_exception_fp_ieee_inexact 0
		.amdhsa_exception_int_div_zero 0
	.end_amdhsa_kernel
	.section	.text._ZN2at6native12_GLOBAL__N_125multi_tensor_apply_kernelINS1_18TensorListMetadataILi2EEENS1_11CopyFunctorIN3c1013Float8_e4m3fnEfLi2ELi1ELi1EEEJNS0_4CopyIS7_fEEEEEvT_T0_DpT1_,"axG",@progbits,_ZN2at6native12_GLOBAL__N_125multi_tensor_apply_kernelINS1_18TensorListMetadataILi2EEENS1_11CopyFunctorIN3c1013Float8_e4m3fnEfLi2ELi1ELi1EEEJNS0_4CopyIS7_fEEEEEvT_T0_DpT1_,comdat
.Lfunc_end354:
	.size	_ZN2at6native12_GLOBAL__N_125multi_tensor_apply_kernelINS1_18TensorListMetadataILi2EEENS1_11CopyFunctorIN3c1013Float8_e4m3fnEfLi2ELi1ELi1EEEJNS0_4CopyIS7_fEEEEEvT_T0_DpT1_, .Lfunc_end354-_ZN2at6native12_GLOBAL__N_125multi_tensor_apply_kernelINS1_18TensorListMetadataILi2EEENS1_11CopyFunctorIN3c1013Float8_e4m3fnEfLi2ELi1ELi1EEEJNS0_4CopyIS7_fEEEEEvT_T0_DpT1_
                                        ; -- End function
	.section	.AMDGPU.csdata,"",@progbits
; Kernel info:
; codeLenInByte = 2704
; NumSgprs: 22
; NumVgprs: 37
; ScratchSize: 0
; MemoryBound: 0
; FloatMode: 240
; IeeeMode: 1
; LDSByteSize: 0 bytes/workgroup (compile time only)
; SGPRBlocks: 2
; VGPRBlocks: 4
; NumSGPRsForWavesPerEU: 22
; NumVGPRsForWavesPerEU: 37
; Occupancy: 16
; WaveLimiterHint : 0
; COMPUTE_PGM_RSRC2:SCRATCH_EN: 0
; COMPUTE_PGM_RSRC2:USER_SGPR: 15
; COMPUTE_PGM_RSRC2:TRAP_HANDLER: 0
; COMPUTE_PGM_RSRC2:TGID_X_EN: 1
; COMPUTE_PGM_RSRC2:TGID_Y_EN: 0
; COMPUTE_PGM_RSRC2:TGID_Z_EN: 0
; COMPUTE_PGM_RSRC2:TIDIG_COMP_CNT: 0
	.section	.text._ZN2at6native12_GLOBAL__N_125multi_tensor_apply_kernelINS1_18TensorListMetadataILi2EEENS1_11CopyFunctorIN3c1013Float8_e4m3fnENS6_7complexIdEELi2ELi1ELi1EEEJNS0_4CopyIS7_S9_EEEEEvT_T0_DpT1_,"axG",@progbits,_ZN2at6native12_GLOBAL__N_125multi_tensor_apply_kernelINS1_18TensorListMetadataILi2EEENS1_11CopyFunctorIN3c1013Float8_e4m3fnENS6_7complexIdEELi2ELi1ELi1EEEJNS0_4CopyIS7_S9_EEEEEvT_T0_DpT1_,comdat
	.globl	_ZN2at6native12_GLOBAL__N_125multi_tensor_apply_kernelINS1_18TensorListMetadataILi2EEENS1_11CopyFunctorIN3c1013Float8_e4m3fnENS6_7complexIdEELi2ELi1ELi1EEEJNS0_4CopyIS7_S9_EEEEEvT_T0_DpT1_ ; -- Begin function _ZN2at6native12_GLOBAL__N_125multi_tensor_apply_kernelINS1_18TensorListMetadataILi2EEENS1_11CopyFunctorIN3c1013Float8_e4m3fnENS6_7complexIdEELi2ELi1ELi1EEEJNS0_4CopyIS7_S9_EEEEEvT_T0_DpT1_
	.p2align	8
	.type	_ZN2at6native12_GLOBAL__N_125multi_tensor_apply_kernelINS1_18TensorListMetadataILi2EEENS1_11CopyFunctorIN3c1013Float8_e4m3fnENS6_7complexIdEELi2ELi1ELi1EEEJNS0_4CopyIS7_S9_EEEEEvT_T0_DpT1_,@function
_ZN2at6native12_GLOBAL__N_125multi_tensor_apply_kernelINS1_18TensorListMetadataILi2EEENS1_11CopyFunctorIN3c1013Float8_e4m3fnENS6_7complexIdEELi2ELi1ELi1EEEJNS0_4CopyIS7_S9_EEEEEvT_T0_DpT1_: ; @_ZN2at6native12_GLOBAL__N_125multi_tensor_apply_kernelINS1_18TensorListMetadataILi2EEENS1_11CopyFunctorIN3c1013Float8_e4m3fnENS6_7complexIdEELi2ELi1ELi1EEEJNS0_4CopyIS7_S9_EEEEEvT_T0_DpT1_
; %bb.0:
	v_mov_b32_e32 v1, s15
	s_add_u32 s2, s0, s15
	s_mul_i32 s4, s15, 3
	s_addc_u32 s3, s1, 0
	s_mul_hi_u32 s5, s15, 3
	global_load_u8 v1, v1, s[0:1] offset:1536
	s_add_u32 s2, s2, s4
	s_addc_u32 s3, s3, s5
	s_mov_b32 s17, 0
	s_load_b32 s10, s[2:3], 0x740
	s_waitcnt lgkmcnt(0)
	s_ashr_i32 s11, s10, 31
	s_delay_alu instid0(SALU_CYCLE_1) | instskip(SKIP_2) | instid1(VALU_DEP_1)
	s_lshl_b64 s[8:9], s[10:11], 16
	s_waitcnt vmcnt(0)
	v_readfirstlane_b32 s4, v1
	s_lshl_b32 s4, s4, 3
	s_clause 0x2
	s_load_b64 s[6:7], s[0:1], s4 offset:0x200
	s_load_b64 s[2:3], s[0:1], s4 offset:0x400
	;; [unrolled: 1-line block ×3, first 2 shown]
	s_waitcnt lgkmcnt(0)
	s_add_u32 s14, s6, s8
	s_addc_u32 s15, s7, s9
	s_delay_alu instid0(SALU_CYCLE_1) | instskip(SKIP_2) | instid1(SALU_CYCLE_1)
	s_or_b64 s[4:5], s[2:3], s[14:15]
	s_and_b32 s5, s12, 63
	s_and_b32 s4, s4, 3
	s_or_b32 s16, s4, s5
	s_sub_u32 s4, s2, s8
	s_subb_u32 s5, s3, s9
	s_cmp_eq_u64 s[16:17], 0
	s_mov_b32 s2, -1
	s_cbranch_scc0 .LBB355_37
; %bb.1:
	v_dual_mov_b32 v2, 0 :: v_dual_lshlrev_b32 v1, 2, v0
	s_mov_b32 s3, exec_lo
	s_delay_alu instid0(VALU_DEP_1)
	v_cmpx_gt_i64_e64 s[4:5], v[1:2]
	s_cbranch_execz .LBB355_36
; %bb.2:
	s_load_b32 s2, s[0:1], 0xc5c
	v_lshlrev_b32_e32 v3, 6, v0
	s_lshl_b64 s[18:19], s[10:11], 20
	v_mov_b32_e32 v11, 0x7f
	s_waitcnt lgkmcnt(0)
	s_and_b32 s2, s2, 0xffff
	s_delay_alu instid0(SALU_CYCLE_1) | instskip(SKIP_3) | instid1(VALU_DEP_1)
	s_lshl_b32 s16, s2, 2
	s_add_u32 s17, s12, s18
	s_addc_u32 s18, s13, s19
	v_add_co_u32 v3, s17, s17, v3
	v_add_co_ci_u32_e64 v4, null, s18, 0, s17
	s_mov_b32 s17, 0
	s_lshl_b32 s18, s2, 6
	s_branch .LBB355_4
.LBB355_3:                              ;   in Loop: Header=BB355_4 Depth=1
	s_or_b32 exec_lo, exec_lo, s2
	v_lshrrev_b32_e32 v7, 24, v7
	v_lshrrev_b32_e32 v9, 24, v9
	;; [unrolled: 1-line block ×3, first 2 shown]
	v_add_co_u32 v13, vcc_lo, s14, v1
	s_delay_alu instid0(VALU_DEP_4) | instskip(SKIP_3) | instid1(VALU_DEP_4)
	v_and_b32_e32 v7, 0x80, v7
	v_add_co_ci_u32_e32 v14, vcc_lo, s15, v2, vcc_lo
	v_and_b32_e32 v9, 0x80, v9
	v_add_co_u32 v1, vcc_lo, s16, v1
	v_and_or_b32 v7, 0xff, v8, v7
	v_add_co_ci_u32_e32 v2, vcc_lo, 0, v2, vcc_lo
	v_lshlrev_b32_e32 v6, 24, v6
	v_and_or_b32 v8, 0xff, v10, v9
	v_and_b32_e32 v5, 0x80000000, v5
	v_and_b32_e32 v9, 0xff, v12
	v_lshlrev_b32_e32 v7, 16, v7
	v_cmp_le_i64_e32 vcc_lo, s[4:5], v[1:2]
	v_cmp_lt_u64_e64 s2, 0xffff, v[1:2]
	v_lshlrev_b32_e32 v8, 8, v8
	v_and_or_b32 v9, 0x80, v15, v9
	v_or3_b32 v5, v5, v6, v7
	s_delay_alu instid0(VALU_DEP_4) | instskip(SKIP_1) | instid1(VALU_DEP_2)
	s_or_b32 s2, vcc_lo, s2
	v_add_co_u32 v3, vcc_lo, v3, s18
	v_or3_b32 v5, v5, v8, v9
	v_add_co_ci_u32_e32 v4, vcc_lo, 0, v4, vcc_lo
	s_and_b32 s2, exec_lo, s2
	s_delay_alu instid0(SALU_CYCLE_1)
	s_or_b32 s17, s2, s17
	global_store_b32 v[13:14], v5, off
	s_and_not1_b32 exec_lo, exec_lo, s17
	s_cbranch_execz .LBB355_36
.LBB355_4:                              ; =>This Inner Loop Header: Depth=1
	s_clause 0x3
	global_load_b64 v[12:13], v[3:4], off
	global_load_b64 v[9:10], v[3:4], off offset:16
	global_load_b64 v[7:8], v[3:4], off offset:32
	;; [unrolled: 1-line block ×3, first 2 shown]
	s_mov_b32 s2, exec_lo
	s_waitcnt vmcnt(3)
	v_cvt_f32_f64_e32 v13, v[12:13]
                                        ; implicit-def: $vgpr12
	s_delay_alu instid0(VALU_DEP_1) | instskip(NEXT) | instid1(VALU_DEP_1)
	v_and_b32_e32 v14, 0x7fffffff, v13
	v_cmpx_gt_u32_e32 0x43f00000, v14
	s_xor_b32 s2, exec_lo, s2
	s_cbranch_execz .LBB355_10
; %bb.5:                                ;   in Loop: Header=BB355_4 Depth=1
	s_mov_b32 s19, exec_lo
                                        ; implicit-def: $vgpr12
	v_cmpx_lt_u32_e32 0x3c7fffff, v14
	s_xor_b32 s19, exec_lo, s19
; %bb.6:                                ;   in Loop: Header=BB355_4 Depth=1
	v_bfe_u32 v12, v13, 20, 1
	s_delay_alu instid0(VALU_DEP_1) | instskip(NEXT) | instid1(VALU_DEP_1)
	v_add3_u32 v12, v13, v12, 0x407ffff
	v_and_b32_e32 v14, 0xff00000, v12
	v_lshrrev_b32_e32 v12, 20, v12
	s_delay_alu instid0(VALU_DEP_2) | instskip(NEXT) | instid1(VALU_DEP_2)
	v_cmp_ne_u32_e32 vcc_lo, 0x7f00000, v14
	v_cndmask_b32_e32 v12, 0x7e, v12, vcc_lo
; %bb.7:                                ;   in Loop: Header=BB355_4 Depth=1
	s_and_not1_saveexec_b32 s19, s19
; %bb.8:                                ;   in Loop: Header=BB355_4 Depth=1
	v_add_f32_e64 v12, 0x46800000, |v13|
; %bb.9:                                ;   in Loop: Header=BB355_4 Depth=1
	s_or_b32 exec_lo, exec_lo, s19
                                        ; implicit-def: $vgpr14
.LBB355_10:                             ;   in Loop: Header=BB355_4 Depth=1
	s_and_not1_saveexec_b32 s2, s2
; %bb.11:                               ;   in Loop: Header=BB355_4 Depth=1
	v_cmp_lt_u32_e32 vcc_lo, 0x7f800000, v14
	v_cndmask_b32_e32 v12, 0x7e, v11, vcc_lo
; %bb.12:                               ;   in Loop: Header=BB355_4 Depth=1
	s_or_b32 exec_lo, exec_lo, s2
	s_waitcnt vmcnt(2)
	v_cvt_f32_f64_e32 v9, v[9:10]
	s_mov_b32 s2, exec_lo
                                        ; implicit-def: $vgpr10
	s_delay_alu instid0(VALU_DEP_1) | instskip(NEXT) | instid1(VALU_DEP_1)
	v_and_b32_e32 v14, 0x7fffffff, v9
	v_cmpx_gt_u32_e32 0x43f00000, v14
	s_xor_b32 s2, exec_lo, s2
	s_cbranch_execz .LBB355_18
; %bb.13:                               ;   in Loop: Header=BB355_4 Depth=1
	s_mov_b32 s19, exec_lo
                                        ; implicit-def: $vgpr10
	v_cmpx_lt_u32_e32 0x3c7fffff, v14
	s_xor_b32 s19, exec_lo, s19
; %bb.14:                               ;   in Loop: Header=BB355_4 Depth=1
	v_bfe_u32 v10, v9, 20, 1
	s_delay_alu instid0(VALU_DEP_1) | instskip(NEXT) | instid1(VALU_DEP_1)
	v_add3_u32 v10, v9, v10, 0x407ffff
	v_and_b32_e32 v14, 0xff00000, v10
	v_lshrrev_b32_e32 v10, 20, v10
	s_delay_alu instid0(VALU_DEP_2) | instskip(NEXT) | instid1(VALU_DEP_2)
	v_cmp_ne_u32_e32 vcc_lo, 0x7f00000, v14
	v_cndmask_b32_e32 v10, 0x7e, v10, vcc_lo
; %bb.15:                               ;   in Loop: Header=BB355_4 Depth=1
	s_and_not1_saveexec_b32 s19, s19
; %bb.16:                               ;   in Loop: Header=BB355_4 Depth=1
	v_add_f32_e64 v10, 0x46800000, |v9|
; %bb.17:                               ;   in Loop: Header=BB355_4 Depth=1
	s_or_b32 exec_lo, exec_lo, s19
                                        ; implicit-def: $vgpr14
.LBB355_18:                             ;   in Loop: Header=BB355_4 Depth=1
	s_and_not1_saveexec_b32 s2, s2
; %bb.19:                               ;   in Loop: Header=BB355_4 Depth=1
	v_cmp_lt_u32_e32 vcc_lo, 0x7f800000, v14
	v_cndmask_b32_e32 v10, 0x7e, v11, vcc_lo
; %bb.20:                               ;   in Loop: Header=BB355_4 Depth=1
	s_or_b32 exec_lo, exec_lo, s2
	s_waitcnt vmcnt(1)
	v_cvt_f32_f64_e32 v7, v[7:8]
	s_mov_b32 s2, exec_lo
                                        ; implicit-def: $vgpr8
	s_delay_alu instid0(VALU_DEP_1) | instskip(NEXT) | instid1(VALU_DEP_1)
	v_and_b32_e32 v14, 0x7fffffff, v7
	v_cmpx_gt_u32_e32 0x43f00000, v14
	s_xor_b32 s2, exec_lo, s2
	s_cbranch_execz .LBB355_26
; %bb.21:                               ;   in Loop: Header=BB355_4 Depth=1
	s_mov_b32 s19, exec_lo
                                        ; implicit-def: $vgpr8
	v_cmpx_lt_u32_e32 0x3c7fffff, v14
	s_xor_b32 s19, exec_lo, s19
; %bb.22:                               ;   in Loop: Header=BB355_4 Depth=1
	v_bfe_u32 v8, v7, 20, 1
	s_delay_alu instid0(VALU_DEP_1) | instskip(NEXT) | instid1(VALU_DEP_1)
	v_add3_u32 v8, v7, v8, 0x407ffff
	v_and_b32_e32 v14, 0xff00000, v8
	v_lshrrev_b32_e32 v8, 20, v8
	s_delay_alu instid0(VALU_DEP_2) | instskip(NEXT) | instid1(VALU_DEP_2)
	v_cmp_ne_u32_e32 vcc_lo, 0x7f00000, v14
	v_cndmask_b32_e32 v8, 0x7e, v8, vcc_lo
; %bb.23:                               ;   in Loop: Header=BB355_4 Depth=1
	s_and_not1_saveexec_b32 s19, s19
; %bb.24:                               ;   in Loop: Header=BB355_4 Depth=1
	v_add_f32_e64 v8, 0x46800000, |v7|
; %bb.25:                               ;   in Loop: Header=BB355_4 Depth=1
	s_or_b32 exec_lo, exec_lo, s19
                                        ; implicit-def: $vgpr14
.LBB355_26:                             ;   in Loop: Header=BB355_4 Depth=1
	s_and_not1_saveexec_b32 s2, s2
; %bb.27:                               ;   in Loop: Header=BB355_4 Depth=1
	v_cmp_lt_u32_e32 vcc_lo, 0x7f800000, v14
	v_cndmask_b32_e32 v8, 0x7e, v11, vcc_lo
; %bb.28:                               ;   in Loop: Header=BB355_4 Depth=1
	s_or_b32 exec_lo, exec_lo, s2
	s_waitcnt vmcnt(0)
	v_cvt_f32_f64_e32 v5, v[5:6]
	s_mov_b32 s2, exec_lo
                                        ; implicit-def: $vgpr6
	s_delay_alu instid0(VALU_DEP_1) | instskip(NEXT) | instid1(VALU_DEP_1)
	v_and_b32_e32 v14, 0x7fffffff, v5
	v_cmpx_gt_u32_e32 0x43f00000, v14
	s_xor_b32 s2, exec_lo, s2
	s_cbranch_execz .LBB355_34
; %bb.29:                               ;   in Loop: Header=BB355_4 Depth=1
	s_mov_b32 s19, exec_lo
                                        ; implicit-def: $vgpr6
	v_cmpx_lt_u32_e32 0x3c7fffff, v14
	s_xor_b32 s19, exec_lo, s19
; %bb.30:                               ;   in Loop: Header=BB355_4 Depth=1
	v_bfe_u32 v6, v5, 20, 1
	s_delay_alu instid0(VALU_DEP_1) | instskip(NEXT) | instid1(VALU_DEP_1)
	v_add3_u32 v6, v5, v6, 0x407ffff
	v_and_b32_e32 v14, 0xff00000, v6
	v_lshrrev_b32_e32 v6, 20, v6
	s_delay_alu instid0(VALU_DEP_2) | instskip(NEXT) | instid1(VALU_DEP_2)
	v_cmp_ne_u32_e32 vcc_lo, 0x7f00000, v14
	v_cndmask_b32_e32 v6, 0x7e, v6, vcc_lo
; %bb.31:                               ;   in Loop: Header=BB355_4 Depth=1
	s_and_not1_saveexec_b32 s19, s19
; %bb.32:                               ;   in Loop: Header=BB355_4 Depth=1
	v_add_f32_e64 v6, 0x46800000, |v5|
; %bb.33:                               ;   in Loop: Header=BB355_4 Depth=1
	s_or_b32 exec_lo, exec_lo, s19
                                        ; implicit-def: $vgpr14
.LBB355_34:                             ;   in Loop: Header=BB355_4 Depth=1
	s_and_not1_saveexec_b32 s2, s2
	s_cbranch_execz .LBB355_3
; %bb.35:                               ;   in Loop: Header=BB355_4 Depth=1
	v_cmp_lt_u32_e32 vcc_lo, 0x7f800000, v14
	v_cndmask_b32_e32 v6, 0x7e, v11, vcc_lo
	s_branch .LBB355_3
.LBB355_36:
	s_or_b32 exec_lo, exec_lo, s3
	s_mov_b32 s2, 0
.LBB355_37:
	s_delay_alu instid0(SALU_CYCLE_1)
	s_and_not1_b32 vcc_lo, exec_lo, s2
	s_cbranch_vccnz .LBB355_89
; %bb.38:
	v_cmp_lt_i64_e64 s2, s[4:5], 1
	s_delay_alu instid0(VALU_DEP_1)
	s_and_b32 vcc_lo, exec_lo, s2
	s_cbranch_vccnz .LBB355_89
; %bb.39:
	s_load_b32 s0, s[0:1], 0xc5c
	v_cmp_gt_u64_e64 s1, 0x10000, s[4:5]
	v_add_co_u32 v7, s2, s8, v0
	v_lshlrev_b32_e32 v1, 4, v0
	v_add_co_ci_u32_e64 v8, null, s9, 0, s2
	v_mov_b32_e32 v5, 0
	v_mov_b32_e32 v6, 0
	v_add_co_u32 v21, vcc_lo, s6, v7
	s_delay_alu instid0(VALU_DEP_4) | instskip(NEXT) | instid1(VALU_DEP_3)
	v_add_co_ci_u32_e32 v22, vcc_lo, s7, v8, vcc_lo
	v_dual_mov_b32 v35, 0x7f :: v_dual_mov_b32 v12, v6
	v_dual_mov_b32 v11, v5 :: v_dual_mov_b32 v10, v6
	v_mov_b32_e32 v9, v5
	s_waitcnt lgkmcnt(0)
	s_and_b32 s0, s0, 0xffff
	s_and_b32 s1, s1, exec_lo
	s_cselect_b32 s3, s5, 0
	s_cselect_b32 s2, s4, 0x10000
	s_lshl_b64 s[10:11], s[10:11], 20
	s_lshl_b32 s14, s0, 1
	s_lshl_b32 s1, s0, 2
	s_add_u32 s12, s12, s10
	s_mul_i32 s15, s0, 3
	s_addc_u32 s13, s13, s11
	s_lshl_b32 s10, s0, 6
	v_add_co_u32 v1, s16, s12, v1
	s_add_u32 s11, s8, s15
	v_add_co_ci_u32_e64 v2, null, s13, 0, s16
	s_addc_u32 s16, s9, 0
	s_add_u32 s11, s6, s11
	s_addc_u32 s16, s7, s16
	v_add_co_u32 v23, s11, s11, v0
	s_delay_alu instid0(VALU_DEP_1)
	v_add_co_ci_u32_e64 v24, null, s16, 0, s11
	v_add_co_u32 v25, s11, s15, v0
	v_add_co_u32 v27, s15, v0, s0
	v_add_co_ci_u32_e64 v26, null, 0, 0, s11
	s_lshl_b32 s11, s0, 5
	s_add_u32 s8, s8, s14
	s_addc_u32 s9, s9, 0
	s_add_u32 s8, s6, s8
	v_lshlrev_b32_e32 v3, 4, v27
	s_addc_u32 s9, s7, s9
	v_add_co_u32 v28, s8, s8, v0
	s_add_u32 s6, s6, s0
	v_add_co_ci_u32_e64 v29, null, s9, 0, s8
	v_add_co_u32 v31, s8, s14, v0
	s_addc_u32 s7, s7, 0
	v_add_co_u32 v33, vcc_lo, s6, v7
	v_add_co_ci_u32_e64 v32, null, 0, 0, s8
	v_add_co_u32 v3, s8, s12, v3
	v_add_co_ci_u32_e32 v34, vcc_lo, s7, v8, vcc_lo
	v_mov_b32_e32 v8, v6
	v_add_co_ci_u32_e64 v30, null, 0, 0, s15
	v_add_co_ci_u32_e64 v4, null, s13, 0, s8
	v_mov_b32_e32 v7, v5
	s_mul_i32 s8, s0, 48
	s_mov_b64 s[6:7], 0
	s_branch .LBB355_41
.LBB355_40:                             ;   in Loop: Header=BB355_41 Depth=1
	s_or_b32 exec_lo, exec_lo, s0
	s_add_u32 s6, s6, s1
	s_addc_u32 s7, s7, 0
	v_add_co_u32 v1, vcc_lo, v1, s10
	v_cmp_ge_i64_e64 s0, s[6:7], s[4:5]
	v_cmp_lt_u64_e64 s9, 0xffff, s[6:7]
	v_add_co_ci_u32_e32 v2, vcc_lo, 0, v2, vcc_lo
	v_add_co_u32 v3, vcc_lo, v3, s10
	v_add_co_ci_u32_e32 v4, vcc_lo, 0, v4, vcc_lo
	s_delay_alu instid0(VALU_DEP_4) | instskip(NEXT) | instid1(SALU_CYCLE_1)
	s_or_b32 s0, s0, s9
	s_and_b32 vcc_lo, exec_lo, s0
	s_cbranch_vccnz .LBB355_89
.LBB355_41:                             ; =>This Inner Loop Header: Depth=1
	v_add_co_u32 v13, s0, v0, s6
	s_delay_alu instid0(VALU_DEP_1) | instskip(NEXT) | instid1(VALU_DEP_1)
	v_add_co_ci_u32_e64 v14, null, 0, s7, s0
	v_cmp_gt_i64_e32 vcc_lo, s[4:5], v[13:14]
	v_cmp_gt_u64_e64 s0, 0x10000, v[13:14]
	s_delay_alu instid0(VALU_DEP_1) | instskip(NEXT) | instid1(SALU_CYCLE_1)
	s_and_b32 s9, vcc_lo, s0
	s_and_saveexec_b32 s0, s9
	s_cbranch_execz .LBB355_43
; %bb.42:                               ;   in Loop: Header=BB355_41 Depth=1
	global_load_b64 v[9:10], v[1:2], off
.LBB355_43:                             ;   in Loop: Header=BB355_41 Depth=1
	s_or_b32 exec_lo, exec_lo, s0
	v_add_co_u32 v15, vcc_lo, v27, s6
	v_add_co_ci_u32_e32 v16, vcc_lo, s7, v30, vcc_lo
	s_delay_alu instid0(VALU_DEP_1) | instskip(SKIP_1) | instid1(VALU_DEP_1)
	v_cmp_gt_i64_e32 vcc_lo, s[4:5], v[15:16]
	v_cmp_gt_u64_e64 s0, 0x10000, v[15:16]
	s_and_b32 s9, vcc_lo, s0
	s_delay_alu instid0(SALU_CYCLE_1)
	s_and_saveexec_b32 s0, s9
	s_cbranch_execz .LBB355_45
; %bb.44:                               ;   in Loop: Header=BB355_41 Depth=1
	global_load_b64 v[7:8], v[3:4], off
.LBB355_45:                             ;   in Loop: Header=BB355_41 Depth=1
	s_or_b32 exec_lo, exec_lo, s0
	v_add_co_u32 v17, vcc_lo, v31, s6
	v_add_co_ci_u32_e32 v18, vcc_lo, s7, v32, vcc_lo
	s_delay_alu instid0(VALU_DEP_1) | instskip(SKIP_1) | instid1(VALU_DEP_1)
	v_cmp_gt_i64_e32 vcc_lo, s[4:5], v[17:18]
	v_cmp_gt_u64_e64 s0, 0x10000, v[17:18]
	s_and_b32 s9, vcc_lo, s0
	s_delay_alu instid0(SALU_CYCLE_1)
	s_and_saveexec_b32 s0, s9
	s_cbranch_execz .LBB355_47
; %bb.46:                               ;   in Loop: Header=BB355_41 Depth=1
	v_add_co_u32 v11, vcc_lo, v1, s11
	v_add_co_ci_u32_e32 v12, vcc_lo, 0, v2, vcc_lo
	global_load_b64 v[11:12], v[11:12], off
.LBB355_47:                             ;   in Loop: Header=BB355_41 Depth=1
	s_or_b32 exec_lo, exec_lo, s0
	v_add_co_u32 v19, vcc_lo, v25, s6
	v_add_co_ci_u32_e32 v20, vcc_lo, s7, v26, vcc_lo
	s_delay_alu instid0(VALU_DEP_1) | instskip(SKIP_1) | instid1(VALU_DEP_1)
	v_cmp_gt_i64_e32 vcc_lo, s[4:5], v[19:20]
	v_cmp_gt_u64_e64 s0, 0x10000, v[19:20]
	s_and_b32 s9, vcc_lo, s0
	s_delay_alu instid0(SALU_CYCLE_1)
	s_and_saveexec_b32 s0, s9
	s_cbranch_execz .LBB355_49
; %bb.48:                               ;   in Loop: Header=BB355_41 Depth=1
	v_add_co_u32 v5, vcc_lo, v1, s8
	v_add_co_ci_u32_e32 v6, vcc_lo, 0, v2, vcc_lo
	global_load_b64 v[5:6], v[5:6], off
.LBB355_49:                             ;   in Loop: Header=BB355_41 Depth=1
	s_or_b32 exec_lo, exec_lo, s0
	s_waitcnt vmcnt(0)
	v_cvt_f32_f64_e32 v36, v[9:10]
	s_mov_b32 s0, exec_lo
                                        ; implicit-def: $vgpr37
	s_delay_alu instid0(VALU_DEP_1) | instskip(NEXT) | instid1(VALU_DEP_1)
	v_and_b32_e32 v38, 0x7fffffff, v36
	v_cmpx_gt_u32_e32 0x43f00000, v38
	s_xor_b32 s0, exec_lo, s0
	s_cbranch_execz .LBB355_55
; %bb.50:                               ;   in Loop: Header=BB355_41 Depth=1
	s_mov_b32 s9, exec_lo
                                        ; implicit-def: $vgpr37
	v_cmpx_lt_u32_e32 0x3c7fffff, v38
	s_xor_b32 s9, exec_lo, s9
; %bb.51:                               ;   in Loop: Header=BB355_41 Depth=1
	v_bfe_u32 v37, v36, 20, 1
	s_delay_alu instid0(VALU_DEP_1) | instskip(NEXT) | instid1(VALU_DEP_1)
	v_add3_u32 v37, v36, v37, 0x407ffff
	v_and_b32_e32 v38, 0xff00000, v37
	v_lshrrev_b32_e32 v37, 20, v37
	s_delay_alu instid0(VALU_DEP_2) | instskip(NEXT) | instid1(VALU_DEP_2)
	v_cmp_ne_u32_e32 vcc_lo, 0x7f00000, v38
	v_cndmask_b32_e32 v37, 0x7e, v37, vcc_lo
; %bb.52:                               ;   in Loop: Header=BB355_41 Depth=1
	s_and_not1_saveexec_b32 s9, s9
; %bb.53:                               ;   in Loop: Header=BB355_41 Depth=1
	v_add_f32_e64 v37, 0x46800000, |v36|
; %bb.54:                               ;   in Loop: Header=BB355_41 Depth=1
	s_or_b32 exec_lo, exec_lo, s9
                                        ; implicit-def: $vgpr38
.LBB355_55:                             ;   in Loop: Header=BB355_41 Depth=1
	s_and_not1_saveexec_b32 s0, s0
; %bb.56:                               ;   in Loop: Header=BB355_41 Depth=1
	v_cmp_lt_u32_e32 vcc_lo, 0x7f800000, v38
	v_cndmask_b32_e32 v37, 0x7e, v35, vcc_lo
; %bb.57:                               ;   in Loop: Header=BB355_41 Depth=1
	s_or_b32 exec_lo, exec_lo, s0
	v_cvt_f32_f64_e32 v38, v[7:8]
	s_mov_b32 s0, exec_lo
                                        ; implicit-def: $vgpr39
	s_delay_alu instid0(VALU_DEP_1) | instskip(NEXT) | instid1(VALU_DEP_1)
	v_and_b32_e32 v40, 0x7fffffff, v38
	v_cmpx_gt_u32_e32 0x43f00000, v40
	s_xor_b32 s0, exec_lo, s0
	s_cbranch_execz .LBB355_63
; %bb.58:                               ;   in Loop: Header=BB355_41 Depth=1
	s_mov_b32 s9, exec_lo
                                        ; implicit-def: $vgpr39
	v_cmpx_lt_u32_e32 0x3c7fffff, v40
	s_xor_b32 s9, exec_lo, s9
; %bb.59:                               ;   in Loop: Header=BB355_41 Depth=1
	v_bfe_u32 v39, v38, 20, 1
	s_delay_alu instid0(VALU_DEP_1) | instskip(NEXT) | instid1(VALU_DEP_1)
	v_add3_u32 v39, v38, v39, 0x407ffff
	v_and_b32_e32 v40, 0xff00000, v39
	v_lshrrev_b32_e32 v39, 20, v39
	s_delay_alu instid0(VALU_DEP_2) | instskip(NEXT) | instid1(VALU_DEP_2)
	v_cmp_ne_u32_e32 vcc_lo, 0x7f00000, v40
	v_cndmask_b32_e32 v39, 0x7e, v39, vcc_lo
; %bb.60:                               ;   in Loop: Header=BB355_41 Depth=1
	s_and_not1_saveexec_b32 s9, s9
; %bb.61:                               ;   in Loop: Header=BB355_41 Depth=1
	v_add_f32_e64 v39, 0x46800000, |v38|
; %bb.62:                               ;   in Loop: Header=BB355_41 Depth=1
	s_or_b32 exec_lo, exec_lo, s9
                                        ; implicit-def: $vgpr40
.LBB355_63:                             ;   in Loop: Header=BB355_41 Depth=1
	s_and_not1_saveexec_b32 s0, s0
; %bb.64:                               ;   in Loop: Header=BB355_41 Depth=1
	v_cmp_lt_u32_e32 vcc_lo, 0x7f800000, v40
	v_cndmask_b32_e32 v39, 0x7e, v35, vcc_lo
; %bb.65:                               ;   in Loop: Header=BB355_41 Depth=1
	s_or_b32 exec_lo, exec_lo, s0
	v_cvt_f32_f64_e32 v40, v[11:12]
	s_mov_b32 s0, exec_lo
                                        ; implicit-def: $vgpr41
	s_delay_alu instid0(VALU_DEP_1) | instskip(NEXT) | instid1(VALU_DEP_1)
	v_and_b32_e32 v42, 0x7fffffff, v40
	v_cmpx_gt_u32_e32 0x43f00000, v42
	s_xor_b32 s0, exec_lo, s0
	s_cbranch_execz .LBB355_71
; %bb.66:                               ;   in Loop: Header=BB355_41 Depth=1
	s_mov_b32 s9, exec_lo
                                        ; implicit-def: $vgpr41
	v_cmpx_lt_u32_e32 0x3c7fffff, v42
	s_xor_b32 s9, exec_lo, s9
; %bb.67:                               ;   in Loop: Header=BB355_41 Depth=1
	v_bfe_u32 v41, v40, 20, 1
	s_delay_alu instid0(VALU_DEP_1) | instskip(NEXT) | instid1(VALU_DEP_1)
	v_add3_u32 v41, v40, v41, 0x407ffff
	v_and_b32_e32 v42, 0xff00000, v41
	v_lshrrev_b32_e32 v41, 20, v41
	s_delay_alu instid0(VALU_DEP_2) | instskip(NEXT) | instid1(VALU_DEP_2)
	v_cmp_ne_u32_e32 vcc_lo, 0x7f00000, v42
	v_cndmask_b32_e32 v41, 0x7e, v41, vcc_lo
; %bb.68:                               ;   in Loop: Header=BB355_41 Depth=1
	s_and_not1_saveexec_b32 s9, s9
; %bb.69:                               ;   in Loop: Header=BB355_41 Depth=1
	v_add_f32_e64 v41, 0x46800000, |v40|
; %bb.70:                               ;   in Loop: Header=BB355_41 Depth=1
	s_or_b32 exec_lo, exec_lo, s9
                                        ; implicit-def: $vgpr42
.LBB355_71:                             ;   in Loop: Header=BB355_41 Depth=1
	s_and_not1_saveexec_b32 s0, s0
; %bb.72:                               ;   in Loop: Header=BB355_41 Depth=1
	v_cmp_lt_u32_e32 vcc_lo, 0x7f800000, v42
	v_cndmask_b32_e32 v41, 0x7e, v35, vcc_lo
; %bb.73:                               ;   in Loop: Header=BB355_41 Depth=1
	s_or_b32 exec_lo, exec_lo, s0
	v_cvt_f32_f64_e32 v42, v[5:6]
	s_mov_b32 s0, exec_lo
                                        ; implicit-def: $vgpr43
	s_delay_alu instid0(VALU_DEP_1) | instskip(NEXT) | instid1(VALU_DEP_1)
	v_and_b32_e32 v44, 0x7fffffff, v42
	v_cmpx_gt_u32_e32 0x43f00000, v44
	s_xor_b32 s0, exec_lo, s0
	s_cbranch_execz .LBB355_79
; %bb.74:                               ;   in Loop: Header=BB355_41 Depth=1
	s_mov_b32 s9, exec_lo
                                        ; implicit-def: $vgpr43
	v_cmpx_lt_u32_e32 0x3c7fffff, v44
	s_xor_b32 s9, exec_lo, s9
; %bb.75:                               ;   in Loop: Header=BB355_41 Depth=1
	v_bfe_u32 v43, v42, 20, 1
	s_delay_alu instid0(VALU_DEP_1) | instskip(NEXT) | instid1(VALU_DEP_1)
	v_add3_u32 v43, v42, v43, 0x407ffff
	v_and_b32_e32 v44, 0xff00000, v43
	v_lshrrev_b32_e32 v43, 20, v43
	s_delay_alu instid0(VALU_DEP_2) | instskip(NEXT) | instid1(VALU_DEP_2)
	v_cmp_ne_u32_e32 vcc_lo, 0x7f00000, v44
	v_cndmask_b32_e32 v43, 0x7e, v43, vcc_lo
; %bb.76:                               ;   in Loop: Header=BB355_41 Depth=1
	s_and_not1_saveexec_b32 s9, s9
; %bb.77:                               ;   in Loop: Header=BB355_41 Depth=1
	v_add_f32_e64 v43, 0x46800000, |v42|
; %bb.78:                               ;   in Loop: Header=BB355_41 Depth=1
	s_or_b32 exec_lo, exec_lo, s9
                                        ; implicit-def: $vgpr44
.LBB355_79:                             ;   in Loop: Header=BB355_41 Depth=1
	s_and_not1_saveexec_b32 s0, s0
; %bb.80:                               ;   in Loop: Header=BB355_41 Depth=1
	v_cmp_lt_u32_e32 vcc_lo, 0x7f800000, v44
	v_cndmask_b32_e32 v43, 0x7e, v35, vcc_lo
; %bb.81:                               ;   in Loop: Header=BB355_41 Depth=1
	s_or_b32 exec_lo, exec_lo, s0
	s_delay_alu instid0(SALU_CYCLE_1)
	s_mov_b32 s0, exec_lo
	v_cmpx_gt_u64_e64 s[2:3], v[13:14]
	s_xor_b32 s0, exec_lo, s0
	s_cbranch_execnz .LBB355_85
; %bb.82:                               ;   in Loop: Header=BB355_41 Depth=1
	s_or_b32 exec_lo, exec_lo, s0
	s_delay_alu instid0(SALU_CYCLE_1)
	s_mov_b32 s0, exec_lo
	v_cmpx_gt_u64_e64 s[2:3], v[15:16]
	s_cbranch_execnz .LBB355_86
.LBB355_83:                             ;   in Loop: Header=BB355_41 Depth=1
	s_or_b32 exec_lo, exec_lo, s0
	s_delay_alu instid0(SALU_CYCLE_1)
	s_mov_b32 s0, exec_lo
	v_cmpx_gt_u64_e64 s[2:3], v[17:18]
	s_cbranch_execnz .LBB355_87
.LBB355_84:                             ;   in Loop: Header=BB355_41 Depth=1
	s_or_b32 exec_lo, exec_lo, s0
	s_delay_alu instid0(SALU_CYCLE_1)
	s_mov_b32 s0, exec_lo
	v_cmpx_gt_u64_e64 s[2:3], v[19:20]
	s_cbranch_execz .LBB355_40
	s_branch .LBB355_88
.LBB355_85:                             ;   in Loop: Header=BB355_41 Depth=1
	v_lshrrev_b32_e32 v13, 24, v36
	s_delay_alu instid0(VALU_DEP_1) | instskip(SKIP_4) | instid1(SALU_CYCLE_1)
	v_and_or_b32 v36, 0x80, v13, v37
	v_add_co_u32 v13, vcc_lo, v21, s6
	v_add_co_ci_u32_e32 v14, vcc_lo, s7, v22, vcc_lo
	global_store_b8 v[13:14], v36, off
	s_or_b32 exec_lo, exec_lo, s0
	s_mov_b32 s0, exec_lo
	v_cmpx_gt_u64_e64 s[2:3], v[15:16]
	s_cbranch_execz .LBB355_83
.LBB355_86:                             ;   in Loop: Header=BB355_41 Depth=1
	v_lshrrev_b32_e32 v13, 24, v38
	s_delay_alu instid0(VALU_DEP_1) | instskip(SKIP_4) | instid1(SALU_CYCLE_1)
	v_and_or_b32 v15, 0x80, v13, v39
	v_add_co_u32 v13, vcc_lo, v33, s6
	v_add_co_ci_u32_e32 v14, vcc_lo, s7, v34, vcc_lo
	global_store_b8 v[13:14], v15, off
	s_or_b32 exec_lo, exec_lo, s0
	s_mov_b32 s0, exec_lo
	v_cmpx_gt_u64_e64 s[2:3], v[17:18]
	s_cbranch_execz .LBB355_84
.LBB355_87:                             ;   in Loop: Header=BB355_41 Depth=1
	v_lshrrev_b32_e32 v13, 24, v40
	s_delay_alu instid0(VALU_DEP_1) | instskip(SKIP_4) | instid1(SALU_CYCLE_1)
	v_and_or_b32 v15, 0x80, v13, v41
	v_add_co_u32 v13, vcc_lo, v28, s6
	v_add_co_ci_u32_e32 v14, vcc_lo, s7, v29, vcc_lo
	global_store_b8 v[13:14], v15, off
	s_or_b32 exec_lo, exec_lo, s0
	s_mov_b32 s0, exec_lo
	v_cmpx_gt_u64_e64 s[2:3], v[19:20]
	s_cbranch_execz .LBB355_40
.LBB355_88:                             ;   in Loop: Header=BB355_41 Depth=1
	v_lshrrev_b32_e32 v13, 24, v42
	s_delay_alu instid0(VALU_DEP_1)
	v_and_or_b32 v15, 0x80, v13, v43
	v_add_co_u32 v13, vcc_lo, v23, s6
	v_add_co_ci_u32_e32 v14, vcc_lo, s7, v24, vcc_lo
	global_store_b8 v[13:14], v15, off
	s_branch .LBB355_40
.LBB355_89:
	s_nop 0
	s_sendmsg sendmsg(MSG_DEALLOC_VGPRS)
	s_endpgm
	.section	.rodata,"a",@progbits
	.p2align	6, 0x0
	.amdhsa_kernel _ZN2at6native12_GLOBAL__N_125multi_tensor_apply_kernelINS1_18TensorListMetadataILi2EEENS1_11CopyFunctorIN3c1013Float8_e4m3fnENS6_7complexIdEELi2ELi1ELi1EEEJNS0_4CopyIS7_S9_EEEEEvT_T0_DpT1_
		.amdhsa_group_segment_fixed_size 0
		.amdhsa_private_segment_fixed_size 0
		.amdhsa_kernarg_size 3408
		.amdhsa_user_sgpr_count 15
		.amdhsa_user_sgpr_dispatch_ptr 0
		.amdhsa_user_sgpr_queue_ptr 0
		.amdhsa_user_sgpr_kernarg_segment_ptr 1
		.amdhsa_user_sgpr_dispatch_id 0
		.amdhsa_user_sgpr_private_segment_size 0
		.amdhsa_wavefront_size32 1
		.amdhsa_uses_dynamic_stack 0
		.amdhsa_enable_private_segment 0
		.amdhsa_system_sgpr_workgroup_id_x 1
		.amdhsa_system_sgpr_workgroup_id_y 0
		.amdhsa_system_sgpr_workgroup_id_z 0
		.amdhsa_system_sgpr_workgroup_info 0
		.amdhsa_system_vgpr_workitem_id 0
		.amdhsa_next_free_vgpr 45
		.amdhsa_next_free_sgpr 20
		.amdhsa_reserve_vcc 1
		.amdhsa_float_round_mode_32 0
		.amdhsa_float_round_mode_16_64 0
		.amdhsa_float_denorm_mode_32 3
		.amdhsa_float_denorm_mode_16_64 3
		.amdhsa_dx10_clamp 1
		.amdhsa_ieee_mode 1
		.amdhsa_fp16_overflow 0
		.amdhsa_workgroup_processor_mode 1
		.amdhsa_memory_ordered 1
		.amdhsa_forward_progress 0
		.amdhsa_shared_vgpr_count 0
		.amdhsa_exception_fp_ieee_invalid_op 0
		.amdhsa_exception_fp_denorm_src 0
		.amdhsa_exception_fp_ieee_div_zero 0
		.amdhsa_exception_fp_ieee_overflow 0
		.amdhsa_exception_fp_ieee_underflow 0
		.amdhsa_exception_fp_ieee_inexact 0
		.amdhsa_exception_int_div_zero 0
	.end_amdhsa_kernel
	.section	.text._ZN2at6native12_GLOBAL__N_125multi_tensor_apply_kernelINS1_18TensorListMetadataILi2EEENS1_11CopyFunctorIN3c1013Float8_e4m3fnENS6_7complexIdEELi2ELi1ELi1EEEJNS0_4CopyIS7_S9_EEEEEvT_T0_DpT1_,"axG",@progbits,_ZN2at6native12_GLOBAL__N_125multi_tensor_apply_kernelINS1_18TensorListMetadataILi2EEENS1_11CopyFunctorIN3c1013Float8_e4m3fnENS6_7complexIdEELi2ELi1ELi1EEEJNS0_4CopyIS7_S9_EEEEEvT_T0_DpT1_,comdat
.Lfunc_end355:
	.size	_ZN2at6native12_GLOBAL__N_125multi_tensor_apply_kernelINS1_18TensorListMetadataILi2EEENS1_11CopyFunctorIN3c1013Float8_e4m3fnENS6_7complexIdEELi2ELi1ELi1EEEJNS0_4CopyIS7_S9_EEEEEvT_T0_DpT1_, .Lfunc_end355-_ZN2at6native12_GLOBAL__N_125multi_tensor_apply_kernelINS1_18TensorListMetadataILi2EEENS1_11CopyFunctorIN3c1013Float8_e4m3fnENS6_7complexIdEELi2ELi1ELi1EEEJNS0_4CopyIS7_S9_EEEEEvT_T0_DpT1_
                                        ; -- End function
	.section	.AMDGPU.csdata,"",@progbits
; Kernel info:
; codeLenInByte = 2800
; NumSgprs: 22
; NumVgprs: 45
; ScratchSize: 0
; MemoryBound: 0
; FloatMode: 240
; IeeeMode: 1
; LDSByteSize: 0 bytes/workgroup (compile time only)
; SGPRBlocks: 2
; VGPRBlocks: 5
; NumSGPRsForWavesPerEU: 22
; NumVGPRsForWavesPerEU: 45
; Occupancy: 16
; WaveLimiterHint : 0
; COMPUTE_PGM_RSRC2:SCRATCH_EN: 0
; COMPUTE_PGM_RSRC2:USER_SGPR: 15
; COMPUTE_PGM_RSRC2:TRAP_HANDLER: 0
; COMPUTE_PGM_RSRC2:TGID_X_EN: 1
; COMPUTE_PGM_RSRC2:TGID_Y_EN: 0
; COMPUTE_PGM_RSRC2:TGID_Z_EN: 0
; COMPUTE_PGM_RSRC2:TIDIG_COMP_CNT: 0
	.section	.text._ZN2at6native12_GLOBAL__N_125multi_tensor_apply_kernelINS1_18TensorListMetadataILi2EEENS1_11CopyFunctorIN3c1013Float8_e4m3fnENS6_7complexIfEELi2ELi1ELi1EEEJNS0_4CopyIS7_S9_EEEEEvT_T0_DpT1_,"axG",@progbits,_ZN2at6native12_GLOBAL__N_125multi_tensor_apply_kernelINS1_18TensorListMetadataILi2EEENS1_11CopyFunctorIN3c1013Float8_e4m3fnENS6_7complexIfEELi2ELi1ELi1EEEJNS0_4CopyIS7_S9_EEEEEvT_T0_DpT1_,comdat
	.globl	_ZN2at6native12_GLOBAL__N_125multi_tensor_apply_kernelINS1_18TensorListMetadataILi2EEENS1_11CopyFunctorIN3c1013Float8_e4m3fnENS6_7complexIfEELi2ELi1ELi1EEEJNS0_4CopyIS7_S9_EEEEEvT_T0_DpT1_ ; -- Begin function _ZN2at6native12_GLOBAL__N_125multi_tensor_apply_kernelINS1_18TensorListMetadataILi2EEENS1_11CopyFunctorIN3c1013Float8_e4m3fnENS6_7complexIfEELi2ELi1ELi1EEEJNS0_4CopyIS7_S9_EEEEEvT_T0_DpT1_
	.p2align	8
	.type	_ZN2at6native12_GLOBAL__N_125multi_tensor_apply_kernelINS1_18TensorListMetadataILi2EEENS1_11CopyFunctorIN3c1013Float8_e4m3fnENS6_7complexIfEELi2ELi1ELi1EEEJNS0_4CopyIS7_S9_EEEEEvT_T0_DpT1_,@function
_ZN2at6native12_GLOBAL__N_125multi_tensor_apply_kernelINS1_18TensorListMetadataILi2EEENS1_11CopyFunctorIN3c1013Float8_e4m3fnENS6_7complexIfEELi2ELi1ELi1EEEJNS0_4CopyIS7_S9_EEEEEvT_T0_DpT1_: ; @_ZN2at6native12_GLOBAL__N_125multi_tensor_apply_kernelINS1_18TensorListMetadataILi2EEENS1_11CopyFunctorIN3c1013Float8_e4m3fnENS6_7complexIfEELi2ELi1ELi1EEEJNS0_4CopyIS7_S9_EEEEEvT_T0_DpT1_
; %bb.0:
	v_mov_b32_e32 v1, s15
	s_add_u32 s2, s0, s15
	s_mul_i32 s4, s15, 3
	s_addc_u32 s3, s1, 0
	s_mul_hi_u32 s5, s15, 3
	global_load_u8 v1, v1, s[0:1] offset:1536
	s_add_u32 s2, s2, s4
	s_addc_u32 s3, s3, s5
	s_mov_b32 s17, 0
	s_load_b32 s10, s[2:3], 0x740
	s_waitcnt lgkmcnt(0)
	s_ashr_i32 s11, s10, 31
	s_delay_alu instid0(SALU_CYCLE_1) | instskip(SKIP_2) | instid1(VALU_DEP_1)
	s_lshl_b64 s[8:9], s[10:11], 16
	s_waitcnt vmcnt(0)
	v_readfirstlane_b32 s4, v1
	s_lshl_b32 s4, s4, 3
	s_clause 0x2
	s_load_b64 s[6:7], s[0:1], s4 offset:0x200
	s_load_b64 s[2:3], s[0:1], s4 offset:0x400
	;; [unrolled: 1-line block ×3, first 2 shown]
	s_waitcnt lgkmcnt(0)
	s_add_u32 s14, s6, s8
	s_addc_u32 s15, s7, s9
	s_delay_alu instid0(SALU_CYCLE_1) | instskip(SKIP_2) | instid1(SALU_CYCLE_1)
	s_or_b64 s[4:5], s[2:3], s[14:15]
	s_and_b32 s5, s12, 31
	s_and_b32 s4, s4, 3
	s_or_b32 s16, s4, s5
	s_sub_u32 s4, s2, s8
	s_subb_u32 s5, s3, s9
	s_cmp_eq_u64 s[16:17], 0
	s_mov_b32 s2, -1
	s_cbranch_scc0 .LBB356_37
; %bb.1:
	v_dual_mov_b32 v2, 0 :: v_dual_lshlrev_b32 v1, 2, v0
	s_mov_b32 s3, exec_lo
	s_delay_alu instid0(VALU_DEP_1)
	v_cmpx_gt_i64_e64 s[4:5], v[1:2]
	s_cbranch_execz .LBB356_36
; %bb.2:
	s_load_b32 s2, s[0:1], 0xc5c
	v_lshlrev_b32_e32 v3, 5, v0
	s_lshl_b64 s[18:19], s[10:11], 19
	v_mov_b32_e32 v5, 0x7f
	s_waitcnt lgkmcnt(0)
	s_and_b32 s2, s2, 0xffff
	s_delay_alu instid0(SALU_CYCLE_1) | instskip(SKIP_3) | instid1(VALU_DEP_1)
	s_lshl_b32 s16, s2, 2
	s_add_u32 s17, s12, s18
	s_addc_u32 s18, s13, s19
	v_add_co_u32 v3, s17, s17, v3
	v_add_co_ci_u32_e64 v4, null, s18, 0, s17
	s_mov_b32 s17, 0
	s_lshl_b32 s18, s2, 5
	s_branch .LBB356_4
.LBB356_3:                              ;   in Loop: Header=BB356_4 Depth=1
	s_or_b32 exec_lo, exec_lo, s2
	v_lshrrev_b32_e32 v10, 24, v10
	v_lshrrev_b32_e32 v9, 24, v9
	;; [unrolled: 1-line block ×3, first 2 shown]
	v_add_co_u32 v8, vcc_lo, s14, v1
	s_delay_alu instid0(VALU_DEP_4) | instskip(NEXT) | instid1(VALU_DEP_4)
	v_and_b32_e32 v10, 0x80, v10
	v_and_b32_e32 v15, 0x80, v9
	v_add_co_ci_u32_e32 v9, vcc_lo, s15, v2, vcc_lo
	v_add_co_u32 v1, vcc_lo, s16, v1
	s_delay_alu instid0(VALU_DEP_4)
	v_and_or_b32 v10, 0xff, v12, v10
	v_add_co_ci_u32_e32 v2, vcc_lo, 0, v2, vcc_lo
	v_lshlrev_b32_e32 v13, 24, v13
	v_and_or_b32 v11, 0xff, v11, v15
	v_and_b32_e32 v6, 0x80000000, v6
	v_and_b32_e32 v7, 0xff, v7
	v_lshlrev_b32_e32 v10, 16, v10
	v_cmp_le_i64_e32 vcc_lo, s[4:5], v[1:2]
	v_cmp_lt_u64_e64 s2, 0xffff, v[1:2]
	v_lshlrev_b32_e32 v11, 8, v11
	v_and_or_b32 v7, 0x80, v14, v7
	v_or3_b32 v6, v6, v13, v10
	s_delay_alu instid0(VALU_DEP_4) | instskip(SKIP_1) | instid1(VALU_DEP_2)
	s_or_b32 s2, vcc_lo, s2
	v_add_co_u32 v3, vcc_lo, v3, s18
	v_or3_b32 v6, v6, v11, v7
	v_add_co_ci_u32_e32 v4, vcc_lo, 0, v4, vcc_lo
	s_and_b32 s2, exec_lo, s2
	s_delay_alu instid0(SALU_CYCLE_1)
	s_or_b32 s17, s2, s17
	global_store_b32 v[8:9], v6, off
	s_and_not1_b32 exec_lo, exec_lo, s17
	s_cbranch_execz .LBB356_36
.LBB356_4:                              ; =>This Inner Loop Header: Depth=1
	s_clause 0x3
	global_load_b32 v8, v[3:4], off
	global_load_b32 v9, v[3:4], off offset:8
	global_load_b32 v10, v[3:4], off offset:16
	;; [unrolled: 1-line block ×3, first 2 shown]
	s_mov_b32 s2, exec_lo
                                        ; implicit-def: $vgpr7
	s_waitcnt vmcnt(3)
	v_and_b32_e32 v11, 0x7fffffff, v8
	s_delay_alu instid0(VALU_DEP_1)
	v_cmpx_gt_u32_e32 0x43f00000, v11
	s_xor_b32 s2, exec_lo, s2
	s_cbranch_execz .LBB356_10
; %bb.5:                                ;   in Loop: Header=BB356_4 Depth=1
	s_mov_b32 s19, exec_lo
                                        ; implicit-def: $vgpr7
	v_cmpx_lt_u32_e32 0x3c7fffff, v11
	s_xor_b32 s19, exec_lo, s19
; %bb.6:                                ;   in Loop: Header=BB356_4 Depth=1
	v_bfe_u32 v7, v8, 20, 1
	s_delay_alu instid0(VALU_DEP_1) | instskip(NEXT) | instid1(VALU_DEP_1)
	v_add3_u32 v7, v8, v7, 0x407ffff
	v_and_b32_e32 v11, 0xff00000, v7
	v_lshrrev_b32_e32 v7, 20, v7
	s_delay_alu instid0(VALU_DEP_2) | instskip(NEXT) | instid1(VALU_DEP_2)
	v_cmp_ne_u32_e32 vcc_lo, 0x7f00000, v11
	v_cndmask_b32_e32 v7, 0x7e, v7, vcc_lo
; %bb.7:                                ;   in Loop: Header=BB356_4 Depth=1
	s_and_not1_saveexec_b32 s19, s19
; %bb.8:                                ;   in Loop: Header=BB356_4 Depth=1
	v_add_f32_e64 v7, 0x46800000, |v8|
; %bb.9:                                ;   in Loop: Header=BB356_4 Depth=1
	s_or_b32 exec_lo, exec_lo, s19
                                        ; implicit-def: $vgpr11
.LBB356_10:                             ;   in Loop: Header=BB356_4 Depth=1
	s_and_not1_saveexec_b32 s2, s2
; %bb.11:                               ;   in Loop: Header=BB356_4 Depth=1
	v_cmp_lt_u32_e32 vcc_lo, 0x7f800000, v11
	v_cndmask_b32_e32 v7, 0x7e, v5, vcc_lo
; %bb.12:                               ;   in Loop: Header=BB356_4 Depth=1
	s_or_b32 exec_lo, exec_lo, s2
	s_waitcnt vmcnt(2)
	v_and_b32_e32 v12, 0x7fffffff, v9
	s_mov_b32 s2, exec_lo
                                        ; implicit-def: $vgpr11
	s_delay_alu instid0(VALU_DEP_1)
	v_cmpx_gt_u32_e32 0x43f00000, v12
	s_xor_b32 s2, exec_lo, s2
	s_cbranch_execz .LBB356_18
; %bb.13:                               ;   in Loop: Header=BB356_4 Depth=1
	s_mov_b32 s19, exec_lo
                                        ; implicit-def: $vgpr11
	v_cmpx_lt_u32_e32 0x3c7fffff, v12
	s_xor_b32 s19, exec_lo, s19
; %bb.14:                               ;   in Loop: Header=BB356_4 Depth=1
	v_bfe_u32 v11, v9, 20, 1
	s_delay_alu instid0(VALU_DEP_1) | instskip(NEXT) | instid1(VALU_DEP_1)
	v_add3_u32 v11, v9, v11, 0x407ffff
	v_and_b32_e32 v12, 0xff00000, v11
	v_lshrrev_b32_e32 v11, 20, v11
	s_delay_alu instid0(VALU_DEP_2) | instskip(NEXT) | instid1(VALU_DEP_2)
	v_cmp_ne_u32_e32 vcc_lo, 0x7f00000, v12
	v_cndmask_b32_e32 v11, 0x7e, v11, vcc_lo
; %bb.15:                               ;   in Loop: Header=BB356_4 Depth=1
	s_and_not1_saveexec_b32 s19, s19
; %bb.16:                               ;   in Loop: Header=BB356_4 Depth=1
	v_add_f32_e64 v11, 0x46800000, |v9|
; %bb.17:                               ;   in Loop: Header=BB356_4 Depth=1
	s_or_b32 exec_lo, exec_lo, s19
                                        ; implicit-def: $vgpr12
.LBB356_18:                             ;   in Loop: Header=BB356_4 Depth=1
	s_and_not1_saveexec_b32 s2, s2
; %bb.19:                               ;   in Loop: Header=BB356_4 Depth=1
	v_cmp_lt_u32_e32 vcc_lo, 0x7f800000, v12
	v_cndmask_b32_e32 v11, 0x7e, v5, vcc_lo
; %bb.20:                               ;   in Loop: Header=BB356_4 Depth=1
	s_or_b32 exec_lo, exec_lo, s2
	s_waitcnt vmcnt(1)
	v_and_b32_e32 v13, 0x7fffffff, v10
	s_mov_b32 s2, exec_lo
                                        ; implicit-def: $vgpr12
	s_delay_alu instid0(VALU_DEP_1)
	v_cmpx_gt_u32_e32 0x43f00000, v13
	s_xor_b32 s2, exec_lo, s2
	s_cbranch_execz .LBB356_26
; %bb.21:                               ;   in Loop: Header=BB356_4 Depth=1
	s_mov_b32 s19, exec_lo
                                        ; implicit-def: $vgpr12
	v_cmpx_lt_u32_e32 0x3c7fffff, v13
	s_xor_b32 s19, exec_lo, s19
; %bb.22:                               ;   in Loop: Header=BB356_4 Depth=1
	v_bfe_u32 v12, v10, 20, 1
	s_delay_alu instid0(VALU_DEP_1) | instskip(NEXT) | instid1(VALU_DEP_1)
	v_add3_u32 v12, v10, v12, 0x407ffff
	v_and_b32_e32 v13, 0xff00000, v12
	v_lshrrev_b32_e32 v12, 20, v12
	s_delay_alu instid0(VALU_DEP_2) | instskip(NEXT) | instid1(VALU_DEP_2)
	v_cmp_ne_u32_e32 vcc_lo, 0x7f00000, v13
	v_cndmask_b32_e32 v12, 0x7e, v12, vcc_lo
; %bb.23:                               ;   in Loop: Header=BB356_4 Depth=1
	s_and_not1_saveexec_b32 s19, s19
; %bb.24:                               ;   in Loop: Header=BB356_4 Depth=1
	v_add_f32_e64 v12, 0x46800000, |v10|
; %bb.25:                               ;   in Loop: Header=BB356_4 Depth=1
	s_or_b32 exec_lo, exec_lo, s19
                                        ; implicit-def: $vgpr13
.LBB356_26:                             ;   in Loop: Header=BB356_4 Depth=1
	s_and_not1_saveexec_b32 s2, s2
; %bb.27:                               ;   in Loop: Header=BB356_4 Depth=1
	v_cmp_lt_u32_e32 vcc_lo, 0x7f800000, v13
	v_cndmask_b32_e32 v12, 0x7e, v5, vcc_lo
; %bb.28:                               ;   in Loop: Header=BB356_4 Depth=1
	s_or_b32 exec_lo, exec_lo, s2
	s_waitcnt vmcnt(0)
	v_and_b32_e32 v14, 0x7fffffff, v6
	s_mov_b32 s2, exec_lo
                                        ; implicit-def: $vgpr13
	s_delay_alu instid0(VALU_DEP_1)
	v_cmpx_gt_u32_e32 0x43f00000, v14
	s_xor_b32 s2, exec_lo, s2
	s_cbranch_execz .LBB356_34
; %bb.29:                               ;   in Loop: Header=BB356_4 Depth=1
	s_mov_b32 s19, exec_lo
                                        ; implicit-def: $vgpr13
	v_cmpx_lt_u32_e32 0x3c7fffff, v14
	s_xor_b32 s19, exec_lo, s19
; %bb.30:                               ;   in Loop: Header=BB356_4 Depth=1
	v_bfe_u32 v13, v6, 20, 1
	s_delay_alu instid0(VALU_DEP_1) | instskip(NEXT) | instid1(VALU_DEP_1)
	v_add3_u32 v13, v6, v13, 0x407ffff
	v_and_b32_e32 v14, 0xff00000, v13
	v_lshrrev_b32_e32 v13, 20, v13
	s_delay_alu instid0(VALU_DEP_2) | instskip(NEXT) | instid1(VALU_DEP_2)
	v_cmp_ne_u32_e32 vcc_lo, 0x7f00000, v14
	v_cndmask_b32_e32 v13, 0x7e, v13, vcc_lo
; %bb.31:                               ;   in Loop: Header=BB356_4 Depth=1
	s_and_not1_saveexec_b32 s19, s19
; %bb.32:                               ;   in Loop: Header=BB356_4 Depth=1
	v_add_f32_e64 v13, 0x46800000, |v6|
; %bb.33:                               ;   in Loop: Header=BB356_4 Depth=1
	s_or_b32 exec_lo, exec_lo, s19
                                        ; implicit-def: $vgpr14
.LBB356_34:                             ;   in Loop: Header=BB356_4 Depth=1
	s_and_not1_saveexec_b32 s2, s2
	s_cbranch_execz .LBB356_3
; %bb.35:                               ;   in Loop: Header=BB356_4 Depth=1
	v_cmp_lt_u32_e32 vcc_lo, 0x7f800000, v14
	v_cndmask_b32_e32 v13, 0x7e, v5, vcc_lo
	s_branch .LBB356_3
.LBB356_36:
	s_or_b32 exec_lo, exec_lo, s3
	s_mov_b32 s2, 0
.LBB356_37:
	s_delay_alu instid0(SALU_CYCLE_1)
	s_and_not1_b32 vcc_lo, exec_lo, s2
	s_cbranch_vccnz .LBB356_89
; %bb.38:
	v_cmp_lt_i64_e64 s2, s[4:5], 1
	s_delay_alu instid0(VALU_DEP_1)
	s_and_b32 vcc_lo, exec_lo, s2
	s_cbranch_vccnz .LBB356_89
; %bb.39:
	s_load_b32 s0, s[0:1], 0xc5c
	v_cmp_gt_u64_e64 s1, 0x10000, s[4:5]
	v_add_co_u32 v5, s2, s8, v0
	v_dual_mov_b32 v30, 0 :: v_dual_lshlrev_b32 v1, 3, v0
	v_add_co_ci_u32_e64 v6, null, s9, 0, s2
	s_delay_alu instid0(VALU_DEP_3) | instskip(SKIP_1) | instid1(VALU_DEP_3)
	v_add_co_u32 v14, vcc_lo, s6, v5
	v_dual_mov_b32 v13, 0 :: v_dual_mov_b32 v28, 0x7f
	v_add_co_ci_u32_e32 v15, vcc_lo, s7, v6, vcc_lo
	v_mov_b32_e32 v31, 0
	v_mov_b32_e32 v29, 0
	s_waitcnt lgkmcnt(0)
	s_and_b32 s0, s0, 0xffff
	s_and_b32 s1, s1, exec_lo
	s_cselect_b32 s3, s5, 0
	s_cselect_b32 s2, s4, 0x10000
	s_lshl_b64 s[10:11], s[10:11], 19
	s_lshl_b32 s14, s0, 1
	s_lshl_b32 s1, s0, 2
	s_add_u32 s12, s12, s10
	s_mul_i32 s15, s0, 3
	s_addc_u32 s13, s13, s11
	s_lshl_b32 s10, s0, 5
	v_add_co_u32 v1, s16, s12, v1
	s_add_u32 s11, s8, s15
	v_add_co_ci_u32_e64 v2, null, s13, 0, s16
	s_addc_u32 s16, s9, 0
	s_add_u32 s11, s6, s11
	s_addc_u32 s16, s7, s16
	v_add_co_u32 v16, s11, s11, v0
	s_delay_alu instid0(VALU_DEP_1)
	v_add_co_ci_u32_e64 v17, null, s16, 0, s11
	v_add_co_u32 v18, s11, s15, v0
	v_add_co_u32 v20, s15, v0, s0
	v_add_co_ci_u32_e64 v19, null, 0, 0, s11
	s_lshl_b32 s11, s0, 4
	s_add_u32 s8, s8, s14
	s_addc_u32 s9, s9, 0
	s_add_u32 s8, s6, s8
	v_lshlrev_b32_e32 v3, 3, v20
	s_addc_u32 s9, s7, s9
	v_add_co_u32 v21, s8, s8, v0
	s_delay_alu instid0(VALU_DEP_1)
	v_add_co_ci_u32_e64 v22, null, s9, 0, s8
	v_add_co_u32 v24, s8, s14, v0
	s_add_u32 s6, s6, s0
	v_add_co_ci_u32_e64 v25, null, 0, 0, s8
	v_add_co_u32 v3, s8, s12, v3
	s_addc_u32 s7, s7, 0
	v_add_co_u32 v26, vcc_lo, s6, v5
	v_add_co_ci_u32_e64 v23, null, 0, 0, s15
	v_add_co_ci_u32_e64 v4, null, s13, 0, s8
	v_add_co_ci_u32_e32 v27, vcc_lo, s7, v6, vcc_lo
	s_mul_i32 s8, s0, 24
	s_mov_b64 s[6:7], 0
	s_branch .LBB356_41
.LBB356_40:                             ;   in Loop: Header=BB356_41 Depth=1
	s_or_b32 exec_lo, exec_lo, s0
	s_add_u32 s6, s6, s1
	s_addc_u32 s7, s7, 0
	v_add_co_u32 v1, vcc_lo, v1, s10
	v_cmp_ge_i64_e64 s0, s[6:7], s[4:5]
	v_cmp_lt_u64_e64 s9, 0xffff, s[6:7]
	v_add_co_ci_u32_e32 v2, vcc_lo, 0, v2, vcc_lo
	v_add_co_u32 v3, vcc_lo, v3, s10
	v_add_co_ci_u32_e32 v4, vcc_lo, 0, v4, vcc_lo
	s_delay_alu instid0(VALU_DEP_4) | instskip(NEXT) | instid1(SALU_CYCLE_1)
	s_or_b32 s0, s0, s9
	s_and_b32 vcc_lo, exec_lo, s0
	s_cbranch_vccnz .LBB356_89
.LBB356_41:                             ; =>This Inner Loop Header: Depth=1
	v_add_co_u32 v5, s0, v0, s6
	s_delay_alu instid0(VALU_DEP_1) | instskip(NEXT) | instid1(VALU_DEP_1)
	v_add_co_ci_u32_e64 v6, null, 0, s7, s0
	v_cmp_gt_i64_e32 vcc_lo, s[4:5], v[5:6]
	v_cmp_gt_u64_e64 s0, 0x10000, v[5:6]
	s_delay_alu instid0(VALU_DEP_1) | instskip(NEXT) | instid1(SALU_CYCLE_1)
	s_and_b32 s9, vcc_lo, s0
	s_and_saveexec_b32 s0, s9
	s_cbranch_execz .LBB356_43
; %bb.42:                               ;   in Loop: Header=BB356_41 Depth=1
	global_load_b32 v30, v[1:2], off
.LBB356_43:                             ;   in Loop: Header=BB356_41 Depth=1
	s_or_b32 exec_lo, exec_lo, s0
	v_add_co_u32 v7, vcc_lo, v20, s6
	v_add_co_ci_u32_e32 v8, vcc_lo, s7, v23, vcc_lo
	s_delay_alu instid0(VALU_DEP_1) | instskip(SKIP_1) | instid1(VALU_DEP_1)
	v_cmp_gt_i64_e32 vcc_lo, s[4:5], v[7:8]
	v_cmp_gt_u64_e64 s0, 0x10000, v[7:8]
	s_and_b32 s9, vcc_lo, s0
	s_delay_alu instid0(SALU_CYCLE_1)
	s_and_saveexec_b32 s0, s9
	s_cbranch_execz .LBB356_45
; %bb.44:                               ;   in Loop: Header=BB356_41 Depth=1
	global_load_b32 v29, v[3:4], off
.LBB356_45:                             ;   in Loop: Header=BB356_41 Depth=1
	s_or_b32 exec_lo, exec_lo, s0
	v_add_co_u32 v9, vcc_lo, v24, s6
	v_add_co_ci_u32_e32 v10, vcc_lo, s7, v25, vcc_lo
	s_delay_alu instid0(VALU_DEP_1) | instskip(SKIP_1) | instid1(VALU_DEP_1)
	v_cmp_gt_i64_e32 vcc_lo, s[4:5], v[9:10]
	v_cmp_gt_u64_e64 s0, 0x10000, v[9:10]
	s_and_b32 s9, vcc_lo, s0
	s_delay_alu instid0(SALU_CYCLE_1)
	s_and_saveexec_b32 s0, s9
	s_cbranch_execz .LBB356_47
; %bb.46:                               ;   in Loop: Header=BB356_41 Depth=1
	v_add_co_u32 v11, vcc_lo, v1, s11
	v_add_co_ci_u32_e32 v12, vcc_lo, 0, v2, vcc_lo
	global_load_b32 v31, v[11:12], off
.LBB356_47:                             ;   in Loop: Header=BB356_41 Depth=1
	s_or_b32 exec_lo, exec_lo, s0
	v_add_co_u32 v11, vcc_lo, v18, s6
	v_add_co_ci_u32_e32 v12, vcc_lo, s7, v19, vcc_lo
	s_delay_alu instid0(VALU_DEP_1) | instskip(SKIP_1) | instid1(VALU_DEP_1)
	v_cmp_gt_i64_e32 vcc_lo, s[4:5], v[11:12]
	v_cmp_gt_u64_e64 s0, 0x10000, v[11:12]
	s_and_b32 s9, vcc_lo, s0
	s_delay_alu instid0(SALU_CYCLE_1)
	s_and_saveexec_b32 s0, s9
	s_cbranch_execz .LBB356_49
; %bb.48:                               ;   in Loop: Header=BB356_41 Depth=1
	v_add_co_u32 v32, vcc_lo, v1, s8
	v_add_co_ci_u32_e32 v33, vcc_lo, 0, v2, vcc_lo
	global_load_b32 v13, v[32:33], off
.LBB356_49:                             ;   in Loop: Header=BB356_41 Depth=1
	s_or_b32 exec_lo, exec_lo, s0
	s_waitcnt vmcnt(0)
	v_and_b32_e32 v33, 0x7fffffff, v30
	s_mov_b32 s0, exec_lo
                                        ; implicit-def: $vgpr32
	s_delay_alu instid0(VALU_DEP_1)
	v_cmpx_gt_u32_e32 0x43f00000, v33
	s_xor_b32 s0, exec_lo, s0
	s_cbranch_execz .LBB356_55
; %bb.50:                               ;   in Loop: Header=BB356_41 Depth=1
	s_mov_b32 s9, exec_lo
                                        ; implicit-def: $vgpr32
	v_cmpx_lt_u32_e32 0x3c7fffff, v33
	s_xor_b32 s9, exec_lo, s9
; %bb.51:                               ;   in Loop: Header=BB356_41 Depth=1
	v_bfe_u32 v32, v30, 20, 1
	s_delay_alu instid0(VALU_DEP_1) | instskip(NEXT) | instid1(VALU_DEP_1)
	v_add3_u32 v32, v30, v32, 0x407ffff
	v_and_b32_e32 v33, 0xff00000, v32
	v_lshrrev_b32_e32 v32, 20, v32
	s_delay_alu instid0(VALU_DEP_2) | instskip(NEXT) | instid1(VALU_DEP_2)
	v_cmp_ne_u32_e32 vcc_lo, 0x7f00000, v33
	v_cndmask_b32_e32 v32, 0x7e, v32, vcc_lo
; %bb.52:                               ;   in Loop: Header=BB356_41 Depth=1
	s_and_not1_saveexec_b32 s9, s9
; %bb.53:                               ;   in Loop: Header=BB356_41 Depth=1
	v_add_f32_e64 v32, 0x46800000, |v30|
; %bb.54:                               ;   in Loop: Header=BB356_41 Depth=1
	s_or_b32 exec_lo, exec_lo, s9
                                        ; implicit-def: $vgpr33
.LBB356_55:                             ;   in Loop: Header=BB356_41 Depth=1
	s_and_not1_saveexec_b32 s0, s0
; %bb.56:                               ;   in Loop: Header=BB356_41 Depth=1
	v_cmp_lt_u32_e32 vcc_lo, 0x7f800000, v33
	v_cndmask_b32_e32 v32, 0x7e, v28, vcc_lo
; %bb.57:                               ;   in Loop: Header=BB356_41 Depth=1
	s_or_b32 exec_lo, exec_lo, s0
	v_and_b32_e32 v34, 0x7fffffff, v29
	s_mov_b32 s0, exec_lo
                                        ; implicit-def: $vgpr33
	s_delay_alu instid0(VALU_DEP_1)
	v_cmpx_gt_u32_e32 0x43f00000, v34
	s_xor_b32 s0, exec_lo, s0
	s_cbranch_execz .LBB356_63
; %bb.58:                               ;   in Loop: Header=BB356_41 Depth=1
	s_mov_b32 s9, exec_lo
                                        ; implicit-def: $vgpr33
	v_cmpx_lt_u32_e32 0x3c7fffff, v34
	s_xor_b32 s9, exec_lo, s9
; %bb.59:                               ;   in Loop: Header=BB356_41 Depth=1
	v_bfe_u32 v33, v29, 20, 1
	s_delay_alu instid0(VALU_DEP_1) | instskip(NEXT) | instid1(VALU_DEP_1)
	v_add3_u32 v33, v29, v33, 0x407ffff
	v_and_b32_e32 v34, 0xff00000, v33
	v_lshrrev_b32_e32 v33, 20, v33
	s_delay_alu instid0(VALU_DEP_2) | instskip(NEXT) | instid1(VALU_DEP_2)
	v_cmp_ne_u32_e32 vcc_lo, 0x7f00000, v34
	v_cndmask_b32_e32 v33, 0x7e, v33, vcc_lo
; %bb.60:                               ;   in Loop: Header=BB356_41 Depth=1
	s_and_not1_saveexec_b32 s9, s9
; %bb.61:                               ;   in Loop: Header=BB356_41 Depth=1
	v_add_f32_e64 v33, 0x46800000, |v29|
; %bb.62:                               ;   in Loop: Header=BB356_41 Depth=1
	s_or_b32 exec_lo, exec_lo, s9
                                        ; implicit-def: $vgpr34
.LBB356_63:                             ;   in Loop: Header=BB356_41 Depth=1
	s_and_not1_saveexec_b32 s0, s0
; %bb.64:                               ;   in Loop: Header=BB356_41 Depth=1
	v_cmp_lt_u32_e32 vcc_lo, 0x7f800000, v34
	v_cndmask_b32_e32 v33, 0x7e, v28, vcc_lo
; %bb.65:                               ;   in Loop: Header=BB356_41 Depth=1
	s_or_b32 exec_lo, exec_lo, s0
	v_and_b32_e32 v35, 0x7fffffff, v31
	s_mov_b32 s0, exec_lo
                                        ; implicit-def: $vgpr34
	s_delay_alu instid0(VALU_DEP_1)
	v_cmpx_gt_u32_e32 0x43f00000, v35
	s_xor_b32 s0, exec_lo, s0
	s_cbranch_execz .LBB356_71
; %bb.66:                               ;   in Loop: Header=BB356_41 Depth=1
	s_mov_b32 s9, exec_lo
                                        ; implicit-def: $vgpr34
	v_cmpx_lt_u32_e32 0x3c7fffff, v35
	s_xor_b32 s9, exec_lo, s9
; %bb.67:                               ;   in Loop: Header=BB356_41 Depth=1
	v_bfe_u32 v34, v31, 20, 1
	s_delay_alu instid0(VALU_DEP_1) | instskip(NEXT) | instid1(VALU_DEP_1)
	v_add3_u32 v34, v31, v34, 0x407ffff
	v_and_b32_e32 v35, 0xff00000, v34
	v_lshrrev_b32_e32 v34, 20, v34
	s_delay_alu instid0(VALU_DEP_2) | instskip(NEXT) | instid1(VALU_DEP_2)
	v_cmp_ne_u32_e32 vcc_lo, 0x7f00000, v35
	v_cndmask_b32_e32 v34, 0x7e, v34, vcc_lo
; %bb.68:                               ;   in Loop: Header=BB356_41 Depth=1
	s_and_not1_saveexec_b32 s9, s9
; %bb.69:                               ;   in Loop: Header=BB356_41 Depth=1
	v_add_f32_e64 v34, 0x46800000, |v31|
; %bb.70:                               ;   in Loop: Header=BB356_41 Depth=1
	s_or_b32 exec_lo, exec_lo, s9
                                        ; implicit-def: $vgpr35
.LBB356_71:                             ;   in Loop: Header=BB356_41 Depth=1
	s_and_not1_saveexec_b32 s0, s0
; %bb.72:                               ;   in Loop: Header=BB356_41 Depth=1
	v_cmp_lt_u32_e32 vcc_lo, 0x7f800000, v35
	v_cndmask_b32_e32 v34, 0x7e, v28, vcc_lo
; %bb.73:                               ;   in Loop: Header=BB356_41 Depth=1
	s_or_b32 exec_lo, exec_lo, s0
	v_and_b32_e32 v36, 0x7fffffff, v13
	s_mov_b32 s0, exec_lo
                                        ; implicit-def: $vgpr35
	s_delay_alu instid0(VALU_DEP_1)
	v_cmpx_gt_u32_e32 0x43f00000, v36
	s_xor_b32 s0, exec_lo, s0
	s_cbranch_execz .LBB356_79
; %bb.74:                               ;   in Loop: Header=BB356_41 Depth=1
	s_mov_b32 s9, exec_lo
                                        ; implicit-def: $vgpr35
	v_cmpx_lt_u32_e32 0x3c7fffff, v36
	s_xor_b32 s9, exec_lo, s9
; %bb.75:                               ;   in Loop: Header=BB356_41 Depth=1
	v_bfe_u32 v35, v13, 20, 1
	s_delay_alu instid0(VALU_DEP_1) | instskip(NEXT) | instid1(VALU_DEP_1)
	v_add3_u32 v35, v13, v35, 0x407ffff
	v_and_b32_e32 v36, 0xff00000, v35
	v_lshrrev_b32_e32 v35, 20, v35
	s_delay_alu instid0(VALU_DEP_2) | instskip(NEXT) | instid1(VALU_DEP_2)
	v_cmp_ne_u32_e32 vcc_lo, 0x7f00000, v36
	v_cndmask_b32_e32 v35, 0x7e, v35, vcc_lo
; %bb.76:                               ;   in Loop: Header=BB356_41 Depth=1
	s_and_not1_saveexec_b32 s9, s9
; %bb.77:                               ;   in Loop: Header=BB356_41 Depth=1
	v_add_f32_e64 v35, 0x46800000, |v13|
; %bb.78:                               ;   in Loop: Header=BB356_41 Depth=1
	s_or_b32 exec_lo, exec_lo, s9
                                        ; implicit-def: $vgpr36
.LBB356_79:                             ;   in Loop: Header=BB356_41 Depth=1
	s_and_not1_saveexec_b32 s0, s0
; %bb.80:                               ;   in Loop: Header=BB356_41 Depth=1
	v_cmp_lt_u32_e32 vcc_lo, 0x7f800000, v36
	v_cndmask_b32_e32 v35, 0x7e, v28, vcc_lo
; %bb.81:                               ;   in Loop: Header=BB356_41 Depth=1
	s_or_b32 exec_lo, exec_lo, s0
	s_delay_alu instid0(SALU_CYCLE_1)
	s_mov_b32 s0, exec_lo
	v_cmpx_gt_u64_e64 s[2:3], v[5:6]
	s_xor_b32 s0, exec_lo, s0
	s_cbranch_execnz .LBB356_85
; %bb.82:                               ;   in Loop: Header=BB356_41 Depth=1
	s_or_b32 exec_lo, exec_lo, s0
	s_delay_alu instid0(SALU_CYCLE_1)
	s_mov_b32 s0, exec_lo
	v_cmpx_gt_u64_e64 s[2:3], v[7:8]
	s_cbranch_execnz .LBB356_86
.LBB356_83:                             ;   in Loop: Header=BB356_41 Depth=1
	s_or_b32 exec_lo, exec_lo, s0
	s_delay_alu instid0(SALU_CYCLE_1)
	s_mov_b32 s0, exec_lo
	v_cmpx_gt_u64_e64 s[2:3], v[9:10]
	s_cbranch_execnz .LBB356_87
.LBB356_84:                             ;   in Loop: Header=BB356_41 Depth=1
	s_or_b32 exec_lo, exec_lo, s0
	s_delay_alu instid0(SALU_CYCLE_1)
	s_mov_b32 s0, exec_lo
	v_cmpx_gt_u64_e64 s[2:3], v[11:12]
	s_cbranch_execz .LBB356_40
	s_branch .LBB356_88
.LBB356_85:                             ;   in Loop: Header=BB356_41 Depth=1
	v_lshrrev_b32_e32 v5, 24, v30
	s_delay_alu instid0(VALU_DEP_1) | instskip(SKIP_4) | instid1(SALU_CYCLE_1)
	v_and_or_b32 v32, 0x80, v5, v32
	v_add_co_u32 v5, vcc_lo, v14, s6
	v_add_co_ci_u32_e32 v6, vcc_lo, s7, v15, vcc_lo
	global_store_b8 v[5:6], v32, off
	s_or_b32 exec_lo, exec_lo, s0
	s_mov_b32 s0, exec_lo
	v_cmpx_gt_u64_e64 s[2:3], v[7:8]
	s_cbranch_execz .LBB356_83
.LBB356_86:                             ;   in Loop: Header=BB356_41 Depth=1
	v_lshrrev_b32_e32 v5, 24, v29
	s_delay_alu instid0(VALU_DEP_1) | instskip(SKIP_4) | instid1(SALU_CYCLE_1)
	v_and_or_b32 v7, 0x80, v5, v33
	v_add_co_u32 v5, vcc_lo, v26, s6
	v_add_co_ci_u32_e32 v6, vcc_lo, s7, v27, vcc_lo
	global_store_b8 v[5:6], v7, off
	s_or_b32 exec_lo, exec_lo, s0
	s_mov_b32 s0, exec_lo
	v_cmpx_gt_u64_e64 s[2:3], v[9:10]
	s_cbranch_execz .LBB356_84
.LBB356_87:                             ;   in Loop: Header=BB356_41 Depth=1
	v_lshrrev_b32_e32 v5, 24, v31
	s_delay_alu instid0(VALU_DEP_1) | instskip(SKIP_4) | instid1(SALU_CYCLE_1)
	v_and_or_b32 v7, 0x80, v5, v34
	v_add_co_u32 v5, vcc_lo, v21, s6
	v_add_co_ci_u32_e32 v6, vcc_lo, s7, v22, vcc_lo
	global_store_b8 v[5:6], v7, off
	s_or_b32 exec_lo, exec_lo, s0
	s_mov_b32 s0, exec_lo
	v_cmpx_gt_u64_e64 s[2:3], v[11:12]
	s_cbranch_execz .LBB356_40
.LBB356_88:                             ;   in Loop: Header=BB356_41 Depth=1
	v_lshrrev_b32_e32 v5, 24, v13
	s_delay_alu instid0(VALU_DEP_1)
	v_and_or_b32 v7, 0x80, v5, v35
	v_add_co_u32 v5, vcc_lo, v16, s6
	v_add_co_ci_u32_e32 v6, vcc_lo, s7, v17, vcc_lo
	global_store_b8 v[5:6], v7, off
	s_branch .LBB356_40
.LBB356_89:
	s_nop 0
	s_sendmsg sendmsg(MSG_DEALLOC_VGPRS)
	s_endpgm
	.section	.rodata,"a",@progbits
	.p2align	6, 0x0
	.amdhsa_kernel _ZN2at6native12_GLOBAL__N_125multi_tensor_apply_kernelINS1_18TensorListMetadataILi2EEENS1_11CopyFunctorIN3c1013Float8_e4m3fnENS6_7complexIfEELi2ELi1ELi1EEEJNS0_4CopyIS7_S9_EEEEEvT_T0_DpT1_
		.amdhsa_group_segment_fixed_size 0
		.amdhsa_private_segment_fixed_size 0
		.amdhsa_kernarg_size 3408
		.amdhsa_user_sgpr_count 15
		.amdhsa_user_sgpr_dispatch_ptr 0
		.amdhsa_user_sgpr_queue_ptr 0
		.amdhsa_user_sgpr_kernarg_segment_ptr 1
		.amdhsa_user_sgpr_dispatch_id 0
		.amdhsa_user_sgpr_private_segment_size 0
		.amdhsa_wavefront_size32 1
		.amdhsa_uses_dynamic_stack 0
		.amdhsa_enable_private_segment 0
		.amdhsa_system_sgpr_workgroup_id_x 1
		.amdhsa_system_sgpr_workgroup_id_y 0
		.amdhsa_system_sgpr_workgroup_id_z 0
		.amdhsa_system_sgpr_workgroup_info 0
		.amdhsa_system_vgpr_workitem_id 0
		.amdhsa_next_free_vgpr 37
		.amdhsa_next_free_sgpr 20
		.amdhsa_reserve_vcc 1
		.amdhsa_float_round_mode_32 0
		.amdhsa_float_round_mode_16_64 0
		.amdhsa_float_denorm_mode_32 3
		.amdhsa_float_denorm_mode_16_64 3
		.amdhsa_dx10_clamp 1
		.amdhsa_ieee_mode 1
		.amdhsa_fp16_overflow 0
		.amdhsa_workgroup_processor_mode 1
		.amdhsa_memory_ordered 1
		.amdhsa_forward_progress 0
		.amdhsa_shared_vgpr_count 0
		.amdhsa_exception_fp_ieee_invalid_op 0
		.amdhsa_exception_fp_denorm_src 0
		.amdhsa_exception_fp_ieee_div_zero 0
		.amdhsa_exception_fp_ieee_overflow 0
		.amdhsa_exception_fp_ieee_underflow 0
		.amdhsa_exception_fp_ieee_inexact 0
		.amdhsa_exception_int_div_zero 0
	.end_amdhsa_kernel
	.section	.text._ZN2at6native12_GLOBAL__N_125multi_tensor_apply_kernelINS1_18TensorListMetadataILi2EEENS1_11CopyFunctorIN3c1013Float8_e4m3fnENS6_7complexIfEELi2ELi1ELi1EEEJNS0_4CopyIS7_S9_EEEEEvT_T0_DpT1_,"axG",@progbits,_ZN2at6native12_GLOBAL__N_125multi_tensor_apply_kernelINS1_18TensorListMetadataILi2EEENS1_11CopyFunctorIN3c1013Float8_e4m3fnENS6_7complexIfEELi2ELi1ELi1EEEJNS0_4CopyIS7_S9_EEEEEvT_T0_DpT1_,comdat
.Lfunc_end356:
	.size	_ZN2at6native12_GLOBAL__N_125multi_tensor_apply_kernelINS1_18TensorListMetadataILi2EEENS1_11CopyFunctorIN3c1013Float8_e4m3fnENS6_7complexIfEELi2ELi1ELi1EEEJNS0_4CopyIS7_S9_EEEEEvT_T0_DpT1_, .Lfunc_end356-_ZN2at6native12_GLOBAL__N_125multi_tensor_apply_kernelINS1_18TensorListMetadataILi2EEENS1_11CopyFunctorIN3c1013Float8_e4m3fnENS6_7complexIfEELi2ELi1ELi1EEEJNS0_4CopyIS7_S9_EEEEEvT_T0_DpT1_
                                        ; -- End function
	.section	.AMDGPU.csdata,"",@progbits
; Kernel info:
; codeLenInByte = 2760
; NumSgprs: 22
; NumVgprs: 37
; ScratchSize: 0
; MemoryBound: 0
; FloatMode: 240
; IeeeMode: 1
; LDSByteSize: 0 bytes/workgroup (compile time only)
; SGPRBlocks: 2
; VGPRBlocks: 4
; NumSGPRsForWavesPerEU: 22
; NumVGPRsForWavesPerEU: 37
; Occupancy: 16
; WaveLimiterHint : 0
; COMPUTE_PGM_RSRC2:SCRATCH_EN: 0
; COMPUTE_PGM_RSRC2:USER_SGPR: 15
; COMPUTE_PGM_RSRC2:TRAP_HANDLER: 0
; COMPUTE_PGM_RSRC2:TGID_X_EN: 1
; COMPUTE_PGM_RSRC2:TGID_Y_EN: 0
; COMPUTE_PGM_RSRC2:TGID_Z_EN: 0
; COMPUTE_PGM_RSRC2:TIDIG_COMP_CNT: 0
	.section	.text._ZN2at6native12_GLOBAL__N_125multi_tensor_apply_kernelINS1_18TensorListMetadataILi2EEENS1_11CopyFunctorIN3c1013Float8_e4m3fnENS6_4HalfELi2ELi1ELi1EEEJNS0_4CopyIS7_S8_EEEEEvT_T0_DpT1_,"axG",@progbits,_ZN2at6native12_GLOBAL__N_125multi_tensor_apply_kernelINS1_18TensorListMetadataILi2EEENS1_11CopyFunctorIN3c1013Float8_e4m3fnENS6_4HalfELi2ELi1ELi1EEEJNS0_4CopyIS7_S8_EEEEEvT_T0_DpT1_,comdat
	.globl	_ZN2at6native12_GLOBAL__N_125multi_tensor_apply_kernelINS1_18TensorListMetadataILi2EEENS1_11CopyFunctorIN3c1013Float8_e4m3fnENS6_4HalfELi2ELi1ELi1EEEJNS0_4CopyIS7_S8_EEEEEvT_T0_DpT1_ ; -- Begin function _ZN2at6native12_GLOBAL__N_125multi_tensor_apply_kernelINS1_18TensorListMetadataILi2EEENS1_11CopyFunctorIN3c1013Float8_e4m3fnENS6_4HalfELi2ELi1ELi1EEEJNS0_4CopyIS7_S8_EEEEEvT_T0_DpT1_
	.p2align	8
	.type	_ZN2at6native12_GLOBAL__N_125multi_tensor_apply_kernelINS1_18TensorListMetadataILi2EEENS1_11CopyFunctorIN3c1013Float8_e4m3fnENS6_4HalfELi2ELi1ELi1EEEJNS0_4CopyIS7_S8_EEEEEvT_T0_DpT1_,@function
_ZN2at6native12_GLOBAL__N_125multi_tensor_apply_kernelINS1_18TensorListMetadataILi2EEENS1_11CopyFunctorIN3c1013Float8_e4m3fnENS6_4HalfELi2ELi1ELi1EEEJNS0_4CopyIS7_S8_EEEEEvT_T0_DpT1_: ; @_ZN2at6native12_GLOBAL__N_125multi_tensor_apply_kernelINS1_18TensorListMetadataILi2EEENS1_11CopyFunctorIN3c1013Float8_e4m3fnENS6_4HalfELi2ELi1ELi1EEEJNS0_4CopyIS7_S8_EEEEEvT_T0_DpT1_
; %bb.0:
	v_mov_b32_e32 v1, s15
	s_add_u32 s2, s0, s15
	s_mul_i32 s4, s15, 3
	s_addc_u32 s3, s1, 0
	s_mul_hi_u32 s5, s15, 3
	global_load_u8 v1, v1, s[0:1] offset:1536
	s_add_u32 s2, s2, s4
	s_addc_u32 s3, s3, s5
	s_mov_b32 s17, 0
	s_load_b32 s10, s[2:3], 0x740
	s_waitcnt lgkmcnt(0)
	s_ashr_i32 s11, s10, 31
	s_delay_alu instid0(SALU_CYCLE_1) | instskip(SKIP_2) | instid1(VALU_DEP_1)
	s_lshl_b64 s[8:9], s[10:11], 16
	s_waitcnt vmcnt(0)
	v_readfirstlane_b32 s4, v1
	s_lshl_b32 s4, s4, 3
	s_clause 0x2
	s_load_b64 s[6:7], s[0:1], s4 offset:0x200
	s_load_b64 s[2:3], s[0:1], s4 offset:0x400
	s_load_b64 s[12:13], s[0:1], s4 offset:0x0
	s_waitcnt lgkmcnt(0)
	s_add_u32 s14, s6, s8
	s_addc_u32 s15, s7, s9
	s_delay_alu instid0(SALU_CYCLE_1) | instskip(SKIP_2) | instid1(SALU_CYCLE_1)
	s_or_b64 s[4:5], s[2:3], s[14:15]
	s_and_b32 s5, s12, 7
	s_and_b32 s4, s4, 3
	s_or_b32 s16, s4, s5
	s_sub_u32 s4, s2, s8
	s_subb_u32 s5, s3, s9
	s_cmp_eq_u64 s[16:17], 0
	s_mov_b32 s2, -1
	s_cbranch_scc0 .LBB357_37
; %bb.1:
	v_dual_mov_b32 v2, 0 :: v_dual_lshlrev_b32 v1, 2, v0
	s_mov_b32 s3, exec_lo
	s_delay_alu instid0(VALU_DEP_1)
	v_cmpx_gt_i64_e64 s[4:5], v[1:2]
	s_cbranch_execz .LBB357_36
; %bb.2:
	s_load_b32 s2, s[0:1], 0xc5c
	v_lshlrev_b32_e32 v3, 3, v0
	s_lshl_b64 s[18:19], s[10:11], 17
	v_mov_b32_e32 v7, 0x7f
	s_waitcnt lgkmcnt(0)
	s_and_b32 s2, s2, 0xffff
	s_delay_alu instid0(SALU_CYCLE_1) | instskip(SKIP_3) | instid1(VALU_DEP_1)
	s_lshl_b32 s16, s2, 2
	s_add_u32 s17, s12, s18
	s_addc_u32 s18, s13, s19
	v_add_co_u32 v3, s17, s17, v3
	v_add_co_ci_u32_e64 v4, null, s18, 0, s17
	s_mov_b32 s17, 0
	s_lshl_b32 s18, s2, 3
	s_branch .LBB357_4
.LBB357_3:                              ;   in Loop: Header=BB357_4 Depth=1
	s_or_b32 exec_lo, exec_lo, s2
	v_lshrrev_b32_e32 v11, 24, v11
	v_lshrrev_b32_e32 v5, 24, v5
	v_add_co_u32 v14, vcc_lo, s14, v1
	v_add_co_ci_u32_e32 v15, vcc_lo, s15, v2, vcc_lo
	s_delay_alu instid0(VALU_DEP_4) | instskip(NEXT) | instid1(VALU_DEP_4)
	v_and_b32_e32 v11, 0x80, v11
	v_and_b32_e32 v5, 0x80, v5
	v_add_co_u32 v1, vcc_lo, s16, v1
	v_add_co_ci_u32_e32 v2, vcc_lo, 0, v2, vcc_lo
	s_delay_alu instid0(VALU_DEP_4)
	v_and_or_b32 v11, 0xff, v12, v11
	v_lshrrev_b32_e32 v9, 24, v9
	v_lshlrev_b32_e32 v13, 24, v13
	v_and_or_b32 v5, 0xff, v10, v5
	v_and_b32_e32 v6, 0x80000000, v6
	v_and_b32_e32 v8, 0xff, v8
	v_lshlrev_b32_e32 v10, 16, v11
	v_cmp_le_i64_e32 vcc_lo, s[4:5], v[1:2]
	v_cmp_lt_u64_e64 s2, 0xffff, v[1:2]
	v_lshlrev_b32_e32 v5, 8, v5
	v_and_or_b32 v8, 0x80, v9, v8
	v_or3_b32 v6, v6, v13, v10
	s_delay_alu instid0(VALU_DEP_4) | instskip(SKIP_1) | instid1(VALU_DEP_2)
	s_or_b32 s2, vcc_lo, s2
	v_add_co_u32 v3, vcc_lo, v3, s18
	v_or3_b32 v5, v6, v5, v8
	v_add_co_ci_u32_e32 v4, vcc_lo, 0, v4, vcc_lo
	s_and_b32 s2, exec_lo, s2
	s_delay_alu instid0(SALU_CYCLE_1)
	s_or_b32 s17, s2, s17
	global_store_b32 v[14:15], v5, off
	s_and_not1_b32 exec_lo, exec_lo, s17
	s_cbranch_execz .LBB357_36
.LBB357_4:                              ; =>This Inner Loop Header: Depth=1
	global_load_b64 v[5:6], v[3:4], off
	s_mov_b32 s2, exec_lo
                                        ; implicit-def: $vgpr8
	s_waitcnt vmcnt(0)
	v_cvt_f32_f16_e32 v9, v5
	s_delay_alu instid0(VALU_DEP_1) | instskip(NEXT) | instid1(VALU_DEP_1)
	v_and_b32_e32 v10, 0x7fffffff, v9
	v_cmpx_gt_u32_e32 0x43f00000, v10
	s_xor_b32 s2, exec_lo, s2
	s_cbranch_execz .LBB357_10
; %bb.5:                                ;   in Loop: Header=BB357_4 Depth=1
	s_mov_b32 s19, exec_lo
                                        ; implicit-def: $vgpr8
	v_cmpx_lt_u32_e32 0x3c7fffff, v10
	s_xor_b32 s19, exec_lo, s19
; %bb.6:                                ;   in Loop: Header=BB357_4 Depth=1
	v_bfe_u32 v8, v9, 20, 1
	s_delay_alu instid0(VALU_DEP_1) | instskip(NEXT) | instid1(VALU_DEP_1)
	v_add3_u32 v8, v9, v8, 0x407ffff
	v_and_b32_e32 v10, 0xff00000, v8
	v_lshrrev_b32_e32 v8, 20, v8
	s_delay_alu instid0(VALU_DEP_2) | instskip(NEXT) | instid1(VALU_DEP_2)
	v_cmp_ne_u32_e32 vcc_lo, 0x7f00000, v10
	v_cndmask_b32_e32 v8, 0x7e, v8, vcc_lo
; %bb.7:                                ;   in Loop: Header=BB357_4 Depth=1
	s_and_not1_saveexec_b32 s19, s19
; %bb.8:                                ;   in Loop: Header=BB357_4 Depth=1
	v_add_f32_e64 v8, 0x46800000, |v9|
; %bb.9:                                ;   in Loop: Header=BB357_4 Depth=1
	s_or_b32 exec_lo, exec_lo, s19
                                        ; implicit-def: $vgpr10
.LBB357_10:                             ;   in Loop: Header=BB357_4 Depth=1
	s_and_not1_saveexec_b32 s2, s2
; %bb.11:                               ;   in Loop: Header=BB357_4 Depth=1
	v_cmp_lt_u32_e32 vcc_lo, 0x7f800000, v10
	v_cndmask_b32_e32 v8, 0x7e, v7, vcc_lo
; %bb.12:                               ;   in Loop: Header=BB357_4 Depth=1
	s_or_b32 exec_lo, exec_lo, s2
	v_lshrrev_b32_e32 v5, 16, v5
	s_mov_b32 s2, exec_lo
                                        ; implicit-def: $vgpr10
	s_delay_alu instid0(VALU_DEP_1) | instskip(NEXT) | instid1(VALU_DEP_1)
	v_cvt_f32_f16_e32 v5, v5
	v_and_b32_e32 v11, 0x7fffffff, v5
	s_delay_alu instid0(VALU_DEP_1)
	v_cmpx_gt_u32_e32 0x43f00000, v11
	s_xor_b32 s2, exec_lo, s2
	s_cbranch_execz .LBB357_18
; %bb.13:                               ;   in Loop: Header=BB357_4 Depth=1
	s_mov_b32 s19, exec_lo
                                        ; implicit-def: $vgpr10
	v_cmpx_lt_u32_e32 0x3c7fffff, v11
	s_xor_b32 s19, exec_lo, s19
; %bb.14:                               ;   in Loop: Header=BB357_4 Depth=1
	v_bfe_u32 v10, v5, 20, 1
	s_delay_alu instid0(VALU_DEP_1) | instskip(NEXT) | instid1(VALU_DEP_1)
	v_add3_u32 v10, v5, v10, 0x407ffff
	v_and_b32_e32 v11, 0xff00000, v10
	v_lshrrev_b32_e32 v10, 20, v10
	s_delay_alu instid0(VALU_DEP_2) | instskip(NEXT) | instid1(VALU_DEP_2)
	v_cmp_ne_u32_e32 vcc_lo, 0x7f00000, v11
	v_cndmask_b32_e32 v10, 0x7e, v10, vcc_lo
; %bb.15:                               ;   in Loop: Header=BB357_4 Depth=1
	s_and_not1_saveexec_b32 s19, s19
; %bb.16:                               ;   in Loop: Header=BB357_4 Depth=1
	v_add_f32_e64 v10, 0x46800000, |v5|
; %bb.17:                               ;   in Loop: Header=BB357_4 Depth=1
	s_or_b32 exec_lo, exec_lo, s19
                                        ; implicit-def: $vgpr11
.LBB357_18:                             ;   in Loop: Header=BB357_4 Depth=1
	s_and_not1_saveexec_b32 s2, s2
; %bb.19:                               ;   in Loop: Header=BB357_4 Depth=1
	v_cmp_lt_u32_e32 vcc_lo, 0x7f800000, v11
	v_cndmask_b32_e32 v10, 0x7e, v7, vcc_lo
; %bb.20:                               ;   in Loop: Header=BB357_4 Depth=1
	s_or_b32 exec_lo, exec_lo, s2
	v_cvt_f32_f16_e32 v11, v6
	s_mov_b32 s2, exec_lo
                                        ; implicit-def: $vgpr12
	s_delay_alu instid0(VALU_DEP_1) | instskip(NEXT) | instid1(VALU_DEP_1)
	v_and_b32_e32 v13, 0x7fffffff, v11
	v_cmpx_gt_u32_e32 0x43f00000, v13
	s_xor_b32 s2, exec_lo, s2
	s_cbranch_execz .LBB357_26
; %bb.21:                               ;   in Loop: Header=BB357_4 Depth=1
	s_mov_b32 s19, exec_lo
                                        ; implicit-def: $vgpr12
	v_cmpx_lt_u32_e32 0x3c7fffff, v13
	s_xor_b32 s19, exec_lo, s19
; %bb.22:                               ;   in Loop: Header=BB357_4 Depth=1
	v_bfe_u32 v12, v11, 20, 1
	s_delay_alu instid0(VALU_DEP_1) | instskip(NEXT) | instid1(VALU_DEP_1)
	v_add3_u32 v12, v11, v12, 0x407ffff
	v_and_b32_e32 v13, 0xff00000, v12
	v_lshrrev_b32_e32 v12, 20, v12
	s_delay_alu instid0(VALU_DEP_2) | instskip(NEXT) | instid1(VALU_DEP_2)
	v_cmp_ne_u32_e32 vcc_lo, 0x7f00000, v13
	v_cndmask_b32_e32 v12, 0x7e, v12, vcc_lo
; %bb.23:                               ;   in Loop: Header=BB357_4 Depth=1
	s_and_not1_saveexec_b32 s19, s19
; %bb.24:                               ;   in Loop: Header=BB357_4 Depth=1
	v_add_f32_e64 v12, 0x46800000, |v11|
; %bb.25:                               ;   in Loop: Header=BB357_4 Depth=1
	s_or_b32 exec_lo, exec_lo, s19
                                        ; implicit-def: $vgpr13
.LBB357_26:                             ;   in Loop: Header=BB357_4 Depth=1
	s_and_not1_saveexec_b32 s2, s2
; %bb.27:                               ;   in Loop: Header=BB357_4 Depth=1
	v_cmp_lt_u32_e32 vcc_lo, 0x7f800000, v13
	v_cndmask_b32_e32 v12, 0x7e, v7, vcc_lo
; %bb.28:                               ;   in Loop: Header=BB357_4 Depth=1
	s_or_b32 exec_lo, exec_lo, s2
	v_lshrrev_b32_e32 v6, 16, v6
	s_mov_b32 s2, exec_lo
                                        ; implicit-def: $vgpr13
	s_delay_alu instid0(VALU_DEP_1) | instskip(NEXT) | instid1(VALU_DEP_1)
	v_cvt_f32_f16_e32 v6, v6
	v_and_b32_e32 v14, 0x7fffffff, v6
	s_delay_alu instid0(VALU_DEP_1)
	v_cmpx_gt_u32_e32 0x43f00000, v14
	s_xor_b32 s2, exec_lo, s2
	s_cbranch_execz .LBB357_34
; %bb.29:                               ;   in Loop: Header=BB357_4 Depth=1
	s_mov_b32 s19, exec_lo
                                        ; implicit-def: $vgpr13
	v_cmpx_lt_u32_e32 0x3c7fffff, v14
	s_xor_b32 s19, exec_lo, s19
; %bb.30:                               ;   in Loop: Header=BB357_4 Depth=1
	v_bfe_u32 v13, v6, 20, 1
	s_delay_alu instid0(VALU_DEP_1) | instskip(NEXT) | instid1(VALU_DEP_1)
	v_add3_u32 v13, v6, v13, 0x407ffff
	v_and_b32_e32 v14, 0xff00000, v13
	v_lshrrev_b32_e32 v13, 20, v13
	s_delay_alu instid0(VALU_DEP_2) | instskip(NEXT) | instid1(VALU_DEP_2)
	v_cmp_ne_u32_e32 vcc_lo, 0x7f00000, v14
	v_cndmask_b32_e32 v13, 0x7e, v13, vcc_lo
; %bb.31:                               ;   in Loop: Header=BB357_4 Depth=1
	s_and_not1_saveexec_b32 s19, s19
; %bb.32:                               ;   in Loop: Header=BB357_4 Depth=1
	v_add_f32_e64 v13, 0x46800000, |v6|
; %bb.33:                               ;   in Loop: Header=BB357_4 Depth=1
	s_or_b32 exec_lo, exec_lo, s19
                                        ; implicit-def: $vgpr14
.LBB357_34:                             ;   in Loop: Header=BB357_4 Depth=1
	s_and_not1_saveexec_b32 s2, s2
	s_cbranch_execz .LBB357_3
; %bb.35:                               ;   in Loop: Header=BB357_4 Depth=1
	v_cmp_lt_u32_e32 vcc_lo, 0x7f800000, v14
	v_cndmask_b32_e32 v13, 0x7e, v7, vcc_lo
	s_branch .LBB357_3
.LBB357_36:
	s_or_b32 exec_lo, exec_lo, s3
	s_mov_b32 s2, 0
.LBB357_37:
	s_delay_alu instid0(SALU_CYCLE_1)
	s_and_not1_b32 vcc_lo, exec_lo, s2
	s_cbranch_vccnz .LBB357_89
; %bb.38:
	v_cmp_lt_i64_e64 s2, s[4:5], 1
	s_delay_alu instid0(VALU_DEP_1)
	s_and_b32 vcc_lo, exec_lo, s2
	s_cbranch_vccnz .LBB357_89
; %bb.39:
	s_load_b32 s0, s[0:1], 0xc5c
	v_cmp_gt_u64_e64 s1, 0x10000, s[4:5]
	v_add_co_u32 v5, s2, s8, v0
	v_lshlrev_b32_e32 v1, 1, v0
	v_add_co_ci_u32_e64 v6, null, s9, 0, s2
	s_delay_alu instid0(VALU_DEP_3) | instskip(SKIP_1) | instid1(VALU_DEP_3)
	v_add_co_u32 v13, vcc_lo, s6, v5
	v_mov_b32_e32 v27, 0x7f
	v_add_co_ci_u32_e32 v14, vcc_lo, s7, v6, vcc_lo
                                        ; implicit-def: $vgpr30
                                        ; implicit-def: $vgpr31
                                        ; implicit-def: $vgpr28
                                        ; implicit-def: $vgpr29
	s_waitcnt lgkmcnt(0)
	s_and_b32 s0, s0, 0xffff
	s_and_b32 s1, s1, exec_lo
	s_cselect_b32 s3, s5, 0
	s_cselect_b32 s2, s4, 0x10000
	s_lshl_b64 s[10:11], s[10:11], 17
	s_lshl_b32 s14, s0, 1
	s_lshl_b32 s1, s0, 2
	s_add_u32 s12, s12, s10
	s_mul_i32 s15, s0, 3
	s_addc_u32 s11, s13, s11
	s_lshl_b32 s10, s0, 3
	v_add_co_u32 v1, s16, s12, v1
	s_add_u32 s13, s8, s15
	v_add_co_ci_u32_e64 v2, null, s11, 0, s16
	s_addc_u32 s16, s9, 0
	s_add_u32 s13, s6, s13
	s_addc_u32 s16, s7, s16
	v_add_co_u32 v15, s13, s13, v0
	s_delay_alu instid0(VALU_DEP_1) | instskip(SKIP_1) | instid1(VALU_DEP_1)
	v_add_co_ci_u32_e64 v16, null, s16, 0, s13
	v_add_co_u32 v17, s13, s15, v0
	v_add_co_ci_u32_e64 v18, null, 0, 0, s13
	v_add_co_u32 v19, s13, v0, s0
	s_add_u32 s8, s8, s14
	s_addc_u32 s9, s9, 0
	s_add_u32 s8, s6, s8
	s_delay_alu instid0(VALU_DEP_1) | instskip(SKIP_2) | instid1(VALU_DEP_1)
	v_lshlrev_b32_e32 v3, 1, v19
	s_addc_u32 s9, s7, s9
	v_add_co_u32 v20, s8, s8, v0
	v_add_co_ci_u32_e64 v21, null, s9, 0, s8
	v_add_co_u32 v23, s8, s14, v0
	s_add_u32 s6, s6, s0
	v_add_co_ci_u32_e64 v24, null, 0, 0, s8
	v_add_co_u32 v3, s8, s12, v3
	s_addc_u32 s7, s7, 0
	v_add_co_u32 v25, vcc_lo, s6, v5
	v_add_co_ci_u32_e64 v22, null, 0, 0, s13
	v_add_co_ci_u32_e64 v4, null, s11, 0, s8
	v_add_co_ci_u32_e32 v26, vcc_lo, s7, v6, vcc_lo
	s_mul_i32 s8, s0, 6
	s_mov_b64 s[6:7], 0
	s_branch .LBB357_41
.LBB357_40:                             ;   in Loop: Header=BB357_41 Depth=1
	s_or_b32 exec_lo, exec_lo, s0
	s_add_u32 s6, s6, s1
	s_addc_u32 s7, s7, 0
	v_add_co_u32 v1, vcc_lo, v1, s10
	v_cmp_ge_i64_e64 s0, s[6:7], s[4:5]
	v_cmp_lt_u64_e64 s9, 0xffff, s[6:7]
	v_add_co_ci_u32_e32 v2, vcc_lo, 0, v2, vcc_lo
	v_add_co_u32 v3, vcc_lo, v3, s10
	v_add_co_ci_u32_e32 v4, vcc_lo, 0, v4, vcc_lo
	s_delay_alu instid0(VALU_DEP_4) | instskip(NEXT) | instid1(SALU_CYCLE_1)
	s_or_b32 s0, s0, s9
	s_and_b32 vcc_lo, exec_lo, s0
	s_cbranch_vccnz .LBB357_89
.LBB357_41:                             ; =>This Inner Loop Header: Depth=1
	v_add_co_u32 v5, s0, v0, s6
	s_delay_alu instid0(VALU_DEP_1) | instskip(NEXT) | instid1(VALU_DEP_1)
	v_add_co_ci_u32_e64 v6, null, 0, s7, s0
	v_cmp_gt_i64_e32 vcc_lo, s[4:5], v[5:6]
	v_cmp_gt_u64_e64 s0, 0x10000, v[5:6]
	s_delay_alu instid0(VALU_DEP_1) | instskip(NEXT) | instid1(SALU_CYCLE_1)
	s_and_b32 s9, vcc_lo, s0
	s_and_saveexec_b32 s0, s9
	s_cbranch_execz .LBB357_43
; %bb.42:                               ;   in Loop: Header=BB357_41 Depth=1
	global_load_u16 v29, v[1:2], off
.LBB357_43:                             ;   in Loop: Header=BB357_41 Depth=1
	s_or_b32 exec_lo, exec_lo, s0
	v_add_co_u32 v7, vcc_lo, v19, s6
	v_add_co_ci_u32_e32 v8, vcc_lo, s7, v22, vcc_lo
	s_delay_alu instid0(VALU_DEP_1) | instskip(SKIP_1) | instid1(VALU_DEP_1)
	v_cmp_gt_i64_e32 vcc_lo, s[4:5], v[7:8]
	v_cmp_gt_u64_e64 s0, 0x10000, v[7:8]
	s_and_b32 s9, vcc_lo, s0
	s_delay_alu instid0(SALU_CYCLE_1)
	s_and_saveexec_b32 s0, s9
	s_cbranch_execz .LBB357_45
; %bb.44:                               ;   in Loop: Header=BB357_41 Depth=1
	global_load_u16 v28, v[3:4], off
.LBB357_45:                             ;   in Loop: Header=BB357_41 Depth=1
	s_or_b32 exec_lo, exec_lo, s0
	v_add_co_u32 v9, vcc_lo, v23, s6
	v_add_co_ci_u32_e32 v10, vcc_lo, s7, v24, vcc_lo
	s_delay_alu instid0(VALU_DEP_1) | instskip(SKIP_1) | instid1(VALU_DEP_1)
	v_cmp_gt_i64_e32 vcc_lo, s[4:5], v[9:10]
	v_cmp_gt_u64_e64 s0, 0x10000, v[9:10]
	s_and_b32 s9, vcc_lo, s0
	s_delay_alu instid0(SALU_CYCLE_1)
	s_and_saveexec_b32 s0, s9
	s_cbranch_execz .LBB357_47
; %bb.46:                               ;   in Loop: Header=BB357_41 Depth=1
	v_add_co_u32 v11, vcc_lo, v1, s1
	v_add_co_ci_u32_e32 v12, vcc_lo, 0, v2, vcc_lo
	global_load_u16 v31, v[11:12], off
.LBB357_47:                             ;   in Loop: Header=BB357_41 Depth=1
	s_or_b32 exec_lo, exec_lo, s0
	v_add_co_u32 v11, vcc_lo, v17, s6
	v_add_co_ci_u32_e32 v12, vcc_lo, s7, v18, vcc_lo
	s_delay_alu instid0(VALU_DEP_1) | instskip(SKIP_1) | instid1(VALU_DEP_1)
	v_cmp_gt_i64_e32 vcc_lo, s[4:5], v[11:12]
	v_cmp_gt_u64_e64 s0, 0x10000, v[11:12]
	s_and_b32 s9, vcc_lo, s0
	s_delay_alu instid0(SALU_CYCLE_1)
	s_and_saveexec_b32 s0, s9
	s_cbranch_execz .LBB357_49
; %bb.48:                               ;   in Loop: Header=BB357_41 Depth=1
	v_add_co_u32 v32, vcc_lo, v1, s8
	v_add_co_ci_u32_e32 v33, vcc_lo, 0, v2, vcc_lo
	global_load_u16 v30, v[32:33], off
.LBB357_49:                             ;   in Loop: Header=BB357_41 Depth=1
	s_or_b32 exec_lo, exec_lo, s0
	s_waitcnt vmcnt(0)
	v_cvt_f32_f16_e32 v32, v29
	s_mov_b32 s0, exec_lo
                                        ; implicit-def: $vgpr33
	s_delay_alu instid0(VALU_DEP_1) | instskip(NEXT) | instid1(VALU_DEP_1)
	v_and_b32_e32 v34, 0x7fffffff, v32
	v_cmpx_gt_u32_e32 0x43f00000, v34
	s_xor_b32 s0, exec_lo, s0
	s_cbranch_execz .LBB357_55
; %bb.50:                               ;   in Loop: Header=BB357_41 Depth=1
	s_mov_b32 s9, exec_lo
                                        ; implicit-def: $vgpr33
	v_cmpx_lt_u32_e32 0x3c7fffff, v34
	s_xor_b32 s9, exec_lo, s9
; %bb.51:                               ;   in Loop: Header=BB357_41 Depth=1
	v_bfe_u32 v33, v32, 20, 1
	s_delay_alu instid0(VALU_DEP_1) | instskip(NEXT) | instid1(VALU_DEP_1)
	v_add3_u32 v33, v32, v33, 0x407ffff
	v_and_b32_e32 v34, 0xff00000, v33
	v_lshrrev_b32_e32 v33, 20, v33
	s_delay_alu instid0(VALU_DEP_2) | instskip(NEXT) | instid1(VALU_DEP_2)
	v_cmp_ne_u32_e32 vcc_lo, 0x7f00000, v34
	v_cndmask_b32_e32 v33, 0x7e, v33, vcc_lo
; %bb.52:                               ;   in Loop: Header=BB357_41 Depth=1
	s_and_not1_saveexec_b32 s9, s9
; %bb.53:                               ;   in Loop: Header=BB357_41 Depth=1
	v_add_f32_e64 v33, 0x46800000, |v32|
; %bb.54:                               ;   in Loop: Header=BB357_41 Depth=1
	s_or_b32 exec_lo, exec_lo, s9
                                        ; implicit-def: $vgpr34
.LBB357_55:                             ;   in Loop: Header=BB357_41 Depth=1
	s_and_not1_saveexec_b32 s0, s0
; %bb.56:                               ;   in Loop: Header=BB357_41 Depth=1
	v_cmp_lt_u32_e32 vcc_lo, 0x7f800000, v34
	v_cndmask_b32_e32 v33, 0x7e, v27, vcc_lo
; %bb.57:                               ;   in Loop: Header=BB357_41 Depth=1
	s_or_b32 exec_lo, exec_lo, s0
	v_cvt_f32_f16_e32 v34, v28
	s_mov_b32 s0, exec_lo
                                        ; implicit-def: $vgpr35
	s_delay_alu instid0(VALU_DEP_1) | instskip(NEXT) | instid1(VALU_DEP_1)
	v_and_b32_e32 v36, 0x7fffffff, v34
	v_cmpx_gt_u32_e32 0x43f00000, v36
	s_xor_b32 s0, exec_lo, s0
	s_cbranch_execz .LBB357_63
; %bb.58:                               ;   in Loop: Header=BB357_41 Depth=1
	s_mov_b32 s9, exec_lo
                                        ; implicit-def: $vgpr35
	v_cmpx_lt_u32_e32 0x3c7fffff, v36
	s_xor_b32 s9, exec_lo, s9
; %bb.59:                               ;   in Loop: Header=BB357_41 Depth=1
	v_bfe_u32 v35, v34, 20, 1
	s_delay_alu instid0(VALU_DEP_1) | instskip(NEXT) | instid1(VALU_DEP_1)
	v_add3_u32 v35, v34, v35, 0x407ffff
	v_and_b32_e32 v36, 0xff00000, v35
	v_lshrrev_b32_e32 v35, 20, v35
	s_delay_alu instid0(VALU_DEP_2) | instskip(NEXT) | instid1(VALU_DEP_2)
	v_cmp_ne_u32_e32 vcc_lo, 0x7f00000, v36
	v_cndmask_b32_e32 v35, 0x7e, v35, vcc_lo
; %bb.60:                               ;   in Loop: Header=BB357_41 Depth=1
	s_and_not1_saveexec_b32 s9, s9
; %bb.61:                               ;   in Loop: Header=BB357_41 Depth=1
	v_add_f32_e64 v35, 0x46800000, |v34|
; %bb.62:                               ;   in Loop: Header=BB357_41 Depth=1
	s_or_b32 exec_lo, exec_lo, s9
                                        ; implicit-def: $vgpr36
.LBB357_63:                             ;   in Loop: Header=BB357_41 Depth=1
	s_and_not1_saveexec_b32 s0, s0
; %bb.64:                               ;   in Loop: Header=BB357_41 Depth=1
	v_cmp_lt_u32_e32 vcc_lo, 0x7f800000, v36
	v_cndmask_b32_e32 v35, 0x7e, v27, vcc_lo
; %bb.65:                               ;   in Loop: Header=BB357_41 Depth=1
	s_or_b32 exec_lo, exec_lo, s0
	v_cvt_f32_f16_e32 v36, v31
	s_mov_b32 s0, exec_lo
                                        ; implicit-def: $vgpr37
	s_delay_alu instid0(VALU_DEP_1) | instskip(NEXT) | instid1(VALU_DEP_1)
	v_and_b32_e32 v38, 0x7fffffff, v36
	v_cmpx_gt_u32_e32 0x43f00000, v38
	s_xor_b32 s0, exec_lo, s0
	s_cbranch_execz .LBB357_71
; %bb.66:                               ;   in Loop: Header=BB357_41 Depth=1
	s_mov_b32 s9, exec_lo
                                        ; implicit-def: $vgpr37
	v_cmpx_lt_u32_e32 0x3c7fffff, v38
	s_xor_b32 s9, exec_lo, s9
; %bb.67:                               ;   in Loop: Header=BB357_41 Depth=1
	v_bfe_u32 v37, v36, 20, 1
	s_delay_alu instid0(VALU_DEP_1) | instskip(NEXT) | instid1(VALU_DEP_1)
	v_add3_u32 v37, v36, v37, 0x407ffff
	v_and_b32_e32 v38, 0xff00000, v37
	v_lshrrev_b32_e32 v37, 20, v37
	s_delay_alu instid0(VALU_DEP_2) | instskip(NEXT) | instid1(VALU_DEP_2)
	v_cmp_ne_u32_e32 vcc_lo, 0x7f00000, v38
	v_cndmask_b32_e32 v37, 0x7e, v37, vcc_lo
; %bb.68:                               ;   in Loop: Header=BB357_41 Depth=1
	s_and_not1_saveexec_b32 s9, s9
; %bb.69:                               ;   in Loop: Header=BB357_41 Depth=1
	v_add_f32_e64 v37, 0x46800000, |v36|
; %bb.70:                               ;   in Loop: Header=BB357_41 Depth=1
	s_or_b32 exec_lo, exec_lo, s9
                                        ; implicit-def: $vgpr38
.LBB357_71:                             ;   in Loop: Header=BB357_41 Depth=1
	s_and_not1_saveexec_b32 s0, s0
; %bb.72:                               ;   in Loop: Header=BB357_41 Depth=1
	v_cmp_lt_u32_e32 vcc_lo, 0x7f800000, v38
	v_cndmask_b32_e32 v37, 0x7e, v27, vcc_lo
; %bb.73:                               ;   in Loop: Header=BB357_41 Depth=1
	s_or_b32 exec_lo, exec_lo, s0
	v_cvt_f32_f16_e32 v38, v30
	s_mov_b32 s0, exec_lo
                                        ; implicit-def: $vgpr39
	s_delay_alu instid0(VALU_DEP_1) | instskip(NEXT) | instid1(VALU_DEP_1)
	v_and_b32_e32 v40, 0x7fffffff, v38
	v_cmpx_gt_u32_e32 0x43f00000, v40
	s_xor_b32 s0, exec_lo, s0
	s_cbranch_execz .LBB357_79
; %bb.74:                               ;   in Loop: Header=BB357_41 Depth=1
	s_mov_b32 s9, exec_lo
                                        ; implicit-def: $vgpr39
	v_cmpx_lt_u32_e32 0x3c7fffff, v40
	s_xor_b32 s9, exec_lo, s9
; %bb.75:                               ;   in Loop: Header=BB357_41 Depth=1
	v_bfe_u32 v39, v38, 20, 1
	s_delay_alu instid0(VALU_DEP_1) | instskip(NEXT) | instid1(VALU_DEP_1)
	v_add3_u32 v39, v38, v39, 0x407ffff
	v_and_b32_e32 v40, 0xff00000, v39
	v_lshrrev_b32_e32 v39, 20, v39
	s_delay_alu instid0(VALU_DEP_2) | instskip(NEXT) | instid1(VALU_DEP_2)
	v_cmp_ne_u32_e32 vcc_lo, 0x7f00000, v40
	v_cndmask_b32_e32 v39, 0x7e, v39, vcc_lo
; %bb.76:                               ;   in Loop: Header=BB357_41 Depth=1
	s_and_not1_saveexec_b32 s9, s9
; %bb.77:                               ;   in Loop: Header=BB357_41 Depth=1
	v_add_f32_e64 v39, 0x46800000, |v38|
; %bb.78:                               ;   in Loop: Header=BB357_41 Depth=1
	s_or_b32 exec_lo, exec_lo, s9
                                        ; implicit-def: $vgpr40
.LBB357_79:                             ;   in Loop: Header=BB357_41 Depth=1
	s_and_not1_saveexec_b32 s0, s0
; %bb.80:                               ;   in Loop: Header=BB357_41 Depth=1
	v_cmp_lt_u32_e32 vcc_lo, 0x7f800000, v40
	v_cndmask_b32_e32 v39, 0x7e, v27, vcc_lo
; %bb.81:                               ;   in Loop: Header=BB357_41 Depth=1
	s_or_b32 exec_lo, exec_lo, s0
	s_delay_alu instid0(SALU_CYCLE_1)
	s_mov_b32 s0, exec_lo
	v_cmpx_gt_u64_e64 s[2:3], v[5:6]
	s_xor_b32 s0, exec_lo, s0
	s_cbranch_execnz .LBB357_85
; %bb.82:                               ;   in Loop: Header=BB357_41 Depth=1
	s_or_b32 exec_lo, exec_lo, s0
	s_delay_alu instid0(SALU_CYCLE_1)
	s_mov_b32 s0, exec_lo
	v_cmpx_gt_u64_e64 s[2:3], v[7:8]
	s_cbranch_execnz .LBB357_86
.LBB357_83:                             ;   in Loop: Header=BB357_41 Depth=1
	s_or_b32 exec_lo, exec_lo, s0
	s_delay_alu instid0(SALU_CYCLE_1)
	s_mov_b32 s0, exec_lo
	v_cmpx_gt_u64_e64 s[2:3], v[9:10]
	s_cbranch_execnz .LBB357_87
.LBB357_84:                             ;   in Loop: Header=BB357_41 Depth=1
	s_or_b32 exec_lo, exec_lo, s0
	s_delay_alu instid0(SALU_CYCLE_1)
	s_mov_b32 s0, exec_lo
	v_cmpx_gt_u64_e64 s[2:3], v[11:12]
	s_cbranch_execz .LBB357_40
	s_branch .LBB357_88
.LBB357_85:                             ;   in Loop: Header=BB357_41 Depth=1
	v_lshrrev_b32_e32 v5, 24, v32
	s_delay_alu instid0(VALU_DEP_1) | instskip(SKIP_4) | instid1(SALU_CYCLE_1)
	v_and_or_b32 v32, 0x80, v5, v33
	v_add_co_u32 v5, vcc_lo, v13, s6
	v_add_co_ci_u32_e32 v6, vcc_lo, s7, v14, vcc_lo
	global_store_b8 v[5:6], v32, off
	s_or_b32 exec_lo, exec_lo, s0
	s_mov_b32 s0, exec_lo
	v_cmpx_gt_u64_e64 s[2:3], v[7:8]
	s_cbranch_execz .LBB357_83
.LBB357_86:                             ;   in Loop: Header=BB357_41 Depth=1
	v_lshrrev_b32_e32 v5, 24, v34
	s_delay_alu instid0(VALU_DEP_1) | instskip(SKIP_4) | instid1(SALU_CYCLE_1)
	v_and_or_b32 v7, 0x80, v5, v35
	v_add_co_u32 v5, vcc_lo, v25, s6
	v_add_co_ci_u32_e32 v6, vcc_lo, s7, v26, vcc_lo
	global_store_b8 v[5:6], v7, off
	s_or_b32 exec_lo, exec_lo, s0
	s_mov_b32 s0, exec_lo
	v_cmpx_gt_u64_e64 s[2:3], v[9:10]
	s_cbranch_execz .LBB357_84
.LBB357_87:                             ;   in Loop: Header=BB357_41 Depth=1
	v_lshrrev_b32_e32 v5, 24, v36
	s_delay_alu instid0(VALU_DEP_1) | instskip(SKIP_4) | instid1(SALU_CYCLE_1)
	v_and_or_b32 v7, 0x80, v5, v37
	v_add_co_u32 v5, vcc_lo, v20, s6
	v_add_co_ci_u32_e32 v6, vcc_lo, s7, v21, vcc_lo
	global_store_b8 v[5:6], v7, off
	s_or_b32 exec_lo, exec_lo, s0
	s_mov_b32 s0, exec_lo
	v_cmpx_gt_u64_e64 s[2:3], v[11:12]
	s_cbranch_execz .LBB357_40
.LBB357_88:                             ;   in Loop: Header=BB357_41 Depth=1
	v_lshrrev_b32_e32 v5, 24, v38
	s_delay_alu instid0(VALU_DEP_1)
	v_and_or_b32 v7, 0x80, v5, v39
	v_add_co_u32 v5, vcc_lo, v15, s6
	v_add_co_ci_u32_e32 v6, vcc_lo, s7, v16, vcc_lo
	global_store_b8 v[5:6], v7, off
	s_branch .LBB357_40
.LBB357_89:
	s_nop 0
	s_sendmsg sendmsg(MSG_DEALLOC_VGPRS)
	s_endpgm
	.section	.rodata,"a",@progbits
	.p2align	6, 0x0
	.amdhsa_kernel _ZN2at6native12_GLOBAL__N_125multi_tensor_apply_kernelINS1_18TensorListMetadataILi2EEENS1_11CopyFunctorIN3c1013Float8_e4m3fnENS6_4HalfELi2ELi1ELi1EEEJNS0_4CopyIS7_S8_EEEEEvT_T0_DpT1_
		.amdhsa_group_segment_fixed_size 0
		.amdhsa_private_segment_fixed_size 0
		.amdhsa_kernarg_size 3408
		.amdhsa_user_sgpr_count 15
		.amdhsa_user_sgpr_dispatch_ptr 0
		.amdhsa_user_sgpr_queue_ptr 0
		.amdhsa_user_sgpr_kernarg_segment_ptr 1
		.amdhsa_user_sgpr_dispatch_id 0
		.amdhsa_user_sgpr_private_segment_size 0
		.amdhsa_wavefront_size32 1
		.amdhsa_uses_dynamic_stack 0
		.amdhsa_enable_private_segment 0
		.amdhsa_system_sgpr_workgroup_id_x 1
		.amdhsa_system_sgpr_workgroup_id_y 0
		.amdhsa_system_sgpr_workgroup_id_z 0
		.amdhsa_system_sgpr_workgroup_info 0
		.amdhsa_system_vgpr_workitem_id 0
		.amdhsa_next_free_vgpr 41
		.amdhsa_next_free_sgpr 20
		.amdhsa_reserve_vcc 1
		.amdhsa_float_round_mode_32 0
		.amdhsa_float_round_mode_16_64 0
		.amdhsa_float_denorm_mode_32 3
		.amdhsa_float_denorm_mode_16_64 3
		.amdhsa_dx10_clamp 1
		.amdhsa_ieee_mode 1
		.amdhsa_fp16_overflow 0
		.amdhsa_workgroup_processor_mode 1
		.amdhsa_memory_ordered 1
		.amdhsa_forward_progress 0
		.amdhsa_shared_vgpr_count 0
		.amdhsa_exception_fp_ieee_invalid_op 0
		.amdhsa_exception_fp_denorm_src 0
		.amdhsa_exception_fp_ieee_div_zero 0
		.amdhsa_exception_fp_ieee_overflow 0
		.amdhsa_exception_fp_ieee_underflow 0
		.amdhsa_exception_fp_ieee_inexact 0
		.amdhsa_exception_int_div_zero 0
	.end_amdhsa_kernel
	.section	.text._ZN2at6native12_GLOBAL__N_125multi_tensor_apply_kernelINS1_18TensorListMetadataILi2EEENS1_11CopyFunctorIN3c1013Float8_e4m3fnENS6_4HalfELi2ELi1ELi1EEEJNS0_4CopyIS7_S8_EEEEEvT_T0_DpT1_,"axG",@progbits,_ZN2at6native12_GLOBAL__N_125multi_tensor_apply_kernelINS1_18TensorListMetadataILi2EEENS1_11CopyFunctorIN3c1013Float8_e4m3fnENS6_4HalfELi2ELi1ELi1EEEJNS0_4CopyIS7_S8_EEEEEvT_T0_DpT1_,comdat
.Lfunc_end357:
	.size	_ZN2at6native12_GLOBAL__N_125multi_tensor_apply_kernelINS1_18TensorListMetadataILi2EEENS1_11CopyFunctorIN3c1013Float8_e4m3fnENS6_4HalfELi2ELi1ELi1EEEJNS0_4CopyIS7_S8_EEEEEvT_T0_DpT1_, .Lfunc_end357-_ZN2at6native12_GLOBAL__N_125multi_tensor_apply_kernelINS1_18TensorListMetadataILi2EEENS1_11CopyFunctorIN3c1013Float8_e4m3fnENS6_4HalfELi2ELi1ELi1EEEJNS0_4CopyIS7_S8_EEEEEvT_T0_DpT1_
                                        ; -- End function
	.section	.AMDGPU.csdata,"",@progbits
; Kernel info:
; codeLenInByte = 2748
; NumSgprs: 22
; NumVgprs: 41
; ScratchSize: 0
; MemoryBound: 0
; FloatMode: 240
; IeeeMode: 1
; LDSByteSize: 0 bytes/workgroup (compile time only)
; SGPRBlocks: 2
; VGPRBlocks: 5
; NumSGPRsForWavesPerEU: 22
; NumVGPRsForWavesPerEU: 41
; Occupancy: 16
; WaveLimiterHint : 0
; COMPUTE_PGM_RSRC2:SCRATCH_EN: 0
; COMPUTE_PGM_RSRC2:USER_SGPR: 15
; COMPUTE_PGM_RSRC2:TRAP_HANDLER: 0
; COMPUTE_PGM_RSRC2:TGID_X_EN: 1
; COMPUTE_PGM_RSRC2:TGID_Y_EN: 0
; COMPUTE_PGM_RSRC2:TGID_Z_EN: 0
; COMPUTE_PGM_RSRC2:TIDIG_COMP_CNT: 0
	.section	.text._ZN2at6native12_GLOBAL__N_125multi_tensor_apply_kernelINS1_18TensorListMetadataILi2EEENS1_11CopyFunctorIN3c1013Float8_e4m3fnENS6_8BFloat16ELi2ELi1ELi1EEEJNS0_4CopyIS7_S8_EEEEEvT_T0_DpT1_,"axG",@progbits,_ZN2at6native12_GLOBAL__N_125multi_tensor_apply_kernelINS1_18TensorListMetadataILi2EEENS1_11CopyFunctorIN3c1013Float8_e4m3fnENS6_8BFloat16ELi2ELi1ELi1EEEJNS0_4CopyIS7_S8_EEEEEvT_T0_DpT1_,comdat
	.globl	_ZN2at6native12_GLOBAL__N_125multi_tensor_apply_kernelINS1_18TensorListMetadataILi2EEENS1_11CopyFunctorIN3c1013Float8_e4m3fnENS6_8BFloat16ELi2ELi1ELi1EEEJNS0_4CopyIS7_S8_EEEEEvT_T0_DpT1_ ; -- Begin function _ZN2at6native12_GLOBAL__N_125multi_tensor_apply_kernelINS1_18TensorListMetadataILi2EEENS1_11CopyFunctorIN3c1013Float8_e4m3fnENS6_8BFloat16ELi2ELi1ELi1EEEJNS0_4CopyIS7_S8_EEEEEvT_T0_DpT1_
	.p2align	8
	.type	_ZN2at6native12_GLOBAL__N_125multi_tensor_apply_kernelINS1_18TensorListMetadataILi2EEENS1_11CopyFunctorIN3c1013Float8_e4m3fnENS6_8BFloat16ELi2ELi1ELi1EEEJNS0_4CopyIS7_S8_EEEEEvT_T0_DpT1_,@function
_ZN2at6native12_GLOBAL__N_125multi_tensor_apply_kernelINS1_18TensorListMetadataILi2EEENS1_11CopyFunctorIN3c1013Float8_e4m3fnENS6_8BFloat16ELi2ELi1ELi1EEEJNS0_4CopyIS7_S8_EEEEEvT_T0_DpT1_: ; @_ZN2at6native12_GLOBAL__N_125multi_tensor_apply_kernelINS1_18TensorListMetadataILi2EEENS1_11CopyFunctorIN3c1013Float8_e4m3fnENS6_8BFloat16ELi2ELi1ELi1EEEJNS0_4CopyIS7_S8_EEEEEvT_T0_DpT1_
; %bb.0:
	v_mov_b32_e32 v1, s15
	s_add_u32 s2, s0, s15
	s_mul_i32 s4, s15, 3
	s_addc_u32 s3, s1, 0
	s_mul_hi_u32 s5, s15, 3
	global_load_u8 v1, v1, s[0:1] offset:1536
	s_add_u32 s2, s2, s4
	s_addc_u32 s3, s3, s5
	s_mov_b32 s17, 0
	s_load_b32 s10, s[2:3], 0x740
	s_waitcnt lgkmcnt(0)
	s_ashr_i32 s11, s10, 31
	s_delay_alu instid0(SALU_CYCLE_1) | instskip(SKIP_2) | instid1(VALU_DEP_1)
	s_lshl_b64 s[8:9], s[10:11], 16
	s_waitcnt vmcnt(0)
	v_readfirstlane_b32 s4, v1
	s_lshl_b32 s4, s4, 3
	s_clause 0x2
	s_load_b64 s[6:7], s[0:1], s4 offset:0x200
	s_load_b64 s[2:3], s[0:1], s4 offset:0x400
	;; [unrolled: 1-line block ×3, first 2 shown]
	s_waitcnt lgkmcnt(0)
	s_add_u32 s14, s6, s8
	s_addc_u32 s15, s7, s9
	s_delay_alu instid0(SALU_CYCLE_1) | instskip(SKIP_2) | instid1(SALU_CYCLE_1)
	s_or_b64 s[4:5], s[2:3], s[14:15]
	s_and_b32 s5, s12, 7
	s_and_b32 s4, s4, 3
	s_or_b32 s16, s4, s5
	s_sub_u32 s4, s2, s8
	s_subb_u32 s5, s3, s9
	s_cmp_eq_u64 s[16:17], 0
	s_mov_b32 s2, -1
	s_cbranch_scc0 .LBB358_37
; %bb.1:
	v_dual_mov_b32 v2, 0 :: v_dual_lshlrev_b32 v1, 2, v0
	s_mov_b32 s3, exec_lo
	s_delay_alu instid0(VALU_DEP_1)
	v_cmpx_gt_i64_e64 s[4:5], v[1:2]
	s_cbranch_execz .LBB358_36
; %bb.2:
	s_load_b32 s2, s[0:1], 0xc5c
	v_lshlrev_b32_e32 v3, 3, v0
	s_lshl_b64 s[16:17], s[10:11], 17
	v_mov_b32_e32 v7, 0x7f
	s_waitcnt lgkmcnt(0)
	s_and_b32 s2, s2, 0xffff
	s_add_u32 s16, s12, s16
	s_addc_u32 s17, s13, s17
	v_add_co_u32 v3, s16, s16, v3
	s_delay_alu instid0(VALU_DEP_1)
	v_add_co_ci_u32_e64 v4, null, s17, 0, s16
	s_mov_b32 s16, 0
	s_lshl_b32 s17, s2, 3
	s_lshl_b32 s18, s2, 2
	s_branch .LBB358_4
.LBB358_3:                              ;   in Loop: Header=BB358_4 Depth=1
	s_or_b32 exec_lo, exec_lo, s2
	v_lshrrev_b32_e32 v6, 8, v6
	v_lshrrev_b32_e32 v13, 24, v5
	;; [unrolled: 1-line block ×3, first 2 shown]
	v_add_co_u32 v5, vcc_lo, s14, v1
	s_delay_alu instid0(VALU_DEP_4) | instskip(SKIP_3) | instid1(VALU_DEP_4)
	v_and_b32_e32 v15, 0x80, v6
	v_add_co_ci_u32_e32 v6, vcc_lo, s15, v2, vcc_lo
	v_lshrrev_b32_e32 v12, 8, v12
	v_and_b32_e32 v13, 0x80, v13
	v_and_or_b32 v10, 0xff, v10, v15
	v_add_co_u32 v1, vcc_lo, s18, v1
	v_add_co_ci_u32_e32 v2, vcc_lo, 0, v2, vcc_lo
	s_delay_alu instid0(VALU_DEP_4)
	v_and_or_b32 v9, 0xff, v9, v13
	v_and_or_b32 v11, 0x80, v12, v11
	v_and_b32_e32 v8, 0xff, v8
	v_lshlrev_b32_e32 v10, 16, v10
	v_cmp_le_i64_e32 vcc_lo, s[4:5], v[1:2]
	v_cmp_lt_u64_e64 s2, 0xffff, v[1:2]
	v_lshlrev_b32_e32 v9, 8, v9
	v_and_or_b32 v8, 0x80, v14, v8
	v_lshl_or_b32 v10, v11, 24, v10
	s_delay_alu instid0(VALU_DEP_4) | instskip(SKIP_1) | instid1(VALU_DEP_2)
	s_or_b32 s2, vcc_lo, s2
	v_add_co_u32 v3, vcc_lo, v3, s17
	v_or3_b32 v8, v10, v9, v8
	v_add_co_ci_u32_e32 v4, vcc_lo, 0, v4, vcc_lo
	s_and_b32 s2, exec_lo, s2
	s_delay_alu instid0(SALU_CYCLE_1)
	s_or_b32 s16, s2, s16
	global_store_b32 v[5:6], v8, off
	s_and_not1_b32 exec_lo, exec_lo, s16
	s_cbranch_execz .LBB358_36
.LBB358_4:                              ; =>This Inner Loop Header: Depth=1
	global_load_b64 v[5:6], v[3:4], off
	s_mov_b32 s2, exec_lo
                                        ; implicit-def: $vgpr8
	s_waitcnt vmcnt(0)
	v_lshlrev_b32_e32 v9, 16, v5
	s_delay_alu instid0(VALU_DEP_1) | instskip(NEXT) | instid1(VALU_DEP_1)
	v_and_b32_e32 v10, 0x7fffffff, v9
	v_cmpx_gt_u32_e32 0x43f00000, v10
	s_xor_b32 s2, exec_lo, s2
	s_cbranch_execz .LBB358_10
; %bb.5:                                ;   in Loop: Header=BB358_4 Depth=1
	s_mov_b32 s19, exec_lo
                                        ; implicit-def: $vgpr8
	v_cmpx_lt_u32_e32 0x3c7fffff, v10
	s_xor_b32 s19, exec_lo, s19
; %bb.6:                                ;   in Loop: Header=BB358_4 Depth=1
	v_bfe_u32 v8, v5, 4, 1
	s_delay_alu instid0(VALU_DEP_1) | instskip(NEXT) | instid1(VALU_DEP_1)
	v_add3_u32 v8, v9, v8, 0x407ffff
	v_and_b32_e32 v9, 0xff00000, v8
	v_lshrrev_b32_e32 v8, 20, v8
	s_delay_alu instid0(VALU_DEP_2) | instskip(NEXT) | instid1(VALU_DEP_2)
	v_cmp_ne_u32_e32 vcc_lo, 0x7f00000, v9
                                        ; implicit-def: $vgpr9
	v_cndmask_b32_e32 v8, 0x7e, v8, vcc_lo
; %bb.7:                                ;   in Loop: Header=BB358_4 Depth=1
	s_and_not1_saveexec_b32 s19, s19
; %bb.8:                                ;   in Loop: Header=BB358_4 Depth=1
	v_add_f32_e64 v8, 0x46800000, |v9|
; %bb.9:                                ;   in Loop: Header=BB358_4 Depth=1
	s_or_b32 exec_lo, exec_lo, s19
                                        ; implicit-def: $vgpr10
.LBB358_10:                             ;   in Loop: Header=BB358_4 Depth=1
	s_and_not1_saveexec_b32 s2, s2
; %bb.11:                               ;   in Loop: Header=BB358_4 Depth=1
	v_cmp_lt_u32_e32 vcc_lo, 0x7f800000, v10
	v_cndmask_b32_e32 v8, 0x7e, v7, vcc_lo
; %bb.12:                               ;   in Loop: Header=BB358_4 Depth=1
	s_or_b32 exec_lo, exec_lo, s2
	v_and_b32_e32 v10, 0xffff0000, v5
	s_mov_b32 s2, exec_lo
                                        ; implicit-def: $vgpr9
	s_delay_alu instid0(VALU_DEP_1) | instskip(NEXT) | instid1(VALU_DEP_1)
	v_and_b32_e32 v11, 0x7fffffff, v10
	v_cmpx_gt_u32_e32 0x43f00000, v11
	s_xor_b32 s2, exec_lo, s2
	s_cbranch_execz .LBB358_18
; %bb.13:                               ;   in Loop: Header=BB358_4 Depth=1
	s_mov_b32 s19, exec_lo
                                        ; implicit-def: $vgpr9
	v_cmpx_lt_u32_e32 0x3c7fffff, v11
	s_xor_b32 s19, exec_lo, s19
; %bb.14:                               ;   in Loop: Header=BB358_4 Depth=1
	v_bfe_u32 v9, v5, 20, 1
	s_delay_alu instid0(VALU_DEP_1) | instskip(NEXT) | instid1(VALU_DEP_1)
	v_add3_u32 v9, v10, v9, 0x407ffff
	v_and_b32_e32 v10, 0xff00000, v9
	v_lshrrev_b32_e32 v9, 20, v9
	s_delay_alu instid0(VALU_DEP_2) | instskip(NEXT) | instid1(VALU_DEP_2)
	v_cmp_ne_u32_e32 vcc_lo, 0x7f00000, v10
                                        ; implicit-def: $vgpr10
	v_cndmask_b32_e32 v9, 0x7e, v9, vcc_lo
; %bb.15:                               ;   in Loop: Header=BB358_4 Depth=1
	s_and_not1_saveexec_b32 s19, s19
; %bb.16:                               ;   in Loop: Header=BB358_4 Depth=1
	v_add_f32_e64 v9, 0x46800000, |v10|
; %bb.17:                               ;   in Loop: Header=BB358_4 Depth=1
	s_or_b32 exec_lo, exec_lo, s19
                                        ; implicit-def: $vgpr11
.LBB358_18:                             ;   in Loop: Header=BB358_4 Depth=1
	s_and_not1_saveexec_b32 s2, s2
; %bb.19:                               ;   in Loop: Header=BB358_4 Depth=1
	v_cmp_lt_u32_e32 vcc_lo, 0x7f800000, v11
	v_cndmask_b32_e32 v9, 0x7e, v7, vcc_lo
; %bb.20:                               ;   in Loop: Header=BB358_4 Depth=1
	s_or_b32 exec_lo, exec_lo, s2
	v_lshlrev_b32_e32 v11, 16, v6
	s_mov_b32 s2, exec_lo
                                        ; implicit-def: $vgpr10
	s_delay_alu instid0(VALU_DEP_1) | instskip(NEXT) | instid1(VALU_DEP_1)
	v_and_b32_e32 v12, 0x7fffffff, v11
	v_cmpx_gt_u32_e32 0x43f00000, v12
	s_xor_b32 s2, exec_lo, s2
	s_cbranch_execz .LBB358_26
; %bb.21:                               ;   in Loop: Header=BB358_4 Depth=1
	s_mov_b32 s19, exec_lo
                                        ; implicit-def: $vgpr10
	v_cmpx_lt_u32_e32 0x3c7fffff, v12
	s_xor_b32 s19, exec_lo, s19
; %bb.22:                               ;   in Loop: Header=BB358_4 Depth=1
	v_bfe_u32 v10, v6, 4, 1
	s_delay_alu instid0(VALU_DEP_1) | instskip(NEXT) | instid1(VALU_DEP_1)
	v_add3_u32 v10, v11, v10, 0x407ffff
	v_and_b32_e32 v11, 0xff00000, v10
	v_lshrrev_b32_e32 v10, 20, v10
	s_delay_alu instid0(VALU_DEP_2) | instskip(NEXT) | instid1(VALU_DEP_2)
	v_cmp_ne_u32_e32 vcc_lo, 0x7f00000, v11
                                        ; implicit-def: $vgpr11
	v_cndmask_b32_e32 v10, 0x7e, v10, vcc_lo
; %bb.23:                               ;   in Loop: Header=BB358_4 Depth=1
	s_and_not1_saveexec_b32 s19, s19
; %bb.24:                               ;   in Loop: Header=BB358_4 Depth=1
	v_add_f32_e64 v10, 0x46800000, |v11|
; %bb.25:                               ;   in Loop: Header=BB358_4 Depth=1
	s_or_b32 exec_lo, exec_lo, s19
                                        ; implicit-def: $vgpr12
.LBB358_26:                             ;   in Loop: Header=BB358_4 Depth=1
	s_and_not1_saveexec_b32 s2, s2
; %bb.27:                               ;   in Loop: Header=BB358_4 Depth=1
	v_cmp_lt_u32_e32 vcc_lo, 0x7f800000, v12
	v_cndmask_b32_e32 v10, 0x7e, v7, vcc_lo
; %bb.28:                               ;   in Loop: Header=BB358_4 Depth=1
	s_or_b32 exec_lo, exec_lo, s2
	v_and_b32_e32 v13, 0xffff0000, v6
	v_lshrrev_b32_e32 v12, 16, v6
	s_mov_b32 s2, exec_lo
                                        ; implicit-def: $vgpr11
	s_delay_alu instid0(VALU_DEP_2) | instskip(NEXT) | instid1(VALU_DEP_1)
	v_and_b32_e32 v14, 0x7fffffff, v13
	v_cmpx_gt_u32_e32 0x43f00000, v14
	s_xor_b32 s2, exec_lo, s2
	s_cbranch_execz .LBB358_34
; %bb.29:                               ;   in Loop: Header=BB358_4 Depth=1
	s_mov_b32 s19, exec_lo
                                        ; implicit-def: $vgpr11
	v_cmpx_lt_u32_e32 0x3c7fffff, v14
	s_xor_b32 s19, exec_lo, s19
; %bb.30:                               ;   in Loop: Header=BB358_4 Depth=1
	v_bfe_u32 v11, v12, 4, 1
	s_delay_alu instid0(VALU_DEP_1) | instskip(NEXT) | instid1(VALU_DEP_1)
	v_add3_u32 v11, v13, v11, 0x407ffff
	v_and_b32_e32 v13, 0xff00000, v11
	v_lshrrev_b32_e32 v11, 20, v11
	s_delay_alu instid0(VALU_DEP_2) | instskip(NEXT) | instid1(VALU_DEP_2)
	v_cmp_ne_u32_e32 vcc_lo, 0x7f00000, v13
                                        ; implicit-def: $vgpr13
	v_cndmask_b32_e32 v11, 0x7e, v11, vcc_lo
; %bb.31:                               ;   in Loop: Header=BB358_4 Depth=1
	s_and_not1_saveexec_b32 s19, s19
; %bb.32:                               ;   in Loop: Header=BB358_4 Depth=1
	v_add_f32_e64 v11, 0x46800000, |v13|
; %bb.33:                               ;   in Loop: Header=BB358_4 Depth=1
	s_or_b32 exec_lo, exec_lo, s19
                                        ; implicit-def: $vgpr14
.LBB358_34:                             ;   in Loop: Header=BB358_4 Depth=1
	s_and_not1_saveexec_b32 s2, s2
	s_cbranch_execz .LBB358_3
; %bb.35:                               ;   in Loop: Header=BB358_4 Depth=1
	v_cmp_lt_u32_e32 vcc_lo, 0x7f800000, v14
	v_cndmask_b32_e32 v11, 0x7e, v7, vcc_lo
	s_branch .LBB358_3
.LBB358_36:
	s_or_b32 exec_lo, exec_lo, s3
	s_mov_b32 s2, 0
.LBB358_37:
	s_delay_alu instid0(SALU_CYCLE_1)
	s_and_not1_b32 vcc_lo, exec_lo, s2
	s_cbranch_vccnz .LBB358_89
; %bb.38:
	v_cmp_lt_i64_e64 s2, s[4:5], 1
	s_delay_alu instid0(VALU_DEP_1)
	s_and_b32 vcc_lo, exec_lo, s2
	s_cbranch_vccnz .LBB358_89
; %bb.39:
	s_load_b32 s0, s[0:1], 0xc5c
	v_cmp_gt_u64_e64 s1, 0x10000, s[4:5]
	v_add_co_u32 v5, s2, s8, v0
	v_lshlrev_b32_e32 v1, 1, v0
	v_add_co_ci_u32_e64 v6, null, s9, 0, s2
	s_delay_alu instid0(VALU_DEP_3) | instskip(SKIP_1) | instid1(VALU_DEP_3)
	v_add_co_u32 v13, vcc_lo, s6, v5
	v_mov_b32_e32 v27, 0x7f
	v_add_co_ci_u32_e32 v14, vcc_lo, s7, v6, vcc_lo
                                        ; implicit-def: $vgpr30
                                        ; implicit-def: $vgpr31
                                        ; implicit-def: $vgpr28
                                        ; implicit-def: $vgpr29
	s_waitcnt lgkmcnt(0)
	s_and_b32 s0, s0, 0xffff
	s_and_b32 s1, s1, exec_lo
	s_cselect_b32 s3, s5, 0
	s_cselect_b32 s2, s4, 0x10000
	s_lshl_b64 s[10:11], s[10:11], 17
	s_lshl_b32 s14, s0, 1
	s_lshl_b32 s1, s0, 2
	s_add_u32 s12, s12, s10
	s_mul_i32 s15, s0, 3
	s_addc_u32 s11, s13, s11
	s_lshl_b32 s10, s0, 3
	v_add_co_u32 v1, s16, s12, v1
	s_add_u32 s13, s8, s15
	v_add_co_ci_u32_e64 v2, null, s11, 0, s16
	s_addc_u32 s16, s9, 0
	s_add_u32 s13, s6, s13
	s_addc_u32 s16, s7, s16
	v_add_co_u32 v15, s13, s13, v0
	s_delay_alu instid0(VALU_DEP_1) | instskip(SKIP_1) | instid1(VALU_DEP_1)
	v_add_co_ci_u32_e64 v16, null, s16, 0, s13
	v_add_co_u32 v17, s13, s15, v0
	v_add_co_ci_u32_e64 v18, null, 0, 0, s13
	v_add_co_u32 v19, s13, v0, s0
	s_add_u32 s8, s8, s14
	s_addc_u32 s9, s9, 0
	s_add_u32 s8, s6, s8
	s_delay_alu instid0(VALU_DEP_1) | instskip(SKIP_2) | instid1(VALU_DEP_1)
	v_lshlrev_b32_e32 v3, 1, v19
	s_addc_u32 s9, s7, s9
	v_add_co_u32 v20, s8, s8, v0
	v_add_co_ci_u32_e64 v21, null, s9, 0, s8
	v_add_co_u32 v23, s8, s14, v0
	s_add_u32 s6, s6, s0
	v_add_co_ci_u32_e64 v24, null, 0, 0, s8
	v_add_co_u32 v3, s8, s12, v3
	s_addc_u32 s7, s7, 0
	v_add_co_u32 v25, vcc_lo, s6, v5
	v_add_co_ci_u32_e64 v22, null, 0, 0, s13
	v_add_co_ci_u32_e64 v4, null, s11, 0, s8
	v_add_co_ci_u32_e32 v26, vcc_lo, s7, v6, vcc_lo
	s_mul_i32 s8, s0, 6
	s_mov_b64 s[6:7], 0
	s_branch .LBB358_41
.LBB358_40:                             ;   in Loop: Header=BB358_41 Depth=1
	s_or_b32 exec_lo, exec_lo, s0
	s_add_u32 s6, s6, s1
	s_addc_u32 s7, s7, 0
	v_add_co_u32 v1, vcc_lo, v1, s10
	v_cmp_ge_i64_e64 s0, s[6:7], s[4:5]
	v_cmp_lt_u64_e64 s9, 0xffff, s[6:7]
	v_add_co_ci_u32_e32 v2, vcc_lo, 0, v2, vcc_lo
	v_add_co_u32 v3, vcc_lo, v3, s10
	v_add_co_ci_u32_e32 v4, vcc_lo, 0, v4, vcc_lo
	s_delay_alu instid0(VALU_DEP_4) | instskip(NEXT) | instid1(SALU_CYCLE_1)
	s_or_b32 s0, s0, s9
	s_and_b32 vcc_lo, exec_lo, s0
	s_cbranch_vccnz .LBB358_89
.LBB358_41:                             ; =>This Inner Loop Header: Depth=1
	v_add_co_u32 v5, s0, v0, s6
	s_delay_alu instid0(VALU_DEP_1) | instskip(NEXT) | instid1(VALU_DEP_1)
	v_add_co_ci_u32_e64 v6, null, 0, s7, s0
	v_cmp_gt_i64_e32 vcc_lo, s[4:5], v[5:6]
	v_cmp_gt_u64_e64 s0, 0x10000, v[5:6]
	s_delay_alu instid0(VALU_DEP_1) | instskip(NEXT) | instid1(SALU_CYCLE_1)
	s_and_b32 s9, vcc_lo, s0
	s_and_saveexec_b32 s0, s9
	s_cbranch_execz .LBB358_43
; %bb.42:                               ;   in Loop: Header=BB358_41 Depth=1
	global_load_u16 v29, v[1:2], off
.LBB358_43:                             ;   in Loop: Header=BB358_41 Depth=1
	s_or_b32 exec_lo, exec_lo, s0
	v_add_co_u32 v7, vcc_lo, v19, s6
	v_add_co_ci_u32_e32 v8, vcc_lo, s7, v22, vcc_lo
	s_delay_alu instid0(VALU_DEP_1) | instskip(SKIP_1) | instid1(VALU_DEP_1)
	v_cmp_gt_i64_e32 vcc_lo, s[4:5], v[7:8]
	v_cmp_gt_u64_e64 s0, 0x10000, v[7:8]
	s_and_b32 s9, vcc_lo, s0
	s_delay_alu instid0(SALU_CYCLE_1)
	s_and_saveexec_b32 s0, s9
	s_cbranch_execz .LBB358_45
; %bb.44:                               ;   in Loop: Header=BB358_41 Depth=1
	global_load_u16 v28, v[3:4], off
.LBB358_45:                             ;   in Loop: Header=BB358_41 Depth=1
	s_or_b32 exec_lo, exec_lo, s0
	v_add_co_u32 v9, vcc_lo, v23, s6
	v_add_co_ci_u32_e32 v10, vcc_lo, s7, v24, vcc_lo
	s_delay_alu instid0(VALU_DEP_1) | instskip(SKIP_1) | instid1(VALU_DEP_1)
	v_cmp_gt_i64_e32 vcc_lo, s[4:5], v[9:10]
	v_cmp_gt_u64_e64 s0, 0x10000, v[9:10]
	s_and_b32 s9, vcc_lo, s0
	s_delay_alu instid0(SALU_CYCLE_1)
	s_and_saveexec_b32 s0, s9
	s_cbranch_execz .LBB358_47
; %bb.46:                               ;   in Loop: Header=BB358_41 Depth=1
	v_add_co_u32 v11, vcc_lo, v1, s1
	v_add_co_ci_u32_e32 v12, vcc_lo, 0, v2, vcc_lo
	global_load_u16 v31, v[11:12], off
.LBB358_47:                             ;   in Loop: Header=BB358_41 Depth=1
	s_or_b32 exec_lo, exec_lo, s0
	v_add_co_u32 v11, vcc_lo, v17, s6
	v_add_co_ci_u32_e32 v12, vcc_lo, s7, v18, vcc_lo
	s_delay_alu instid0(VALU_DEP_1) | instskip(SKIP_1) | instid1(VALU_DEP_1)
	v_cmp_gt_i64_e32 vcc_lo, s[4:5], v[11:12]
	v_cmp_gt_u64_e64 s0, 0x10000, v[11:12]
	s_and_b32 s9, vcc_lo, s0
	s_delay_alu instid0(SALU_CYCLE_1)
	s_and_saveexec_b32 s0, s9
	s_cbranch_execz .LBB358_49
; %bb.48:                               ;   in Loop: Header=BB358_41 Depth=1
	v_add_co_u32 v32, vcc_lo, v1, s8
	v_add_co_ci_u32_e32 v33, vcc_lo, 0, v2, vcc_lo
	global_load_u16 v30, v[32:33], off
.LBB358_49:                             ;   in Loop: Header=BB358_41 Depth=1
	s_or_b32 exec_lo, exec_lo, s0
	s_waitcnt vmcnt(0)
	v_lshlrev_b32_e32 v34, 16, v29
	v_and_b32_e32 v32, 0xffff, v29
	s_mov_b32 s0, exec_lo
                                        ; implicit-def: $vgpr33
	s_delay_alu instid0(VALU_DEP_2) | instskip(NEXT) | instid1(VALU_DEP_1)
	v_and_b32_e32 v35, 0x7fffffff, v34
	v_cmpx_gt_u32_e32 0x43f00000, v35
	s_xor_b32 s0, exec_lo, s0
	s_cbranch_execz .LBB358_55
; %bb.50:                               ;   in Loop: Header=BB358_41 Depth=1
	s_mov_b32 s9, exec_lo
                                        ; implicit-def: $vgpr33
	v_cmpx_lt_u32_e32 0x3c7fffff, v35
	s_xor_b32 s9, exec_lo, s9
; %bb.51:                               ;   in Loop: Header=BB358_41 Depth=1
	v_bfe_u32 v33, v32, 4, 1
	s_delay_alu instid0(VALU_DEP_1) | instskip(NEXT) | instid1(VALU_DEP_1)
	v_add3_u32 v33, v34, v33, 0x407ffff
	v_and_b32_e32 v34, 0xff00000, v33
	v_lshrrev_b32_e32 v33, 20, v33
	s_delay_alu instid0(VALU_DEP_2) | instskip(NEXT) | instid1(VALU_DEP_2)
	v_cmp_ne_u32_e32 vcc_lo, 0x7f00000, v34
                                        ; implicit-def: $vgpr34
	v_cndmask_b32_e32 v33, 0x7e, v33, vcc_lo
; %bb.52:                               ;   in Loop: Header=BB358_41 Depth=1
	s_and_not1_saveexec_b32 s9, s9
; %bb.53:                               ;   in Loop: Header=BB358_41 Depth=1
	v_add_f32_e64 v33, 0x46800000, |v34|
; %bb.54:                               ;   in Loop: Header=BB358_41 Depth=1
	s_or_b32 exec_lo, exec_lo, s9
                                        ; implicit-def: $vgpr35
.LBB358_55:                             ;   in Loop: Header=BB358_41 Depth=1
	s_and_not1_saveexec_b32 s0, s0
; %bb.56:                               ;   in Loop: Header=BB358_41 Depth=1
	v_cmp_lt_u32_e32 vcc_lo, 0x7f800000, v35
	v_cndmask_b32_e32 v33, 0x7e, v27, vcc_lo
; %bb.57:                               ;   in Loop: Header=BB358_41 Depth=1
	s_or_b32 exec_lo, exec_lo, s0
	v_lshlrev_b32_e32 v36, 16, v28
	v_and_b32_e32 v34, 0xffff, v28
	s_mov_b32 s0, exec_lo
                                        ; implicit-def: $vgpr35
	s_delay_alu instid0(VALU_DEP_2) | instskip(NEXT) | instid1(VALU_DEP_1)
	v_and_b32_e32 v37, 0x7fffffff, v36
	v_cmpx_gt_u32_e32 0x43f00000, v37
	s_xor_b32 s0, exec_lo, s0
	s_cbranch_execz .LBB358_63
; %bb.58:                               ;   in Loop: Header=BB358_41 Depth=1
	s_mov_b32 s9, exec_lo
                                        ; implicit-def: $vgpr35
	v_cmpx_lt_u32_e32 0x3c7fffff, v37
	s_xor_b32 s9, exec_lo, s9
; %bb.59:                               ;   in Loop: Header=BB358_41 Depth=1
	v_bfe_u32 v35, v34, 4, 1
	s_delay_alu instid0(VALU_DEP_1) | instskip(NEXT) | instid1(VALU_DEP_1)
	v_add3_u32 v35, v36, v35, 0x407ffff
	v_and_b32_e32 v36, 0xff00000, v35
	v_lshrrev_b32_e32 v35, 20, v35
	s_delay_alu instid0(VALU_DEP_2) | instskip(NEXT) | instid1(VALU_DEP_2)
	v_cmp_ne_u32_e32 vcc_lo, 0x7f00000, v36
                                        ; implicit-def: $vgpr36
	v_cndmask_b32_e32 v35, 0x7e, v35, vcc_lo
; %bb.60:                               ;   in Loop: Header=BB358_41 Depth=1
	s_and_not1_saveexec_b32 s9, s9
; %bb.61:                               ;   in Loop: Header=BB358_41 Depth=1
	v_add_f32_e64 v35, 0x46800000, |v36|
; %bb.62:                               ;   in Loop: Header=BB358_41 Depth=1
	s_or_b32 exec_lo, exec_lo, s9
                                        ; implicit-def: $vgpr37
.LBB358_63:                             ;   in Loop: Header=BB358_41 Depth=1
	s_and_not1_saveexec_b32 s0, s0
; %bb.64:                               ;   in Loop: Header=BB358_41 Depth=1
	v_cmp_lt_u32_e32 vcc_lo, 0x7f800000, v37
	v_cndmask_b32_e32 v35, 0x7e, v27, vcc_lo
; %bb.65:                               ;   in Loop: Header=BB358_41 Depth=1
	s_or_b32 exec_lo, exec_lo, s0
	v_lshlrev_b32_e32 v38, 16, v31
	v_and_b32_e32 v36, 0xffff, v31
	s_mov_b32 s0, exec_lo
                                        ; implicit-def: $vgpr37
	s_delay_alu instid0(VALU_DEP_2) | instskip(NEXT) | instid1(VALU_DEP_1)
	v_and_b32_e32 v39, 0x7fffffff, v38
	v_cmpx_gt_u32_e32 0x43f00000, v39
	s_xor_b32 s0, exec_lo, s0
	s_cbranch_execz .LBB358_71
; %bb.66:                               ;   in Loop: Header=BB358_41 Depth=1
	s_mov_b32 s9, exec_lo
                                        ; implicit-def: $vgpr37
	v_cmpx_lt_u32_e32 0x3c7fffff, v39
	s_xor_b32 s9, exec_lo, s9
; %bb.67:                               ;   in Loop: Header=BB358_41 Depth=1
	v_bfe_u32 v37, v36, 4, 1
	s_delay_alu instid0(VALU_DEP_1) | instskip(NEXT) | instid1(VALU_DEP_1)
	v_add3_u32 v37, v38, v37, 0x407ffff
	v_and_b32_e32 v38, 0xff00000, v37
	v_lshrrev_b32_e32 v37, 20, v37
	s_delay_alu instid0(VALU_DEP_2) | instskip(NEXT) | instid1(VALU_DEP_2)
	v_cmp_ne_u32_e32 vcc_lo, 0x7f00000, v38
                                        ; implicit-def: $vgpr38
	v_cndmask_b32_e32 v37, 0x7e, v37, vcc_lo
; %bb.68:                               ;   in Loop: Header=BB358_41 Depth=1
	s_and_not1_saveexec_b32 s9, s9
; %bb.69:                               ;   in Loop: Header=BB358_41 Depth=1
	v_add_f32_e64 v37, 0x46800000, |v38|
; %bb.70:                               ;   in Loop: Header=BB358_41 Depth=1
	s_or_b32 exec_lo, exec_lo, s9
                                        ; implicit-def: $vgpr39
.LBB358_71:                             ;   in Loop: Header=BB358_41 Depth=1
	s_and_not1_saveexec_b32 s0, s0
; %bb.72:                               ;   in Loop: Header=BB358_41 Depth=1
	v_cmp_lt_u32_e32 vcc_lo, 0x7f800000, v39
	v_cndmask_b32_e32 v37, 0x7e, v27, vcc_lo
; %bb.73:                               ;   in Loop: Header=BB358_41 Depth=1
	s_or_b32 exec_lo, exec_lo, s0
	v_lshlrev_b32_e32 v40, 16, v30
	v_and_b32_e32 v38, 0xffff, v30
	s_mov_b32 s0, exec_lo
                                        ; implicit-def: $vgpr39
	s_delay_alu instid0(VALU_DEP_2) | instskip(NEXT) | instid1(VALU_DEP_1)
	v_and_b32_e32 v41, 0x7fffffff, v40
	v_cmpx_gt_u32_e32 0x43f00000, v41
	s_xor_b32 s0, exec_lo, s0
	s_cbranch_execz .LBB358_79
; %bb.74:                               ;   in Loop: Header=BB358_41 Depth=1
	s_mov_b32 s9, exec_lo
                                        ; implicit-def: $vgpr39
	v_cmpx_lt_u32_e32 0x3c7fffff, v41
	s_xor_b32 s9, exec_lo, s9
; %bb.75:                               ;   in Loop: Header=BB358_41 Depth=1
	v_bfe_u32 v39, v38, 4, 1
	s_delay_alu instid0(VALU_DEP_1) | instskip(NEXT) | instid1(VALU_DEP_1)
	v_add3_u32 v39, v40, v39, 0x407ffff
	v_and_b32_e32 v40, 0xff00000, v39
	v_lshrrev_b32_e32 v39, 20, v39
	s_delay_alu instid0(VALU_DEP_2) | instskip(NEXT) | instid1(VALU_DEP_2)
	v_cmp_ne_u32_e32 vcc_lo, 0x7f00000, v40
                                        ; implicit-def: $vgpr40
	v_cndmask_b32_e32 v39, 0x7e, v39, vcc_lo
; %bb.76:                               ;   in Loop: Header=BB358_41 Depth=1
	s_and_not1_saveexec_b32 s9, s9
; %bb.77:                               ;   in Loop: Header=BB358_41 Depth=1
	v_add_f32_e64 v39, 0x46800000, |v40|
; %bb.78:                               ;   in Loop: Header=BB358_41 Depth=1
	s_or_b32 exec_lo, exec_lo, s9
                                        ; implicit-def: $vgpr41
.LBB358_79:                             ;   in Loop: Header=BB358_41 Depth=1
	s_and_not1_saveexec_b32 s0, s0
; %bb.80:                               ;   in Loop: Header=BB358_41 Depth=1
	v_cmp_lt_u32_e32 vcc_lo, 0x7f800000, v41
	v_cndmask_b32_e32 v39, 0x7e, v27, vcc_lo
; %bb.81:                               ;   in Loop: Header=BB358_41 Depth=1
	s_or_b32 exec_lo, exec_lo, s0
	s_delay_alu instid0(SALU_CYCLE_1)
	s_mov_b32 s0, exec_lo
	v_cmpx_gt_u64_e64 s[2:3], v[5:6]
	s_xor_b32 s0, exec_lo, s0
	s_cbranch_execnz .LBB358_85
; %bb.82:                               ;   in Loop: Header=BB358_41 Depth=1
	s_or_b32 exec_lo, exec_lo, s0
	s_delay_alu instid0(SALU_CYCLE_1)
	s_mov_b32 s0, exec_lo
	v_cmpx_gt_u64_e64 s[2:3], v[7:8]
	s_cbranch_execnz .LBB358_86
.LBB358_83:                             ;   in Loop: Header=BB358_41 Depth=1
	s_or_b32 exec_lo, exec_lo, s0
	s_delay_alu instid0(SALU_CYCLE_1)
	s_mov_b32 s0, exec_lo
	v_cmpx_gt_u64_e64 s[2:3], v[9:10]
	s_cbranch_execnz .LBB358_87
.LBB358_84:                             ;   in Loop: Header=BB358_41 Depth=1
	s_or_b32 exec_lo, exec_lo, s0
	s_delay_alu instid0(SALU_CYCLE_1)
	s_mov_b32 s0, exec_lo
	v_cmpx_gt_u64_e64 s[2:3], v[11:12]
	s_cbranch_execz .LBB358_40
	s_branch .LBB358_88
.LBB358_85:                             ;   in Loop: Header=BB358_41 Depth=1
	v_lshrrev_b32_e32 v5, 8, v32
	s_delay_alu instid0(VALU_DEP_1) | instskip(SKIP_4) | instid1(SALU_CYCLE_1)
	v_and_or_b32 v32, 0x80, v5, v33
	v_add_co_u32 v5, vcc_lo, v13, s6
	v_add_co_ci_u32_e32 v6, vcc_lo, s7, v14, vcc_lo
	global_store_b8 v[5:6], v32, off
	s_or_b32 exec_lo, exec_lo, s0
	s_mov_b32 s0, exec_lo
	v_cmpx_gt_u64_e64 s[2:3], v[7:8]
	s_cbranch_execz .LBB358_83
.LBB358_86:                             ;   in Loop: Header=BB358_41 Depth=1
	v_lshrrev_b32_e32 v5, 8, v34
	s_delay_alu instid0(VALU_DEP_1) | instskip(SKIP_4) | instid1(SALU_CYCLE_1)
	v_and_or_b32 v7, 0x80, v5, v35
	v_add_co_u32 v5, vcc_lo, v25, s6
	v_add_co_ci_u32_e32 v6, vcc_lo, s7, v26, vcc_lo
	global_store_b8 v[5:6], v7, off
	s_or_b32 exec_lo, exec_lo, s0
	s_mov_b32 s0, exec_lo
	v_cmpx_gt_u64_e64 s[2:3], v[9:10]
	s_cbranch_execz .LBB358_84
.LBB358_87:                             ;   in Loop: Header=BB358_41 Depth=1
	v_lshrrev_b32_e32 v5, 8, v36
	s_delay_alu instid0(VALU_DEP_1) | instskip(SKIP_4) | instid1(SALU_CYCLE_1)
	v_and_or_b32 v7, 0x80, v5, v37
	v_add_co_u32 v5, vcc_lo, v20, s6
	v_add_co_ci_u32_e32 v6, vcc_lo, s7, v21, vcc_lo
	global_store_b8 v[5:6], v7, off
	s_or_b32 exec_lo, exec_lo, s0
	s_mov_b32 s0, exec_lo
	v_cmpx_gt_u64_e64 s[2:3], v[11:12]
	s_cbranch_execz .LBB358_40
.LBB358_88:                             ;   in Loop: Header=BB358_41 Depth=1
	v_lshrrev_b32_e32 v5, 8, v38
	s_delay_alu instid0(VALU_DEP_1)
	v_and_or_b32 v7, 0x80, v5, v39
	v_add_co_u32 v5, vcc_lo, v15, s6
	v_add_co_ci_u32_e32 v6, vcc_lo, s7, v16, vcc_lo
	global_store_b8 v[5:6], v7, off
	s_branch .LBB358_40
.LBB358_89:
	s_nop 0
	s_sendmsg sendmsg(MSG_DEALLOC_VGPRS)
	s_endpgm
	.section	.rodata,"a",@progbits
	.p2align	6, 0x0
	.amdhsa_kernel _ZN2at6native12_GLOBAL__N_125multi_tensor_apply_kernelINS1_18TensorListMetadataILi2EEENS1_11CopyFunctorIN3c1013Float8_e4m3fnENS6_8BFloat16ELi2ELi1ELi1EEEJNS0_4CopyIS7_S8_EEEEEvT_T0_DpT1_
		.amdhsa_group_segment_fixed_size 0
		.amdhsa_private_segment_fixed_size 0
		.amdhsa_kernarg_size 3408
		.amdhsa_user_sgpr_count 15
		.amdhsa_user_sgpr_dispatch_ptr 0
		.amdhsa_user_sgpr_queue_ptr 0
		.amdhsa_user_sgpr_kernarg_segment_ptr 1
		.amdhsa_user_sgpr_dispatch_id 0
		.amdhsa_user_sgpr_private_segment_size 0
		.amdhsa_wavefront_size32 1
		.amdhsa_uses_dynamic_stack 0
		.amdhsa_enable_private_segment 0
		.amdhsa_system_sgpr_workgroup_id_x 1
		.amdhsa_system_sgpr_workgroup_id_y 0
		.amdhsa_system_sgpr_workgroup_id_z 0
		.amdhsa_system_sgpr_workgroup_info 0
		.amdhsa_system_vgpr_workitem_id 0
		.amdhsa_next_free_vgpr 42
		.amdhsa_next_free_sgpr 20
		.amdhsa_reserve_vcc 1
		.amdhsa_float_round_mode_32 0
		.amdhsa_float_round_mode_16_64 0
		.amdhsa_float_denorm_mode_32 3
		.amdhsa_float_denorm_mode_16_64 3
		.amdhsa_dx10_clamp 1
		.amdhsa_ieee_mode 1
		.amdhsa_fp16_overflow 0
		.amdhsa_workgroup_processor_mode 1
		.amdhsa_memory_ordered 1
		.amdhsa_forward_progress 0
		.amdhsa_shared_vgpr_count 0
		.amdhsa_exception_fp_ieee_invalid_op 0
		.amdhsa_exception_fp_denorm_src 0
		.amdhsa_exception_fp_ieee_div_zero 0
		.amdhsa_exception_fp_ieee_overflow 0
		.amdhsa_exception_fp_ieee_underflow 0
		.amdhsa_exception_fp_ieee_inexact 0
		.amdhsa_exception_int_div_zero 0
	.end_amdhsa_kernel
	.section	.text._ZN2at6native12_GLOBAL__N_125multi_tensor_apply_kernelINS1_18TensorListMetadataILi2EEENS1_11CopyFunctorIN3c1013Float8_e4m3fnENS6_8BFloat16ELi2ELi1ELi1EEEJNS0_4CopyIS7_S8_EEEEEvT_T0_DpT1_,"axG",@progbits,_ZN2at6native12_GLOBAL__N_125multi_tensor_apply_kernelINS1_18TensorListMetadataILi2EEENS1_11CopyFunctorIN3c1013Float8_e4m3fnENS6_8BFloat16ELi2ELi1ELi1EEEJNS0_4CopyIS7_S8_EEEEEvT_T0_DpT1_,comdat
.Lfunc_end358:
	.size	_ZN2at6native12_GLOBAL__N_125multi_tensor_apply_kernelINS1_18TensorListMetadataILi2EEENS1_11CopyFunctorIN3c1013Float8_e4m3fnENS6_8BFloat16ELi2ELi1ELi1EEEJNS0_4CopyIS7_S8_EEEEEvT_T0_DpT1_, .Lfunc_end358-_ZN2at6native12_GLOBAL__N_125multi_tensor_apply_kernelINS1_18TensorListMetadataILi2EEENS1_11CopyFunctorIN3c1013Float8_e4m3fnENS6_8BFloat16ELi2ELi1ELi1EEEJNS0_4CopyIS7_S8_EEEEEvT_T0_DpT1_
                                        ; -- End function
	.section	.AMDGPU.csdata,"",@progbits
; Kernel info:
; codeLenInByte = 2780
; NumSgprs: 22
; NumVgprs: 42
; ScratchSize: 0
; MemoryBound: 0
; FloatMode: 240
; IeeeMode: 1
; LDSByteSize: 0 bytes/workgroup (compile time only)
; SGPRBlocks: 2
; VGPRBlocks: 5
; NumSGPRsForWavesPerEU: 22
; NumVGPRsForWavesPerEU: 42
; Occupancy: 16
; WaveLimiterHint : 0
; COMPUTE_PGM_RSRC2:SCRATCH_EN: 0
; COMPUTE_PGM_RSRC2:USER_SGPR: 15
; COMPUTE_PGM_RSRC2:TRAP_HANDLER: 0
; COMPUTE_PGM_RSRC2:TGID_X_EN: 1
; COMPUTE_PGM_RSRC2:TGID_Y_EN: 0
; COMPUTE_PGM_RSRC2:TGID_Z_EN: 0
; COMPUTE_PGM_RSRC2:TIDIG_COMP_CNT: 0
	.section	.text._ZN2at6native12_GLOBAL__N_125multi_tensor_apply_kernelINS1_18TensorListMetadataILi2EEENS1_11CopyFunctorIN3c1013Float8_e4m3fnEbLi2ELi1ELi1EEEJNS0_4CopyIS7_bEEEEEvT_T0_DpT1_,"axG",@progbits,_ZN2at6native12_GLOBAL__N_125multi_tensor_apply_kernelINS1_18TensorListMetadataILi2EEENS1_11CopyFunctorIN3c1013Float8_e4m3fnEbLi2ELi1ELi1EEEJNS0_4CopyIS7_bEEEEEvT_T0_DpT1_,comdat
	.globl	_ZN2at6native12_GLOBAL__N_125multi_tensor_apply_kernelINS1_18TensorListMetadataILi2EEENS1_11CopyFunctorIN3c1013Float8_e4m3fnEbLi2ELi1ELi1EEEJNS0_4CopyIS7_bEEEEEvT_T0_DpT1_ ; -- Begin function _ZN2at6native12_GLOBAL__N_125multi_tensor_apply_kernelINS1_18TensorListMetadataILi2EEENS1_11CopyFunctorIN3c1013Float8_e4m3fnEbLi2ELi1ELi1EEEJNS0_4CopyIS7_bEEEEEvT_T0_DpT1_
	.p2align	8
	.type	_ZN2at6native12_GLOBAL__N_125multi_tensor_apply_kernelINS1_18TensorListMetadataILi2EEENS1_11CopyFunctorIN3c1013Float8_e4m3fnEbLi2ELi1ELi1EEEJNS0_4CopyIS7_bEEEEEvT_T0_DpT1_,@function
_ZN2at6native12_GLOBAL__N_125multi_tensor_apply_kernelINS1_18TensorListMetadataILi2EEENS1_11CopyFunctorIN3c1013Float8_e4m3fnEbLi2ELi1ELi1EEEJNS0_4CopyIS7_bEEEEEvT_T0_DpT1_: ; @_ZN2at6native12_GLOBAL__N_125multi_tensor_apply_kernelINS1_18TensorListMetadataILi2EEENS1_11CopyFunctorIN3c1013Float8_e4m3fnEbLi2ELi1ELi1EEEJNS0_4CopyIS7_bEEEEEvT_T0_DpT1_
; %bb.0:
	v_mov_b32_e32 v1, s15
	s_add_u32 s2, s0, s15
	s_mul_i32 s4, s15, 3
	s_addc_u32 s3, s1, 0
	s_mul_hi_u32 s5, s15, 3
	global_load_u8 v1, v1, s[0:1] offset:1536
	s_add_u32 s2, s2, s4
	s_addc_u32 s3, s3, s5
	s_load_b32 s2, s[2:3], 0x740
	s_waitcnt vmcnt(0)
	v_readfirstlane_b32 s4, v1
	s_delay_alu instid0(VALU_DEP_1)
	s_lshl_b32 s3, s4, 3
	s_clause 0x2
	s_load_b64 s[8:9], s[0:1], s3 offset:0x0
	s_load_b64 s[10:11], s[0:1], s3 offset:0x200
	s_load_b64 s[6:7], s[0:1], s3 offset:0x400
	s_waitcnt lgkmcnt(0)
	s_ashr_i32 s3, s2, 31
	s_delay_alu instid0(SALU_CYCLE_1) | instskip(NEXT) | instid1(SALU_CYCLE_1)
	s_lshl_b64 s[12:13], s[2:3], 16
	s_add_u32 s5, s8, s12
	s_addc_u32 s16, s9, s13
	s_add_u32 s14, s10, s12
	s_addc_u32 s15, s11, s13
	s_delay_alu instid0(SALU_CYCLE_1) | instskip(NEXT) | instid1(SALU_CYCLE_1)
	s_or_b64 s[2:3], s[6:7], s[14:15]
	s_or_b32 s2, s5, s2
	s_delay_alu instid0(SALU_CYCLE_1)
	s_and_b32 s2, s2, 3
	s_sub_u32 s6, s6, s12
	s_subb_u32 s7, s7, s13
	s_cmp_eq_u32 s2, 0
	s_mov_b32 s2, -1
	s_cbranch_scc0 .LBB359_37
; %bb.1:
	v_dual_mov_b32 v2, 0 :: v_dual_lshlrev_b32 v1, 2, v0
	s_mov_b32 s17, exec_lo
	s_delay_alu instid0(VALU_DEP_1)
	v_cmpx_gt_i64_e64 s[6:7], v[1:2]
	s_cbranch_execz .LBB359_36
; %bb.2:
	s_load_b32 s2, s[0:1], 0xc5c
	v_mov_b32_e32 v3, 0x7f
	s_mov_b32 s19, 0
	s_waitcnt lgkmcnt(0)
	s_and_b32 s2, s2, 0xffff
	s_delay_alu instid0(SALU_CYCLE_1)
	s_lshl_b32 s18, s2, 2
	s_branch .LBB359_4
.LBB359_3:                              ;   in Loop: Header=BB359_4 Depth=1
	s_or_b32 exec_lo, exec_lo, s2
	v_add_co_u32 v8, vcc_lo, s14, v1
	v_add_co_ci_u32_e32 v9, vcc_lo, s15, v2, vcc_lo
	v_add_co_u32 v1, vcc_lo, s18, v1
	v_add_co_ci_u32_e32 v2, vcc_lo, 0, v2, vcc_lo
	v_lshlrev_b32_e32 v6, 16, v6
	v_lshlrev_b32_e32 v5, 8, v5
	v_and_b32_e32 v4, 0xff, v4
	s_delay_alu instid0(VALU_DEP_4) | instskip(SKIP_3) | instid1(VALU_DEP_3)
	v_cmp_le_i64_e32 vcc_lo, s[6:7], v[1:2]
	v_cmp_lt_u64_e64 s2, 0xffff, v[1:2]
	v_perm_b32 v6, v7, v6, 0x4020c0c
	v_and_b32_e32 v5, 0xff00, v5
	s_or_b32 s2, vcc_lo, s2
	s_delay_alu instid0(VALU_DEP_1) | instskip(SKIP_1) | instid1(SALU_CYCLE_1)
	v_or3_b32 v4, v6, v5, v4
	s_and_b32 s2, exec_lo, s2
	s_or_b32 s19, s2, s19
	global_store_b32 v[8:9], v4, off
	s_and_not1_b32 exec_lo, exec_lo, s19
	s_cbranch_execz .LBB359_36
.LBB359_4:                              ; =>This Inner Loop Header: Depth=1
	v_add_co_u32 v4, vcc_lo, s5, v1
	v_add_co_ci_u32_e32 v5, vcc_lo, s16, v2, vcc_lo
	s_mov_b32 s20, exec_lo
	global_load_b32 v4, v[4:5], off
	s_waitcnt vmcnt(0)
	v_lshrrev_b16 v5, 8, v4
	v_and_b32_e32 v6, 1, v4
	v_and_b32_e32 v7, 0x1000000, v4
	;; [unrolled: 1-line block ×3, first 2 shown]
	s_delay_alu instid0(VALU_DEP_4) | instskip(NEXT) | instid1(VALU_DEP_4)
	v_and_b32_e32 v8, 1, v5
	v_cmp_eq_u32_e32 vcc_lo, 1, v6
	s_delay_alu instid0(VALU_DEP_3) | instskip(NEXT) | instid1(VALU_DEP_3)
	v_cmp_ne_u32_e64 s2, 0, v4
                                        ; implicit-def: $vgpr4
	v_cmp_eq_u32_e64 s3, 1, v8
	v_cndmask_b32_e64 v5, 0, 1.0, vcc_lo
	v_cmp_ne_u32_e32 vcc_lo, 0, v7
	s_delay_alu instid0(VALU_DEP_2)
	v_cmpx_gt_u32_e32 0x43f00000, v5
	s_xor_b32 s20, exec_lo, s20
	s_cbranch_execz .LBB359_10
; %bb.5:                                ;   in Loop: Header=BB359_4 Depth=1
	s_mov_b32 s21, exec_lo
                                        ; implicit-def: $vgpr4
	v_cmpx_lt_u32_e32 0x3c7fffff, v5
	s_xor_b32 s21, exec_lo, s21
; %bb.6:                                ;   in Loop: Header=BB359_4 Depth=1
	v_bfe_u32 v4, v5, 20, 1
	s_delay_alu instid0(VALU_DEP_1) | instskip(NEXT) | instid1(VALU_DEP_1)
	v_add3_u32 v4, v5, v4, 0x407ffff
	v_and_b32_e32 v5, 0xff00000, v4
	v_lshrrev_b32_e32 v4, 20, v4
	s_delay_alu instid0(VALU_DEP_2) | instskip(NEXT) | instid1(VALU_DEP_1)
	v_cmp_ne_u32_e64 s4, 0x7f00000, v5
                                        ; implicit-def: $vgpr5
	v_cndmask_b32_e64 v4, 0x7e, v4, s4
; %bb.7:                                ;   in Loop: Header=BB359_4 Depth=1
	s_and_not1_saveexec_b32 s4, s21
; %bb.8:                                ;   in Loop: Header=BB359_4 Depth=1
	v_add_f32_e32 v4, 0x46800000, v5
; %bb.9:                                ;   in Loop: Header=BB359_4 Depth=1
	s_or_b32 exec_lo, exec_lo, s4
                                        ; implicit-def: $vgpr5
.LBB359_10:                             ;   in Loop: Header=BB359_4 Depth=1
	s_and_not1_saveexec_b32 s20, s20
; %bb.11:                               ;   in Loop: Header=BB359_4 Depth=1
	v_cmp_lt_u32_e64 s4, 0x7f800000, v5
	s_delay_alu instid0(VALU_DEP_1)
	v_cndmask_b32_e64 v4, 0x7e, v3, s4
; %bb.12:                               ;   in Loop: Header=BB359_4 Depth=1
	s_or_b32 exec_lo, exec_lo, s20
	v_cndmask_b32_e64 v6, 0, 1.0, s3
	s_mov_b32 s4, exec_lo
                                        ; implicit-def: $vgpr5
	s_delay_alu instid0(VALU_DEP_1)
	v_cmpx_gt_u32_e32 0x43f00000, v6
	s_xor_b32 s4, exec_lo, s4
	s_cbranch_execz .LBB359_18
; %bb.13:                               ;   in Loop: Header=BB359_4 Depth=1
	s_mov_b32 s20, exec_lo
                                        ; implicit-def: $vgpr5
	v_cmpx_lt_u32_e32 0x3c7fffff, v6
	s_xor_b32 s20, exec_lo, s20
; %bb.14:                               ;   in Loop: Header=BB359_4 Depth=1
	v_bfe_u32 v5, v6, 20, 1
	s_delay_alu instid0(VALU_DEP_1) | instskip(NEXT) | instid1(VALU_DEP_1)
	v_add3_u32 v5, v6, v5, 0x407ffff
	v_and_b32_e32 v6, 0xff00000, v5
	v_lshrrev_b32_e32 v5, 20, v5
	s_delay_alu instid0(VALU_DEP_2) | instskip(NEXT) | instid1(VALU_DEP_1)
	v_cmp_ne_u32_e64 s3, 0x7f00000, v6
                                        ; implicit-def: $vgpr6
	v_cndmask_b32_e64 v5, 0x7e, v5, s3
; %bb.15:                               ;   in Loop: Header=BB359_4 Depth=1
	s_and_not1_saveexec_b32 s3, s20
; %bb.16:                               ;   in Loop: Header=BB359_4 Depth=1
	v_add_f32_e32 v5, 0x46800000, v6
; %bb.17:                               ;   in Loop: Header=BB359_4 Depth=1
	s_or_b32 exec_lo, exec_lo, s3
                                        ; implicit-def: $vgpr6
.LBB359_18:                             ;   in Loop: Header=BB359_4 Depth=1
	s_and_not1_saveexec_b32 s4, s4
; %bb.19:                               ;   in Loop: Header=BB359_4 Depth=1
	v_cmp_lt_u32_e64 s3, 0x7f800000, v6
	s_delay_alu instid0(VALU_DEP_1)
	v_cndmask_b32_e64 v5, 0x7e, v3, s3
; %bb.20:                               ;   in Loop: Header=BB359_4 Depth=1
	s_or_b32 exec_lo, exec_lo, s4
	v_cndmask_b32_e64 v7, 0, 1.0, s2
	s_mov_b32 s3, exec_lo
                                        ; implicit-def: $vgpr6
	s_delay_alu instid0(VALU_DEP_1)
	v_cmpx_gt_u32_e32 0x43f00000, v7
	s_xor_b32 s3, exec_lo, s3
	s_cbranch_execz .LBB359_26
; %bb.21:                               ;   in Loop: Header=BB359_4 Depth=1
	s_mov_b32 s4, exec_lo
                                        ; implicit-def: $vgpr6
	v_cmpx_lt_u32_e32 0x3c7fffff, v7
	s_xor_b32 s4, exec_lo, s4
; %bb.22:                               ;   in Loop: Header=BB359_4 Depth=1
	v_bfe_u32 v6, v7, 20, 1
	s_delay_alu instid0(VALU_DEP_1) | instskip(NEXT) | instid1(VALU_DEP_1)
	v_add3_u32 v6, v7, v6, 0x407ffff
	v_and_b32_e32 v7, 0xff00000, v6
	v_lshrrev_b32_e32 v6, 20, v6
	s_delay_alu instid0(VALU_DEP_2) | instskip(NEXT) | instid1(VALU_DEP_1)
	v_cmp_ne_u32_e64 s2, 0x7f00000, v7
                                        ; implicit-def: $vgpr7
	v_cndmask_b32_e64 v6, 0x7e, v6, s2
; %bb.23:                               ;   in Loop: Header=BB359_4 Depth=1
	s_and_not1_saveexec_b32 s2, s4
; %bb.24:                               ;   in Loop: Header=BB359_4 Depth=1
	v_add_f32_e32 v6, 0x46800000, v7
; %bb.25:                               ;   in Loop: Header=BB359_4 Depth=1
	s_or_b32 exec_lo, exec_lo, s2
                                        ; implicit-def: $vgpr7
.LBB359_26:                             ;   in Loop: Header=BB359_4 Depth=1
	s_and_not1_saveexec_b32 s3, s3
; %bb.27:                               ;   in Loop: Header=BB359_4 Depth=1
	v_cmp_lt_u32_e64 s2, 0x7f800000, v7
	s_delay_alu instid0(VALU_DEP_1)
	v_cndmask_b32_e64 v6, 0x7e, v3, s2
; %bb.28:                               ;   in Loop: Header=BB359_4 Depth=1
	s_or_b32 exec_lo, exec_lo, s3
	v_cndmask_b32_e64 v8, 0, 1.0, vcc_lo
	s_mov_b32 s2, exec_lo
                                        ; implicit-def: $vgpr7
	s_delay_alu instid0(VALU_DEP_1)
	v_cmpx_gt_u32_e32 0x43f00000, v8
	s_xor_b32 s2, exec_lo, s2
	s_cbranch_execz .LBB359_34
; %bb.29:                               ;   in Loop: Header=BB359_4 Depth=1
	s_mov_b32 s3, exec_lo
                                        ; implicit-def: $vgpr7
	v_cmpx_lt_u32_e32 0x3c7fffff, v8
	s_xor_b32 s3, exec_lo, s3
; %bb.30:                               ;   in Loop: Header=BB359_4 Depth=1
	v_bfe_u32 v7, v8, 20, 1
	s_delay_alu instid0(VALU_DEP_1) | instskip(NEXT) | instid1(VALU_DEP_1)
	v_add3_u32 v7, v8, v7, 0x407ffff
	v_and_b32_e32 v8, 0xff00000, v7
	v_lshrrev_b32_e32 v7, 20, v7
	s_delay_alu instid0(VALU_DEP_2) | instskip(NEXT) | instid1(VALU_DEP_2)
	v_cmp_ne_u32_e32 vcc_lo, 0x7f00000, v8
                                        ; implicit-def: $vgpr8
	v_cndmask_b32_e32 v7, 0x7e, v7, vcc_lo
; %bb.31:                               ;   in Loop: Header=BB359_4 Depth=1
	s_and_not1_saveexec_b32 s3, s3
; %bb.32:                               ;   in Loop: Header=BB359_4 Depth=1
	v_add_f32_e32 v7, 0x46800000, v8
; %bb.33:                               ;   in Loop: Header=BB359_4 Depth=1
	s_or_b32 exec_lo, exec_lo, s3
                                        ; implicit-def: $vgpr8
.LBB359_34:                             ;   in Loop: Header=BB359_4 Depth=1
	s_and_not1_saveexec_b32 s2, s2
	s_cbranch_execz .LBB359_3
; %bb.35:                               ;   in Loop: Header=BB359_4 Depth=1
	v_cmp_lt_u32_e32 vcc_lo, 0x7f800000, v8
	v_cndmask_b32_e32 v7, 0x7e, v3, vcc_lo
	s_branch .LBB359_3
.LBB359_36:
	s_or_b32 exec_lo, exec_lo, s17
	s_mov_b32 s2, 0
.LBB359_37:
	s_delay_alu instid0(SALU_CYCLE_1)
	s_and_not1_b32 vcc_lo, exec_lo, s2
	s_cbranch_vccnz .LBB359_89
; %bb.38:
	v_cmp_lt_i64_e64 s2, s[6:7], 1
	s_delay_alu instid0(VALU_DEP_1)
	s_and_b32 vcc_lo, exec_lo, s2
	s_cbranch_vccnz .LBB359_89
; %bb.39:
	s_load_b32 s0, s[0:1], 0xc5c
	v_add_co_u32 v1, s1, s12, v0
	s_delay_alu instid0(VALU_DEP_1) | instskip(SKIP_1) | instid1(VALU_DEP_3)
	v_add_co_ci_u32_e64 v2, null, s13, 0, s1
	v_cmp_gt_u64_e64 s1, 0x10000, s[6:7]
	v_add_co_u32 v9, vcc_lo, s8, v1
	s_delay_alu instid0(VALU_DEP_3)
	v_add_co_ci_u32_e32 v10, vcc_lo, s9, v2, vcc_lo
	v_add_co_u32 v11, vcc_lo, s10, v1
	v_add_co_ci_u32_e32 v12, vcc_lo, s11, v2, vcc_lo
	v_mov_b32_e32 v31, 0x7f
                                        ; implicit-def: $vgpr32
                                        ; implicit-def: $vgpr33
                                        ; implicit-def: $vgpr34
                                        ; implicit-def: $vgpr35
	s_waitcnt lgkmcnt(0)
	s_and_b32 s0, s0, 0xffff
	s_and_b32 s1, s1, exec_lo
	s_mul_i32 s2, s0, 3
	s_cselect_b32 s5, s7, 0
	s_cselect_b32 s4, s6, 0x10000
	s_lshl_b32 s1, s0, 1
	s_lshl_b32 s3, s0, 2
	s_add_u32 s14, s12, s2
	s_addc_u32 s15, s13, 0
	v_add_co_u32 v3, s14, s14, v0
	s_delay_alu instid0(VALU_DEP_1) | instskip(SKIP_1) | instid1(VALU_DEP_2)
	v_add_co_ci_u32_e64 v4, null, s15, 0, s14
	s_add_u32 s12, s12, s1
	v_add_co_u32 v13, vcc_lo, s8, v3
	s_delay_alu instid0(VALU_DEP_2)
	v_add_co_ci_u32_e32 v14, vcc_lo, s9, v4, vcc_lo
	v_add_co_u32 v15, vcc_lo, s10, v3
	s_addc_u32 s13, s13, 0
	v_add_co_u32 v3, s12, s12, v0
	v_add_co_ci_u32_e32 v16, vcc_lo, s11, v4, vcc_lo
	v_add_co_ci_u32_e64 v4, null, s13, 0, s12
	s_delay_alu instid0(VALU_DEP_3) | instskip(SKIP_1) | instid1(VALU_DEP_3)
	v_add_co_u32 v19, vcc_lo, s8, v3
	v_add_co_u32 v17, s2, s2, v0
	v_add_co_ci_u32_e32 v20, vcc_lo, s9, v4, vcc_lo
	v_add_co_u32 v21, vcc_lo, s10, v3
	v_add_co_ci_u32_e32 v22, vcc_lo, s11, v4, vcc_lo
	v_add_co_u32 v1, vcc_lo, v1, s0
	v_add_co_ci_u32_e32 v2, vcc_lo, 0, v2, vcc_lo
	v_add_co_u32 v23, s1, s1, v0
	s_delay_alu instid0(VALU_DEP_3) | instskip(NEXT) | instid1(VALU_DEP_3)
	v_add_co_u32 v25, vcc_lo, s8, v1
	v_add_co_ci_u32_e32 v26, vcc_lo, s9, v2, vcc_lo
	v_add_co_u32 v27, vcc_lo, s10, v1
	v_add_co_u32 v29, s0, v0, s0
	v_add_co_ci_u32_e64 v18, null, 0, 0, s2
	v_add_co_ci_u32_e64 v24, null, 0, 0, s1
	v_add_co_ci_u32_e32 v28, vcc_lo, s11, v2, vcc_lo
	v_add_co_ci_u32_e64 v30, null, 0, 0, s0
	s_mov_b64 s[8:9], 0
	s_branch .LBB359_41
.LBB359_40:                             ;   in Loop: Header=BB359_41 Depth=1
	s_or_b32 exec_lo, exec_lo, s0
	s_add_u32 s8, s8, s3
	s_addc_u32 s9, s9, 0
	s_delay_alu instid0(SALU_CYCLE_1) | instskip(SKIP_1) | instid1(VALU_DEP_1)
	v_cmp_ge_i64_e64 s0, s[8:9], s[6:7]
	v_cmp_lt_u64_e64 s1, 0xffff, s[8:9]
	s_or_b32 s0, s0, s1
	s_delay_alu instid0(SALU_CYCLE_1)
	s_and_b32 vcc_lo, exec_lo, s0
	s_cbranch_vccnz .LBB359_89
.LBB359_41:                             ; =>This Inner Loop Header: Depth=1
	v_add_co_u32 v1, s0, v0, s8
	s_delay_alu instid0(VALU_DEP_1) | instskip(NEXT) | instid1(VALU_DEP_1)
	v_add_co_ci_u32_e64 v2, null, 0, s9, s0
	v_cmp_gt_i64_e32 vcc_lo, s[6:7], v[1:2]
	v_cmp_gt_u64_e64 s0, 0x10000, v[1:2]
	s_delay_alu instid0(VALU_DEP_1) | instskip(NEXT) | instid1(SALU_CYCLE_1)
	s_and_b32 s1, vcc_lo, s0
	s_and_saveexec_b32 s0, s1
	s_cbranch_execz .LBB359_43
; %bb.42:                               ;   in Loop: Header=BB359_41 Depth=1
	v_add_co_u32 v3, vcc_lo, v9, s8
	v_add_co_ci_u32_e32 v4, vcc_lo, s9, v10, vcc_lo
	global_load_u8 v32, v[3:4], off
.LBB359_43:                             ;   in Loop: Header=BB359_41 Depth=1
	s_or_b32 exec_lo, exec_lo, s0
	v_add_co_u32 v3, vcc_lo, v29, s8
	v_add_co_ci_u32_e32 v4, vcc_lo, s9, v30, vcc_lo
	s_delay_alu instid0(VALU_DEP_1) | instskip(SKIP_1) | instid1(VALU_DEP_1)
	v_cmp_gt_i64_e32 vcc_lo, s[6:7], v[3:4]
	v_cmp_gt_u64_e64 s0, 0x10000, v[3:4]
	s_and_b32 s1, vcc_lo, s0
	s_delay_alu instid0(SALU_CYCLE_1)
	s_and_saveexec_b32 s0, s1
	s_cbranch_execz .LBB359_45
; %bb.44:                               ;   in Loop: Header=BB359_41 Depth=1
	v_add_co_u32 v5, vcc_lo, v25, s8
	v_add_co_ci_u32_e32 v6, vcc_lo, s9, v26, vcc_lo
	global_load_u8 v33, v[5:6], off
.LBB359_45:                             ;   in Loop: Header=BB359_41 Depth=1
	s_or_b32 exec_lo, exec_lo, s0
	v_add_co_u32 v5, vcc_lo, v23, s8
	v_add_co_ci_u32_e32 v6, vcc_lo, s9, v24, vcc_lo
	s_delay_alu instid0(VALU_DEP_1) | instskip(SKIP_1) | instid1(VALU_DEP_1)
	v_cmp_gt_i64_e32 vcc_lo, s[6:7], v[5:6]
	v_cmp_gt_u64_e64 s0, 0x10000, v[5:6]
	s_and_b32 s1, vcc_lo, s0
	s_delay_alu instid0(SALU_CYCLE_1)
	;; [unrolled: 15-line block ×3, first 2 shown]
	s_and_saveexec_b32 s0, s1
	s_cbranch_execz .LBB359_49
; %bb.48:                               ;   in Loop: Header=BB359_41 Depth=1
	v_add_co_u32 v35, vcc_lo, v13, s8
	v_add_co_ci_u32_e32 v36, vcc_lo, s9, v14, vcc_lo
	global_load_u8 v35, v[35:36], off
.LBB359_49:                             ;   in Loop: Header=BB359_41 Depth=1
	s_or_b32 exec_lo, exec_lo, s0
	s_waitcnt vmcnt(0)
	v_and_b32_e32 v36, 1, v32
	v_and_b32_e32 v38, 1, v33
	;; [unrolled: 1-line block ×4, first 2 shown]
	s_mov_b32 s10, exec_lo
	v_cmp_eq_u32_e32 vcc_lo, 1, v36
	v_cmp_eq_u32_e64 s1, 1, v38
	v_cmp_eq_u32_e64 s0, 1, v39
                                        ; implicit-def: $vgpr36
	v_cndmask_b32_e64 v37, 0, 1.0, vcc_lo
	v_cmp_eq_u32_e32 vcc_lo, 1, v40
	s_delay_alu instid0(VALU_DEP_2)
	v_cmpx_gt_u32_e32 0x43f00000, v37
	s_xor_b32 s10, exec_lo, s10
	s_cbranch_execz .LBB359_55
; %bb.50:                               ;   in Loop: Header=BB359_41 Depth=1
	s_mov_b32 s11, exec_lo
                                        ; implicit-def: $vgpr36
	v_cmpx_lt_u32_e32 0x3c7fffff, v37
	s_xor_b32 s11, exec_lo, s11
; %bb.51:                               ;   in Loop: Header=BB359_41 Depth=1
	v_bfe_u32 v36, v37, 20, 1
	s_delay_alu instid0(VALU_DEP_1) | instskip(NEXT) | instid1(VALU_DEP_1)
	v_add3_u32 v36, v37, v36, 0x407ffff
	v_and_b32_e32 v37, 0xff00000, v36
	v_lshrrev_b32_e32 v36, 20, v36
	s_delay_alu instid0(VALU_DEP_2) | instskip(NEXT) | instid1(VALU_DEP_1)
	v_cmp_ne_u32_e64 s2, 0x7f00000, v37
                                        ; implicit-def: $vgpr37
	v_cndmask_b32_e64 v36, 0x7e, v36, s2
; %bb.52:                               ;   in Loop: Header=BB359_41 Depth=1
	s_and_not1_saveexec_b32 s2, s11
; %bb.53:                               ;   in Loop: Header=BB359_41 Depth=1
	v_add_f32_e32 v36, 0x46800000, v37
; %bb.54:                               ;   in Loop: Header=BB359_41 Depth=1
	s_or_b32 exec_lo, exec_lo, s2
                                        ; implicit-def: $vgpr37
.LBB359_55:                             ;   in Loop: Header=BB359_41 Depth=1
	s_and_not1_saveexec_b32 s10, s10
; %bb.56:                               ;   in Loop: Header=BB359_41 Depth=1
	v_cmp_lt_u32_e64 s2, 0x7f800000, v37
	s_delay_alu instid0(VALU_DEP_1)
	v_cndmask_b32_e64 v36, 0x7e, v31, s2
; %bb.57:                               ;   in Loop: Header=BB359_41 Depth=1
	s_or_b32 exec_lo, exec_lo, s10
	v_cndmask_b32_e64 v38, 0, 1.0, s1
	s_mov_b32 s2, exec_lo
                                        ; implicit-def: $vgpr37
	s_delay_alu instid0(VALU_DEP_1)
	v_cmpx_gt_u32_e32 0x43f00000, v38
	s_xor_b32 s2, exec_lo, s2
	s_cbranch_execz .LBB359_63
; %bb.58:                               ;   in Loop: Header=BB359_41 Depth=1
	s_mov_b32 s10, exec_lo
                                        ; implicit-def: $vgpr37
	v_cmpx_lt_u32_e32 0x3c7fffff, v38
	s_xor_b32 s10, exec_lo, s10
; %bb.59:                               ;   in Loop: Header=BB359_41 Depth=1
	v_bfe_u32 v37, v38, 20, 1
	s_delay_alu instid0(VALU_DEP_1) | instskip(NEXT) | instid1(VALU_DEP_1)
	v_add3_u32 v37, v38, v37, 0x407ffff
	v_and_b32_e32 v38, 0xff00000, v37
	v_lshrrev_b32_e32 v37, 20, v37
	s_delay_alu instid0(VALU_DEP_2) | instskip(NEXT) | instid1(VALU_DEP_1)
	v_cmp_ne_u32_e64 s1, 0x7f00000, v38
                                        ; implicit-def: $vgpr38
	v_cndmask_b32_e64 v37, 0x7e, v37, s1
; %bb.60:                               ;   in Loop: Header=BB359_41 Depth=1
	s_and_not1_saveexec_b32 s1, s10
; %bb.61:                               ;   in Loop: Header=BB359_41 Depth=1
	v_add_f32_e32 v37, 0x46800000, v38
; %bb.62:                               ;   in Loop: Header=BB359_41 Depth=1
	s_or_b32 exec_lo, exec_lo, s1
                                        ; implicit-def: $vgpr38
.LBB359_63:                             ;   in Loop: Header=BB359_41 Depth=1
	s_and_not1_saveexec_b32 s2, s2
; %bb.64:                               ;   in Loop: Header=BB359_41 Depth=1
	v_cmp_lt_u32_e64 s1, 0x7f800000, v38
	s_delay_alu instid0(VALU_DEP_1)
	v_cndmask_b32_e64 v37, 0x7e, v31, s1
; %bb.65:                               ;   in Loop: Header=BB359_41 Depth=1
	s_or_b32 exec_lo, exec_lo, s2
	v_cndmask_b32_e64 v39, 0, 1.0, s0
	s_mov_b32 s1, exec_lo
                                        ; implicit-def: $vgpr38
	s_delay_alu instid0(VALU_DEP_1)
	v_cmpx_gt_u32_e32 0x43f00000, v39
	s_xor_b32 s1, exec_lo, s1
	s_cbranch_execz .LBB359_71
; %bb.66:                               ;   in Loop: Header=BB359_41 Depth=1
	s_mov_b32 s2, exec_lo
                                        ; implicit-def: $vgpr38
	v_cmpx_lt_u32_e32 0x3c7fffff, v39
	s_xor_b32 s2, exec_lo, s2
; %bb.67:                               ;   in Loop: Header=BB359_41 Depth=1
	v_bfe_u32 v38, v39, 20, 1
	s_delay_alu instid0(VALU_DEP_1) | instskip(NEXT) | instid1(VALU_DEP_1)
	v_add3_u32 v38, v39, v38, 0x407ffff
	v_and_b32_e32 v39, 0xff00000, v38
	v_lshrrev_b32_e32 v38, 20, v38
	s_delay_alu instid0(VALU_DEP_2) | instskip(NEXT) | instid1(VALU_DEP_1)
	v_cmp_ne_u32_e64 s0, 0x7f00000, v39
                                        ; implicit-def: $vgpr39
	v_cndmask_b32_e64 v38, 0x7e, v38, s0
; %bb.68:                               ;   in Loop: Header=BB359_41 Depth=1
	s_and_not1_saveexec_b32 s0, s2
; %bb.69:                               ;   in Loop: Header=BB359_41 Depth=1
	v_add_f32_e32 v38, 0x46800000, v39
; %bb.70:                               ;   in Loop: Header=BB359_41 Depth=1
	s_or_b32 exec_lo, exec_lo, s0
                                        ; implicit-def: $vgpr39
.LBB359_71:                             ;   in Loop: Header=BB359_41 Depth=1
	s_and_not1_saveexec_b32 s1, s1
; %bb.72:                               ;   in Loop: Header=BB359_41 Depth=1
	v_cmp_lt_u32_e64 s0, 0x7f800000, v39
	s_delay_alu instid0(VALU_DEP_1)
	v_cndmask_b32_e64 v38, 0x7e, v31, s0
; %bb.73:                               ;   in Loop: Header=BB359_41 Depth=1
	s_or_b32 exec_lo, exec_lo, s1
	v_cndmask_b32_e64 v40, 0, 1.0, vcc_lo
	s_mov_b32 s0, exec_lo
                                        ; implicit-def: $vgpr39
	s_delay_alu instid0(VALU_DEP_1)
	v_cmpx_gt_u32_e32 0x43f00000, v40
	s_xor_b32 s0, exec_lo, s0
	s_cbranch_execz .LBB359_79
; %bb.74:                               ;   in Loop: Header=BB359_41 Depth=1
	s_mov_b32 s1, exec_lo
                                        ; implicit-def: $vgpr39
	v_cmpx_lt_u32_e32 0x3c7fffff, v40
	s_xor_b32 s1, exec_lo, s1
; %bb.75:                               ;   in Loop: Header=BB359_41 Depth=1
	v_bfe_u32 v39, v40, 20, 1
	s_delay_alu instid0(VALU_DEP_1) | instskip(NEXT) | instid1(VALU_DEP_1)
	v_add3_u32 v39, v40, v39, 0x407ffff
	v_and_b32_e32 v40, 0xff00000, v39
	v_lshrrev_b32_e32 v39, 20, v39
	s_delay_alu instid0(VALU_DEP_2) | instskip(NEXT) | instid1(VALU_DEP_2)
	v_cmp_ne_u32_e32 vcc_lo, 0x7f00000, v40
                                        ; implicit-def: $vgpr40
	v_cndmask_b32_e32 v39, 0x7e, v39, vcc_lo
; %bb.76:                               ;   in Loop: Header=BB359_41 Depth=1
	s_and_not1_saveexec_b32 s1, s1
; %bb.77:                               ;   in Loop: Header=BB359_41 Depth=1
	v_add_f32_e32 v39, 0x46800000, v40
; %bb.78:                               ;   in Loop: Header=BB359_41 Depth=1
	s_or_b32 exec_lo, exec_lo, s1
                                        ; implicit-def: $vgpr40
.LBB359_79:                             ;   in Loop: Header=BB359_41 Depth=1
	s_and_not1_saveexec_b32 s0, s0
; %bb.80:                               ;   in Loop: Header=BB359_41 Depth=1
	v_cmp_lt_u32_e32 vcc_lo, 0x7f800000, v40
	v_cndmask_b32_e32 v39, 0x7e, v31, vcc_lo
; %bb.81:                               ;   in Loop: Header=BB359_41 Depth=1
	s_or_b32 exec_lo, exec_lo, s0
	s_delay_alu instid0(SALU_CYCLE_1)
	s_mov_b32 s0, exec_lo
	v_cmpx_gt_u64_e64 s[4:5], v[1:2]
	s_xor_b32 s0, exec_lo, s0
	s_cbranch_execnz .LBB359_85
; %bb.82:                               ;   in Loop: Header=BB359_41 Depth=1
	s_or_b32 exec_lo, exec_lo, s0
	s_delay_alu instid0(SALU_CYCLE_1)
	s_mov_b32 s0, exec_lo
	v_cmpx_gt_u64_e64 s[4:5], v[3:4]
	s_cbranch_execnz .LBB359_86
.LBB359_83:                             ;   in Loop: Header=BB359_41 Depth=1
	s_or_b32 exec_lo, exec_lo, s0
	s_delay_alu instid0(SALU_CYCLE_1)
	s_mov_b32 s0, exec_lo
	v_cmpx_gt_u64_e64 s[4:5], v[5:6]
	s_cbranch_execnz .LBB359_87
.LBB359_84:                             ;   in Loop: Header=BB359_41 Depth=1
	s_or_b32 exec_lo, exec_lo, s0
	s_delay_alu instid0(SALU_CYCLE_1)
	s_mov_b32 s0, exec_lo
	v_cmpx_gt_u64_e64 s[4:5], v[7:8]
	s_cbranch_execz .LBB359_40
	s_branch .LBB359_88
.LBB359_85:                             ;   in Loop: Header=BB359_41 Depth=1
	v_add_co_u32 v1, vcc_lo, v11, s8
	v_add_co_ci_u32_e32 v2, vcc_lo, s9, v12, vcc_lo
	global_store_b8 v[1:2], v36, off
	s_or_b32 exec_lo, exec_lo, s0
	s_delay_alu instid0(SALU_CYCLE_1)
	s_mov_b32 s0, exec_lo
	v_cmpx_gt_u64_e64 s[4:5], v[3:4]
	s_cbranch_execz .LBB359_83
.LBB359_86:                             ;   in Loop: Header=BB359_41 Depth=1
	v_add_co_u32 v1, vcc_lo, v27, s8
	v_add_co_ci_u32_e32 v2, vcc_lo, s9, v28, vcc_lo
	global_store_b8 v[1:2], v37, off
	s_or_b32 exec_lo, exec_lo, s0
	s_delay_alu instid0(SALU_CYCLE_1)
	s_mov_b32 s0, exec_lo
	v_cmpx_gt_u64_e64 s[4:5], v[5:6]
	s_cbranch_execz .LBB359_84
.LBB359_87:                             ;   in Loop: Header=BB359_41 Depth=1
	v_add_co_u32 v1, vcc_lo, v21, s8
	v_add_co_ci_u32_e32 v2, vcc_lo, s9, v22, vcc_lo
	global_store_b8 v[1:2], v38, off
	s_or_b32 exec_lo, exec_lo, s0
	s_delay_alu instid0(SALU_CYCLE_1)
	s_mov_b32 s0, exec_lo
	v_cmpx_gt_u64_e64 s[4:5], v[7:8]
	s_cbranch_execz .LBB359_40
.LBB359_88:                             ;   in Loop: Header=BB359_41 Depth=1
	v_add_co_u32 v1, vcc_lo, v15, s8
	v_add_co_ci_u32_e32 v2, vcc_lo, s9, v16, vcc_lo
	global_store_b8 v[1:2], v39, off
	s_branch .LBB359_40
.LBB359_89:
	s_nop 0
	s_sendmsg sendmsg(MSG_DEALLOC_VGPRS)
	s_endpgm
	.section	.rodata,"a",@progbits
	.p2align	6, 0x0
	.amdhsa_kernel _ZN2at6native12_GLOBAL__N_125multi_tensor_apply_kernelINS1_18TensorListMetadataILi2EEENS1_11CopyFunctorIN3c1013Float8_e4m3fnEbLi2ELi1ELi1EEEJNS0_4CopyIS7_bEEEEEvT_T0_DpT1_
		.amdhsa_group_segment_fixed_size 0
		.amdhsa_private_segment_fixed_size 0
		.amdhsa_kernarg_size 3408
		.amdhsa_user_sgpr_count 15
		.amdhsa_user_sgpr_dispatch_ptr 0
		.amdhsa_user_sgpr_queue_ptr 0
		.amdhsa_user_sgpr_kernarg_segment_ptr 1
		.amdhsa_user_sgpr_dispatch_id 0
		.amdhsa_user_sgpr_private_segment_size 0
		.amdhsa_wavefront_size32 1
		.amdhsa_uses_dynamic_stack 0
		.amdhsa_enable_private_segment 0
		.amdhsa_system_sgpr_workgroup_id_x 1
		.amdhsa_system_sgpr_workgroup_id_y 0
		.amdhsa_system_sgpr_workgroup_id_z 0
		.amdhsa_system_sgpr_workgroup_info 0
		.amdhsa_system_vgpr_workitem_id 0
		.amdhsa_next_free_vgpr 41
		.amdhsa_next_free_sgpr 22
		.amdhsa_reserve_vcc 1
		.amdhsa_float_round_mode_32 0
		.amdhsa_float_round_mode_16_64 0
		.amdhsa_float_denorm_mode_32 3
		.amdhsa_float_denorm_mode_16_64 3
		.amdhsa_dx10_clamp 1
		.amdhsa_ieee_mode 1
		.amdhsa_fp16_overflow 0
		.amdhsa_workgroup_processor_mode 1
		.amdhsa_memory_ordered 1
		.amdhsa_forward_progress 0
		.amdhsa_shared_vgpr_count 0
		.amdhsa_exception_fp_ieee_invalid_op 0
		.amdhsa_exception_fp_denorm_src 0
		.amdhsa_exception_fp_ieee_div_zero 0
		.amdhsa_exception_fp_ieee_overflow 0
		.amdhsa_exception_fp_ieee_underflow 0
		.amdhsa_exception_fp_ieee_inexact 0
		.amdhsa_exception_int_div_zero 0
	.end_amdhsa_kernel
	.section	.text._ZN2at6native12_GLOBAL__N_125multi_tensor_apply_kernelINS1_18TensorListMetadataILi2EEENS1_11CopyFunctorIN3c1013Float8_e4m3fnEbLi2ELi1ELi1EEEJNS0_4CopyIS7_bEEEEEvT_T0_DpT1_,"axG",@progbits,_ZN2at6native12_GLOBAL__N_125multi_tensor_apply_kernelINS1_18TensorListMetadataILi2EEENS1_11CopyFunctorIN3c1013Float8_e4m3fnEbLi2ELi1ELi1EEEJNS0_4CopyIS7_bEEEEEvT_T0_DpT1_,comdat
.Lfunc_end359:
	.size	_ZN2at6native12_GLOBAL__N_125multi_tensor_apply_kernelINS1_18TensorListMetadataILi2EEENS1_11CopyFunctorIN3c1013Float8_e4m3fnEbLi2ELi1ELi1EEEJNS0_4CopyIS7_bEEEEEvT_T0_DpT1_, .Lfunc_end359-_ZN2at6native12_GLOBAL__N_125multi_tensor_apply_kernelINS1_18TensorListMetadataILi2EEENS1_11CopyFunctorIN3c1013Float8_e4m3fnEbLi2ELi1ELi1EEEJNS0_4CopyIS7_bEEEEEvT_T0_DpT1_
                                        ; -- End function
	.section	.AMDGPU.csdata,"",@progbits
; Kernel info:
; codeLenInByte = 2736
; NumSgprs: 24
; NumVgprs: 41
; ScratchSize: 0
; MemoryBound: 0
; FloatMode: 240
; IeeeMode: 1
; LDSByteSize: 0 bytes/workgroup (compile time only)
; SGPRBlocks: 2
; VGPRBlocks: 5
; NumSGPRsForWavesPerEU: 24
; NumVGPRsForWavesPerEU: 41
; Occupancy: 16
; WaveLimiterHint : 0
; COMPUTE_PGM_RSRC2:SCRATCH_EN: 0
; COMPUTE_PGM_RSRC2:USER_SGPR: 15
; COMPUTE_PGM_RSRC2:TRAP_HANDLER: 0
; COMPUTE_PGM_RSRC2:TGID_X_EN: 1
; COMPUTE_PGM_RSRC2:TGID_Y_EN: 0
; COMPUTE_PGM_RSRC2:TGID_Z_EN: 0
; COMPUTE_PGM_RSRC2:TIDIG_COMP_CNT: 0
	.section	.text._ZN2at6native12_GLOBAL__N_125multi_tensor_apply_kernelINS1_18TensorListMetadataILi2EEENS1_14UnaryOpFunctorIN3c1013Float8_e4m3fnELi2ELi1ELi1EEEJNS0_4CopyIS7_S7_EEEEEvT_T0_DpT1_,"axG",@progbits,_ZN2at6native12_GLOBAL__N_125multi_tensor_apply_kernelINS1_18TensorListMetadataILi2EEENS1_14UnaryOpFunctorIN3c1013Float8_e4m3fnELi2ELi1ELi1EEEJNS0_4CopyIS7_S7_EEEEEvT_T0_DpT1_,comdat
	.globl	_ZN2at6native12_GLOBAL__N_125multi_tensor_apply_kernelINS1_18TensorListMetadataILi2EEENS1_14UnaryOpFunctorIN3c1013Float8_e4m3fnELi2ELi1ELi1EEEJNS0_4CopyIS7_S7_EEEEEvT_T0_DpT1_ ; -- Begin function _ZN2at6native12_GLOBAL__N_125multi_tensor_apply_kernelINS1_18TensorListMetadataILi2EEENS1_14UnaryOpFunctorIN3c1013Float8_e4m3fnELi2ELi1ELi1EEEJNS0_4CopyIS7_S7_EEEEEvT_T0_DpT1_
	.p2align	8
	.type	_ZN2at6native12_GLOBAL__N_125multi_tensor_apply_kernelINS1_18TensorListMetadataILi2EEENS1_14UnaryOpFunctorIN3c1013Float8_e4m3fnELi2ELi1ELi1EEEJNS0_4CopyIS7_S7_EEEEEvT_T0_DpT1_,@function
_ZN2at6native12_GLOBAL__N_125multi_tensor_apply_kernelINS1_18TensorListMetadataILi2EEENS1_14UnaryOpFunctorIN3c1013Float8_e4m3fnELi2ELi1ELi1EEEJNS0_4CopyIS7_S7_EEEEEvT_T0_DpT1_: ; @_ZN2at6native12_GLOBAL__N_125multi_tensor_apply_kernelINS1_18TensorListMetadataILi2EEENS1_14UnaryOpFunctorIN3c1013Float8_e4m3fnELi2ELi1ELi1EEEJNS0_4CopyIS7_S7_EEEEEvT_T0_DpT1_
; %bb.0:
	v_mov_b32_e32 v1, s15
	s_add_u32 s2, s0, s15
	s_mul_hi_u32 s3, s15, 3
	s_mul_i32 s15, s15, 3
	s_addc_u32 s4, s1, 0
	global_load_u8 v1, v1, s[0:1] offset:1536
	s_add_u32 s2, s2, s15
	s_addc_u32 s3, s4, s3
	s_load_b32 s2, s[2:3], 0x740
	s_waitcnt vmcnt(0)
	v_readfirstlane_b32 s5, v1
	s_delay_alu instid0(VALU_DEP_1)
	s_lshl_b32 s3, s5, 3
	s_clause 0x2
	s_load_b64 s[8:9], s[0:1], s3 offset:0x0
	s_load_b64 s[10:11], s[0:1], s3 offset:0x200
	;; [unrolled: 1-line block ×3, first 2 shown]
	s_waitcnt lgkmcnt(0)
	s_ashr_i32 s3, s2, 31
	s_delay_alu instid0(SALU_CYCLE_1) | instskip(NEXT) | instid1(SALU_CYCLE_1)
	s_lshl_b64 s[12:13], s[2:3], 16
	s_add_u32 s6, s8, s12
	s_addc_u32 s7, s9, s13
	s_add_u32 s3, s10, s12
	s_addc_u32 s14, s11, s13
	s_or_b64 s[16:17], s[4:5], s[6:7]
	s_delay_alu instid0(SALU_CYCLE_1) | instskip(NEXT) | instid1(SALU_CYCLE_1)
	s_or_b32 s2, s3, s16
	s_and_b32 s2, s2, 3
	s_sub_u32 s4, s4, s12
	s_subb_u32 s5, s5, s13
	s_cmp_eq_u32 s2, 0
	s_mov_b32 s2, -1
	s_cbranch_scc0 .LBB360_37
; %bb.1:
	v_dual_mov_b32 v2, 0 :: v_dual_lshlrev_b32 v1, 2, v0
	s_mov_b32 s15, exec_lo
	s_delay_alu instid0(VALU_DEP_1)
	v_cmpx_gt_i64_e64 s[4:5], v[1:2]
	s_cbranch_execz .LBB360_36
; %bb.2:
	s_load_b32 s2, s[0:1], 0xc5c
	v_mov_b32_e32 v3, 0x7f
	s_mov_b32 s17, 0
	s_waitcnt lgkmcnt(0)
	s_and_b32 s2, s2, 0xffff
	s_delay_alu instid0(SALU_CYCLE_1)
	s_lshl_b32 s16, s2, 2
	s_branch .LBB360_4
.LBB360_3:                              ;   in Loop: Header=BB360_4 Depth=1
	s_or_b32 exec_lo, exec_lo, s2
	v_lshrrev_b32_e32 v9, 24, v9
	v_lshrrev_b32_e32 v12, 24, v8
	v_add_co_u32 v8, vcc_lo, s3, v1
	v_lshlrev_b32_e32 v11, 24, v11
	s_delay_alu instid0(VALU_DEP_4) | instskip(SKIP_3) | instid1(VALU_DEP_4)
	v_and_b32_e32 v13, 0x80, v9
	v_add_co_ci_u32_e32 v9, vcc_lo, s14, v2, vcc_lo
	v_and_b32_e32 v12, 0x80, v12
	v_add_co_u32 v1, vcc_lo, s16, v1
	v_and_or_b32 v10, 0xff, v10, v13
	v_add_co_ci_u32_e32 v2, vcc_lo, 0, v2, vcc_lo
	v_and_b32_e32 v6, 0x80000000, v6
	v_lshrrev_b32_e32 v4, 24, v4
	s_delay_alu instid0(VALU_DEP_4)
	v_lshlrev_b32_e32 v10, 16, v10
	v_and_or_b32 v7, 0xff, v7, v12
	v_and_b32_e32 v5, 0xff, v5
	v_cmp_le_i64_e32 vcc_lo, s[4:5], v[1:2]
	v_cmp_lt_u64_e64 s2, 0xffff, v[1:2]
	v_or3_b32 v6, v6, v11, v10
	v_lshlrev_b32_e32 v7, 8, v7
	v_and_or_b32 v4, 0x80, v4, v5
	s_delay_alu instid0(VALU_DEP_4) | instskip(NEXT) | instid1(VALU_DEP_1)
	s_or_b32 s2, vcc_lo, s2
	v_or3_b32 v4, v6, v7, v4
	s_and_b32 s2, exec_lo, s2
	s_delay_alu instid0(SALU_CYCLE_1)
	s_or_b32 s17, s2, s17
	global_store_b32 v[8:9], v4, off
	s_and_not1_b32 exec_lo, exec_lo, s17
	s_cbranch_execz .LBB360_36
.LBB360_4:                              ; =>This Inner Loop Header: Depth=1
	v_add_co_u32 v4, vcc_lo, s6, v1
	v_add_co_ci_u32_e32 v5, vcc_lo, s7, v2, vcc_lo
	s_mov_b32 s2, exec_lo
	global_load_b32 v6, v[4:5], off
	s_waitcnt vmcnt(0)
	v_lshlrev_b32_e32 v4, 24, v6
	s_delay_alu instid0(VALU_DEP_1) | instskip(NEXT) | instid1(VALU_DEP_1)
	v_and_b32_e32 v5, 0x7f000000, v4
	v_clz_i32_u32_e32 v7, v5
	v_add_nc_u32_e32 v9, 0x1000000, v5
	v_cmp_ne_u32_e32 vcc_lo, 0, v5
	s_delay_alu instid0(VALU_DEP_3) | instskip(NEXT) | instid1(VALU_DEP_1)
	v_min_u32_e32 v7, 32, v7
	v_sub_nc_u32_e64 v7, v7, 4 clamp
	s_delay_alu instid0(VALU_DEP_1) | instskip(SKIP_1) | instid1(VALU_DEP_2)
	v_lshlrev_b32_e32 v8, v7, v5
	v_lshlrev_b32_e32 v7, 23, v7
                                        ; implicit-def: $vgpr5
	v_lshrrev_b32_e32 v8, 4, v8
	s_delay_alu instid0(VALU_DEP_1) | instskip(SKIP_1) | instid1(VALU_DEP_2)
	v_sub_nc_u32_e32 v7, v8, v7
	v_ashrrev_i32_e32 v8, 8, v9
	v_add_nc_u32_e32 v7, 0x3c000000, v7
	s_delay_alu instid0(VALU_DEP_1) | instskip(NEXT) | instid1(VALU_DEP_1)
	v_and_or_b32 v7, 0x7f800000, v8, v7
	v_cndmask_b32_e32 v8, 0, v7, vcc_lo
	s_delay_alu instid0(VALU_DEP_1) | instskip(NEXT) | instid1(VALU_DEP_1)
	v_and_or_b32 v4, 0x80000000, v4, v8
	v_and_b32_e32 v7, 0x7fffffff, v4
	s_delay_alu instid0(VALU_DEP_1)
	v_cmpx_gt_u32_e32 0x43f00000, v7
	s_xor_b32 s2, exec_lo, s2
	s_cbranch_execz .LBB360_10
; %bb.5:                                ;   in Loop: Header=BB360_4 Depth=1
	s_mov_b32 s18, exec_lo
                                        ; implicit-def: $vgpr5
	v_cmpx_lt_u32_e32 0x3c7fffff, v7
	s_xor_b32 s18, exec_lo, s18
; %bb.6:                                ;   in Loop: Header=BB360_4 Depth=1
	v_bfe_u32 v5, v8, 20, 1
	s_delay_alu instid0(VALU_DEP_1) | instskip(NEXT) | instid1(VALU_DEP_1)
	v_add3_u32 v5, v4, v5, 0x407ffff
	v_and_b32_e32 v7, 0xff00000, v5
	v_lshrrev_b32_e32 v5, 20, v5
	s_delay_alu instid0(VALU_DEP_2) | instskip(NEXT) | instid1(VALU_DEP_2)
	v_cmp_ne_u32_e32 vcc_lo, 0x7f00000, v7
	v_cndmask_b32_e32 v5, 0x7e, v5, vcc_lo
; %bb.7:                                ;   in Loop: Header=BB360_4 Depth=1
	s_and_not1_saveexec_b32 s18, s18
; %bb.8:                                ;   in Loop: Header=BB360_4 Depth=1
	v_add_f32_e64 v5, 0x46800000, |v4|
; %bb.9:                                ;   in Loop: Header=BB360_4 Depth=1
	s_or_b32 exec_lo, exec_lo, s18
                                        ; implicit-def: $vgpr7
.LBB360_10:                             ;   in Loop: Header=BB360_4 Depth=1
	s_and_not1_saveexec_b32 s2, s2
; %bb.11:                               ;   in Loop: Header=BB360_4 Depth=1
	v_cmp_lt_u32_e32 vcc_lo, 0x7f800000, v7
	v_cndmask_b32_e32 v5, 0x7e, v3, vcc_lo
; %bb.12:                               ;   in Loop: Header=BB360_4 Depth=1
	s_or_b32 exec_lo, exec_lo, s2
	v_lshlrev_b32_e32 v7, 16, v6
	s_mov_b32 s2, exec_lo
	s_delay_alu instid0(VALU_DEP_1) | instskip(NEXT) | instid1(VALU_DEP_1)
	v_and_b32_e32 v8, 0x7f000000, v7
	v_clz_i32_u32_e32 v9, v8
	v_add_nc_u32_e32 v11, 0x1000000, v8
	v_cmp_ne_u32_e32 vcc_lo, 0, v8
	s_delay_alu instid0(VALU_DEP_3) | instskip(NEXT) | instid1(VALU_DEP_1)
	v_min_u32_e32 v9, 32, v9
	v_sub_nc_u32_e64 v9, v9, 4 clamp
	s_delay_alu instid0(VALU_DEP_1) | instskip(SKIP_1) | instid1(VALU_DEP_2)
	v_lshlrev_b32_e32 v10, v9, v8
	v_lshlrev_b32_e32 v9, 23, v9
	v_lshrrev_b32_e32 v10, 4, v10
	s_delay_alu instid0(VALU_DEP_1) | instskip(SKIP_1) | instid1(VALU_DEP_2)
	v_sub_nc_u32_e32 v9, v10, v9
	v_ashrrev_i32_e32 v10, 8, v11
	v_add_nc_u32_e32 v9, 0x3c000000, v9
	s_delay_alu instid0(VALU_DEP_1) | instskip(NEXT) | instid1(VALU_DEP_1)
	v_and_or_b32 v9, 0x7f800000, v10, v9
	v_cndmask_b32_e32 v10, 0, v9, vcc_lo
	s_delay_alu instid0(VALU_DEP_1) | instskip(NEXT) | instid1(VALU_DEP_1)
	v_and_or_b32 v8, 0x80000000, v7, v10
                                        ; implicit-def: $vgpr7
	v_and_b32_e32 v9, 0x7fffffff, v8
	s_delay_alu instid0(VALU_DEP_1)
	v_cmpx_gt_u32_e32 0x43f00000, v9
	s_xor_b32 s2, exec_lo, s2
	s_cbranch_execz .LBB360_18
; %bb.13:                               ;   in Loop: Header=BB360_4 Depth=1
	s_mov_b32 s18, exec_lo
                                        ; implicit-def: $vgpr7
	v_cmpx_lt_u32_e32 0x3c7fffff, v9
	s_xor_b32 s18, exec_lo, s18
; %bb.14:                               ;   in Loop: Header=BB360_4 Depth=1
	v_bfe_u32 v7, v10, 20, 1
	s_delay_alu instid0(VALU_DEP_1) | instskip(NEXT) | instid1(VALU_DEP_1)
	v_add3_u32 v7, v8, v7, 0x407ffff
	v_and_b32_e32 v9, 0xff00000, v7
	v_lshrrev_b32_e32 v7, 20, v7
	s_delay_alu instid0(VALU_DEP_2) | instskip(NEXT) | instid1(VALU_DEP_2)
	v_cmp_ne_u32_e32 vcc_lo, 0x7f00000, v9
	v_cndmask_b32_e32 v7, 0x7e, v7, vcc_lo
; %bb.15:                               ;   in Loop: Header=BB360_4 Depth=1
	s_and_not1_saveexec_b32 s18, s18
; %bb.16:                               ;   in Loop: Header=BB360_4 Depth=1
	v_add_f32_e64 v7, 0x46800000, |v8|
; %bb.17:                               ;   in Loop: Header=BB360_4 Depth=1
	s_or_b32 exec_lo, exec_lo, s18
                                        ; implicit-def: $vgpr9
.LBB360_18:                             ;   in Loop: Header=BB360_4 Depth=1
	s_and_not1_saveexec_b32 s2, s2
; %bb.19:                               ;   in Loop: Header=BB360_4 Depth=1
	v_cmp_lt_u32_e32 vcc_lo, 0x7f800000, v9
	v_cndmask_b32_e32 v7, 0x7e, v3, vcc_lo
; %bb.20:                               ;   in Loop: Header=BB360_4 Depth=1
	s_or_b32 exec_lo, exec_lo, s2
	v_lshlrev_b32_e32 v9, 8, v6
	s_mov_b32 s2, exec_lo
	s_delay_alu instid0(VALU_DEP_1) | instskip(NEXT) | instid1(VALU_DEP_1)
	v_and_b32_e32 v10, 0x7f000000, v9
	v_clz_i32_u32_e32 v11, v10
	v_add_nc_u32_e32 v13, 0x1000000, v10
	v_cmp_ne_u32_e32 vcc_lo, 0, v10
	s_delay_alu instid0(VALU_DEP_3) | instskip(NEXT) | instid1(VALU_DEP_1)
	v_min_u32_e32 v11, 32, v11
	v_sub_nc_u32_e64 v11, v11, 4 clamp
	s_delay_alu instid0(VALU_DEP_1) | instskip(SKIP_1) | instid1(VALU_DEP_2)
	v_lshlrev_b32_e32 v12, v11, v10
	v_lshlrev_b32_e32 v11, 23, v11
                                        ; implicit-def: $vgpr10
	v_lshrrev_b32_e32 v12, 4, v12
	s_delay_alu instid0(VALU_DEP_1) | instskip(SKIP_1) | instid1(VALU_DEP_2)
	v_sub_nc_u32_e32 v11, v12, v11
	v_ashrrev_i32_e32 v12, 8, v13
	v_add_nc_u32_e32 v11, 0x3c000000, v11
	s_delay_alu instid0(VALU_DEP_1) | instskip(NEXT) | instid1(VALU_DEP_1)
	v_and_or_b32 v11, 0x7f800000, v12, v11
	v_cndmask_b32_e32 v12, 0, v11, vcc_lo
	s_delay_alu instid0(VALU_DEP_1) | instskip(NEXT) | instid1(VALU_DEP_1)
	v_and_or_b32 v9, 0x80000000, v9, v12
	v_and_b32_e32 v11, 0x7fffffff, v9
	s_delay_alu instid0(VALU_DEP_1)
	v_cmpx_gt_u32_e32 0x43f00000, v11
	s_xor_b32 s2, exec_lo, s2
	s_cbranch_execz .LBB360_26
; %bb.21:                               ;   in Loop: Header=BB360_4 Depth=1
	s_mov_b32 s18, exec_lo
                                        ; implicit-def: $vgpr10
	v_cmpx_lt_u32_e32 0x3c7fffff, v11
	s_xor_b32 s18, exec_lo, s18
; %bb.22:                               ;   in Loop: Header=BB360_4 Depth=1
	v_bfe_u32 v10, v12, 20, 1
	s_delay_alu instid0(VALU_DEP_1) | instskip(NEXT) | instid1(VALU_DEP_1)
	v_add3_u32 v10, v9, v10, 0x407ffff
	v_and_b32_e32 v11, 0xff00000, v10
	v_lshrrev_b32_e32 v10, 20, v10
	s_delay_alu instid0(VALU_DEP_2) | instskip(NEXT) | instid1(VALU_DEP_2)
	v_cmp_ne_u32_e32 vcc_lo, 0x7f00000, v11
	v_cndmask_b32_e32 v10, 0x7e, v10, vcc_lo
; %bb.23:                               ;   in Loop: Header=BB360_4 Depth=1
	s_and_not1_saveexec_b32 s18, s18
; %bb.24:                               ;   in Loop: Header=BB360_4 Depth=1
	v_add_f32_e64 v10, 0x46800000, |v9|
; %bb.25:                               ;   in Loop: Header=BB360_4 Depth=1
	s_or_b32 exec_lo, exec_lo, s18
                                        ; implicit-def: $vgpr11
.LBB360_26:                             ;   in Loop: Header=BB360_4 Depth=1
	s_and_not1_saveexec_b32 s2, s2
; %bb.27:                               ;   in Loop: Header=BB360_4 Depth=1
	v_cmp_lt_u32_e32 vcc_lo, 0x7f800000, v11
	v_cndmask_b32_e32 v10, 0x7e, v3, vcc_lo
; %bb.28:                               ;   in Loop: Header=BB360_4 Depth=1
	s_or_b32 exec_lo, exec_lo, s2
	v_and_b32_e32 v11, 0x7f000000, v6
	s_mov_b32 s2, exec_lo
	s_delay_alu instid0(VALU_DEP_1) | instskip(SKIP_2) | instid1(VALU_DEP_3)
	v_clz_i32_u32_e32 v12, v11
	v_cmp_ne_u32_e32 vcc_lo, 0, v11
	v_add_nc_u32_e32 v14, 0x1000000, v11
	v_min_u32_e32 v12, 32, v12
	s_delay_alu instid0(VALU_DEP_1) | instskip(NEXT) | instid1(VALU_DEP_1)
	v_sub_nc_u32_e64 v12, v12, 4 clamp
	v_lshlrev_b32_e32 v13, v12, v11
	v_lshlrev_b32_e32 v12, 23, v12
                                        ; implicit-def: $vgpr11
	s_delay_alu instid0(VALU_DEP_2) | instskip(NEXT) | instid1(VALU_DEP_1)
	v_lshrrev_b32_e32 v13, 4, v13
	v_sub_nc_u32_e32 v12, v13, v12
	v_ashrrev_i32_e32 v13, 8, v14
	s_delay_alu instid0(VALU_DEP_2) | instskip(NEXT) | instid1(VALU_DEP_1)
	v_add_nc_u32_e32 v12, 0x3c000000, v12
	v_and_or_b32 v12, 0x7f800000, v13, v12
	s_delay_alu instid0(VALU_DEP_1) | instskip(NEXT) | instid1(VALU_DEP_1)
	v_cndmask_b32_e32 v13, 0, v12, vcc_lo
	v_and_or_b32 v6, 0x80000000, v6, v13
	s_delay_alu instid0(VALU_DEP_1) | instskip(NEXT) | instid1(VALU_DEP_1)
	v_and_b32_e32 v12, 0x7fffffff, v6
	v_cmpx_gt_u32_e32 0x43f00000, v12
	s_xor_b32 s2, exec_lo, s2
	s_cbranch_execz .LBB360_34
; %bb.29:                               ;   in Loop: Header=BB360_4 Depth=1
	s_mov_b32 s18, exec_lo
                                        ; implicit-def: $vgpr11
	v_cmpx_lt_u32_e32 0x3c7fffff, v12
	s_xor_b32 s18, exec_lo, s18
; %bb.30:                               ;   in Loop: Header=BB360_4 Depth=1
	v_bfe_u32 v11, v13, 20, 1
	s_delay_alu instid0(VALU_DEP_1) | instskip(NEXT) | instid1(VALU_DEP_1)
	v_add3_u32 v11, v6, v11, 0x407ffff
	v_and_b32_e32 v12, 0xff00000, v11
	v_lshrrev_b32_e32 v11, 20, v11
	s_delay_alu instid0(VALU_DEP_2) | instskip(NEXT) | instid1(VALU_DEP_2)
	v_cmp_ne_u32_e32 vcc_lo, 0x7f00000, v12
	v_cndmask_b32_e32 v11, 0x7e, v11, vcc_lo
; %bb.31:                               ;   in Loop: Header=BB360_4 Depth=1
	s_and_not1_saveexec_b32 s18, s18
; %bb.32:                               ;   in Loop: Header=BB360_4 Depth=1
	v_add_f32_e64 v11, 0x46800000, |v6|
; %bb.33:                               ;   in Loop: Header=BB360_4 Depth=1
	s_or_b32 exec_lo, exec_lo, s18
                                        ; implicit-def: $vgpr12
.LBB360_34:                             ;   in Loop: Header=BB360_4 Depth=1
	s_and_not1_saveexec_b32 s2, s2
	s_cbranch_execz .LBB360_3
; %bb.35:                               ;   in Loop: Header=BB360_4 Depth=1
	v_cmp_lt_u32_e32 vcc_lo, 0x7f800000, v12
	v_cndmask_b32_e32 v11, 0x7e, v3, vcc_lo
	s_branch .LBB360_3
.LBB360_36:
	s_or_b32 exec_lo, exec_lo, s15
	s_mov_b32 s2, 0
.LBB360_37:
	s_delay_alu instid0(SALU_CYCLE_1)
	s_and_not1_b32 vcc_lo, exec_lo, s2
	s_cbranch_vccnz .LBB360_89
; %bb.38:
	v_cmp_lt_i64_e64 s2, s[4:5], 1
	s_delay_alu instid0(VALU_DEP_1)
	s_and_b32 vcc_lo, exec_lo, s2
	s_cbranch_vccnz .LBB360_89
; %bb.39:
	s_load_b32 s0, s[0:1], 0xc5c
	v_add_co_u32 v15, s1, s12, v0
	s_delay_alu instid0(VALU_DEP_1) | instskip(SKIP_1) | instid1(VALU_DEP_3)
	v_add_co_ci_u32_e64 v16, null, s13, 0, s1
	v_cmp_gt_u64_e64 s1, 0x10000, s[4:5]
	v_add_co_u32 v1, vcc_lo, s8, v15
	s_delay_alu instid0(VALU_DEP_3)
	v_add_co_ci_u32_e32 v2, vcc_lo, s9, v16, vcc_lo
	v_add_co_u32 v3, vcc_lo, s10, v15
	v_add_co_ci_u32_e32 v4, vcc_lo, s11, v16, vcc_lo
	v_mov_b32_e32 v23, 0x7f
	s_waitcnt lgkmcnt(0)
	s_and_b32 s0, s0, 0xffff
	s_and_b32 s1, s1, exec_lo
	s_mul_i32 s2, s0, 3
	s_cselect_b32 s7, s5, 0
	s_cselect_b32 s6, s4, 0x10000
	s_lshl_b32 s1, s0, 1
	s_lshl_b32 s14, s0, 2
	s_add_u32 s3, s12, s2
	s_addc_u32 s15, s13, 0
	v_add_co_u32 v7, s3, s3, v0
	s_delay_alu instid0(VALU_DEP_1) | instskip(SKIP_1) | instid1(VALU_DEP_2)
	v_add_co_ci_u32_e64 v8, null, s15, 0, s3
	s_add_u32 s3, s12, s1
	v_add_co_u32 v5, vcc_lo, s8, v7
	s_addc_u32 s12, s13, 0
	v_add_co_u32 v13, s3, s3, v0
	v_add_co_ci_u32_e32 v6, vcc_lo, s9, v8, vcc_lo
	v_add_co_u32 v7, vcc_lo, s10, v7
	v_add_co_ci_u32_e64 v14, null, s12, 0, s3
	v_add_co_ci_u32_e32 v8, vcc_lo, s11, v8, vcc_lo
	v_add_co_u32 v11, vcc_lo, s8, v13
	s_delay_alu instid0(VALU_DEP_3)
	v_add_co_ci_u32_e32 v12, vcc_lo, s9, v14, vcc_lo
	v_add_co_u32 v13, vcc_lo, s10, v13
	v_add_co_ci_u32_e32 v14, vcc_lo, s11, v14, vcc_lo
	v_add_co_u32 v19, vcc_lo, v15, s0
	v_add_co_ci_u32_e32 v20, vcc_lo, 0, v16, vcc_lo
	v_add_co_u32 v9, s2, s2, v0
	s_delay_alu instid0(VALU_DEP_3) | instskip(NEXT) | instid1(VALU_DEP_3)
	v_add_co_u32 v17, vcc_lo, s8, v19
	v_add_co_ci_u32_e32 v18, vcc_lo, s9, v20, vcc_lo
	v_add_co_u32 v15, s1, s1, v0
	v_add_co_u32 v19, vcc_lo, s10, v19
	v_add_co_u32 v21, s0, v0, s0
	v_add_co_ci_u32_e64 v10, null, 0, 0, s2
	v_add_co_ci_u32_e64 v16, null, 0, 0, s1
	v_add_co_ci_u32_e32 v20, vcc_lo, s11, v20, vcc_lo
	v_add_co_ci_u32_e64 v22, null, 0, 0, s0
	s_mov_b64 s[8:9], 0
	s_branch .LBB360_41
.LBB360_40:                             ;   in Loop: Header=BB360_41 Depth=1
	s_or_b32 exec_lo, exec_lo, s0
	s_add_u32 s8, s8, s14
	s_addc_u32 s9, s9, 0
	s_delay_alu instid0(SALU_CYCLE_1) | instskip(SKIP_1) | instid1(VALU_DEP_1)
	v_cmp_ge_i64_e64 s0, s[8:9], s[4:5]
	v_cmp_lt_u64_e64 s1, 0xffff, s[8:9]
	s_or_b32 s0, s0, s1
	s_delay_alu instid0(SALU_CYCLE_1)
	s_and_b32 vcc_lo, exec_lo, s0
	s_cbranch_vccnz .LBB360_89
.LBB360_41:                             ; =>This Inner Loop Header: Depth=1
	v_add_co_u32 v24, s0, v0, s8
	s_delay_alu instid0(VALU_DEP_1) | instskip(NEXT) | instid1(VALU_DEP_1)
	v_add_co_ci_u32_e64 v25, null, 0, s9, s0
	v_cmp_gt_u64_e32 vcc_lo, s[6:7], v[24:25]
	v_mov_b32_e32 v24, 0
	s_and_saveexec_b32 s1, vcc_lo
	s_cbranch_execz .LBB360_43
; %bb.42:                               ;   in Loop: Header=BB360_41 Depth=1
	v_add_co_u32 v24, s0, v1, s8
	s_delay_alu instid0(VALU_DEP_1)
	v_add_co_ci_u32_e64 v25, s0, s9, v2, s0
	global_load_u8 v24, v[24:25], off
.LBB360_43:                             ;   in Loop: Header=BB360_41 Depth=1
	s_or_b32 exec_lo, exec_lo, s1
	v_add_co_u32 v25, s0, v21, s8
	s_delay_alu instid0(VALU_DEP_1) | instskip(SKIP_1) | instid1(VALU_DEP_2)
	v_add_co_ci_u32_e64 v26, s0, s9, v22, s0
	v_mov_b32_e32 v27, 0
	v_cmp_gt_u64_e64 s0, s[6:7], v[25:26]
	s_delay_alu instid0(VALU_DEP_1)
	s_and_saveexec_b32 s2, s0
	s_cbranch_execz .LBB360_45
; %bb.44:                               ;   in Loop: Header=BB360_41 Depth=1
	v_add_co_u32 v25, s1, v17, s8
	s_delay_alu instid0(VALU_DEP_1)
	v_add_co_ci_u32_e64 v26, s1, s9, v18, s1
	global_load_u8 v27, v[25:26], off
.LBB360_45:                             ;   in Loop: Header=BB360_41 Depth=1
	s_or_b32 exec_lo, exec_lo, s2
	v_add_co_u32 v25, s1, v15, s8
	s_delay_alu instid0(VALU_DEP_1) | instskip(SKIP_1) | instid1(VALU_DEP_2)
	v_add_co_ci_u32_e64 v26, s1, s9, v16, s1
	v_mov_b32_e32 v29, 0
	v_cmp_gt_u64_e64 s1, s[6:7], v[25:26]
	v_mov_b32_e32 v26, 0
	s_delay_alu instid0(VALU_DEP_2)
	s_and_saveexec_b32 s3, s1
	s_cbranch_execz .LBB360_47
; %bb.46:                               ;   in Loop: Header=BB360_41 Depth=1
	v_add_co_u32 v28, s2, v11, s8
	s_delay_alu instid0(VALU_DEP_1)
	v_add_co_ci_u32_e64 v29, s2, s9, v12, s2
	global_load_u8 v29, v[28:29], off
.LBB360_47:                             ;   in Loop: Header=BB360_41 Depth=1
	s_or_b32 exec_lo, exec_lo, s3
	v_add_co_u32 v30, s2, v9, s8
	s_delay_alu instid0(VALU_DEP_1) | instskip(NEXT) | instid1(VALU_DEP_1)
	v_add_co_ci_u32_e64 v31, s2, s9, v10, s2
	v_cmp_gt_u64_e64 s2, s[6:7], v[30:31]
	s_delay_alu instid0(VALU_DEP_1)
	s_and_saveexec_b32 s10, s2
	s_cbranch_execz .LBB360_49
; %bb.48:                               ;   in Loop: Header=BB360_41 Depth=1
	v_add_co_u32 v25, s3, v5, s8
	s_delay_alu instid0(VALU_DEP_1)
	v_add_co_ci_u32_e64 v26, s3, s9, v6, s3
	global_load_u8 v26, v[25:26], off
.LBB360_49:                             ;   in Loop: Header=BB360_41 Depth=1
	s_or_b32 exec_lo, exec_lo, s10
	s_waitcnt vmcnt(0)
	v_lshlrev_b32_e32 v24, 24, v24
	s_mov_b32 s10, exec_lo
	s_delay_alu instid0(VALU_DEP_1) | instskip(NEXT) | instid1(VALU_DEP_1)
	v_and_b32_e32 v25, 0x7f000000, v24
	v_clz_i32_u32_e32 v28, v25
	v_add_nc_u32_e32 v31, 0x1000000, v25
	v_cmp_ne_u32_e64 s3, 0, v25
	s_delay_alu instid0(VALU_DEP_3) | instskip(NEXT) | instid1(VALU_DEP_1)
	v_min_u32_e32 v28, 32, v28
	v_sub_nc_u32_e64 v28, v28, 4 clamp
	s_delay_alu instid0(VALU_DEP_1) | instskip(SKIP_1) | instid1(VALU_DEP_2)
	v_lshlrev_b32_e32 v30, v28, v25
	v_lshlrev_b32_e32 v28, 23, v28
                                        ; implicit-def: $vgpr25
	v_lshrrev_b32_e32 v30, 4, v30
	s_delay_alu instid0(VALU_DEP_1) | instskip(SKIP_1) | instid1(VALU_DEP_2)
	v_sub_nc_u32_e32 v28, v30, v28
	v_ashrrev_i32_e32 v30, 8, v31
	v_add_nc_u32_e32 v28, 0x3c000000, v28
	s_delay_alu instid0(VALU_DEP_1) | instskip(NEXT) | instid1(VALU_DEP_1)
	v_and_or_b32 v28, 0x7f800000, v30, v28
	v_cndmask_b32_e64 v30, 0, v28, s3
	s_delay_alu instid0(VALU_DEP_1) | instskip(NEXT) | instid1(VALU_DEP_1)
	v_and_or_b32 v24, 0x80000000, v24, v30
	v_and_b32_e32 v28, 0x7fffffff, v24
	s_delay_alu instid0(VALU_DEP_1)
	v_cmpx_gt_u32_e32 0x43f00000, v28
	s_xor_b32 s10, exec_lo, s10
	s_cbranch_execz .LBB360_55
; %bb.50:                               ;   in Loop: Header=BB360_41 Depth=1
	s_mov_b32 s11, exec_lo
                                        ; implicit-def: $vgpr25
	v_cmpx_lt_u32_e32 0x3c7fffff, v28
	s_xor_b32 s11, exec_lo, s11
; %bb.51:                               ;   in Loop: Header=BB360_41 Depth=1
	v_bfe_u32 v25, v30, 20, 1
	s_delay_alu instid0(VALU_DEP_1) | instskip(NEXT) | instid1(VALU_DEP_1)
	v_add3_u32 v25, v24, v25, 0x407ffff
	v_and_b32_e32 v28, 0xff00000, v25
	v_lshrrev_b32_e32 v25, 20, v25
	s_delay_alu instid0(VALU_DEP_2) | instskip(NEXT) | instid1(VALU_DEP_1)
	v_cmp_ne_u32_e64 s3, 0x7f00000, v28
	v_cndmask_b32_e64 v25, 0x7e, v25, s3
; %bb.52:                               ;   in Loop: Header=BB360_41 Depth=1
	s_and_not1_saveexec_b32 s3, s11
; %bb.53:                               ;   in Loop: Header=BB360_41 Depth=1
	v_add_f32_e64 v25, 0x46800000, |v24|
; %bb.54:                               ;   in Loop: Header=BB360_41 Depth=1
	s_or_b32 exec_lo, exec_lo, s3
                                        ; implicit-def: $vgpr28
.LBB360_55:                             ;   in Loop: Header=BB360_41 Depth=1
	s_and_not1_saveexec_b32 s10, s10
; %bb.56:                               ;   in Loop: Header=BB360_41 Depth=1
	v_cmp_lt_u32_e64 s3, 0x7f800000, v28
	s_delay_alu instid0(VALU_DEP_1)
	v_cndmask_b32_e64 v25, 0x7e, v23, s3
; %bb.57:                               ;   in Loop: Header=BB360_41 Depth=1
	s_or_b32 exec_lo, exec_lo, s10
	v_lshlrev_b32_e32 v27, 24, v27
	s_mov_b32 s10, exec_lo
	s_delay_alu instid0(VALU_DEP_1) | instskip(NEXT) | instid1(VALU_DEP_1)
	v_and_b32_e32 v28, 0x7f000000, v27
	v_clz_i32_u32_e32 v30, v28
	v_add_nc_u32_e32 v32, 0x1000000, v28
	v_cmp_ne_u32_e64 s3, 0, v28
	s_delay_alu instid0(VALU_DEP_3) | instskip(NEXT) | instid1(VALU_DEP_1)
	v_min_u32_e32 v30, 32, v30
	v_sub_nc_u32_e64 v30, v30, 4 clamp
	s_delay_alu instid0(VALU_DEP_1) | instskip(SKIP_1) | instid1(VALU_DEP_2)
	v_lshlrev_b32_e32 v31, v30, v28
	v_lshlrev_b32_e32 v30, 23, v30
                                        ; implicit-def: $vgpr28
	v_lshrrev_b32_e32 v31, 4, v31
	s_delay_alu instid0(VALU_DEP_1) | instskip(SKIP_1) | instid1(VALU_DEP_2)
	v_sub_nc_u32_e32 v30, v31, v30
	v_ashrrev_i32_e32 v31, 8, v32
	v_add_nc_u32_e32 v30, 0x3c000000, v30
	s_delay_alu instid0(VALU_DEP_1) | instskip(NEXT) | instid1(VALU_DEP_1)
	v_and_or_b32 v30, 0x7f800000, v31, v30
	v_cndmask_b32_e64 v31, 0, v30, s3
	s_delay_alu instid0(VALU_DEP_1) | instskip(NEXT) | instid1(VALU_DEP_1)
	v_and_or_b32 v27, 0x80000000, v27, v31
	v_and_b32_e32 v30, 0x7fffffff, v27
	s_delay_alu instid0(VALU_DEP_1)
	v_cmpx_gt_u32_e32 0x43f00000, v30
	s_xor_b32 s10, exec_lo, s10
	s_cbranch_execz .LBB360_63
; %bb.58:                               ;   in Loop: Header=BB360_41 Depth=1
	s_mov_b32 s11, exec_lo
                                        ; implicit-def: $vgpr28
	v_cmpx_lt_u32_e32 0x3c7fffff, v30
	s_xor_b32 s11, exec_lo, s11
; %bb.59:                               ;   in Loop: Header=BB360_41 Depth=1
	v_bfe_u32 v28, v31, 20, 1
	s_delay_alu instid0(VALU_DEP_1) | instskip(NEXT) | instid1(VALU_DEP_1)
	v_add3_u32 v28, v27, v28, 0x407ffff
	v_and_b32_e32 v30, 0xff00000, v28
	v_lshrrev_b32_e32 v28, 20, v28
	s_delay_alu instid0(VALU_DEP_2) | instskip(NEXT) | instid1(VALU_DEP_1)
	v_cmp_ne_u32_e64 s3, 0x7f00000, v30
	v_cndmask_b32_e64 v28, 0x7e, v28, s3
; %bb.60:                               ;   in Loop: Header=BB360_41 Depth=1
	s_and_not1_saveexec_b32 s3, s11
; %bb.61:                               ;   in Loop: Header=BB360_41 Depth=1
	v_add_f32_e64 v28, 0x46800000, |v27|
; %bb.62:                               ;   in Loop: Header=BB360_41 Depth=1
	s_or_b32 exec_lo, exec_lo, s3
                                        ; implicit-def: $vgpr30
.LBB360_63:                             ;   in Loop: Header=BB360_41 Depth=1
	s_and_not1_saveexec_b32 s10, s10
; %bb.64:                               ;   in Loop: Header=BB360_41 Depth=1
	v_cmp_lt_u32_e64 s3, 0x7f800000, v30
	s_delay_alu instid0(VALU_DEP_1)
	v_cndmask_b32_e64 v28, 0x7e, v23, s3
; %bb.65:                               ;   in Loop: Header=BB360_41 Depth=1
	s_or_b32 exec_lo, exec_lo, s10
	v_lshlrev_b32_e32 v29, 24, v29
	s_mov_b32 s10, exec_lo
	s_delay_alu instid0(VALU_DEP_1) | instskip(NEXT) | instid1(VALU_DEP_1)
	v_and_b32_e32 v30, 0x7f000000, v29
	v_clz_i32_u32_e32 v31, v30
	v_add_nc_u32_e32 v33, 0x1000000, v30
	v_cmp_ne_u32_e64 s3, 0, v30
	s_delay_alu instid0(VALU_DEP_3) | instskip(NEXT) | instid1(VALU_DEP_1)
	v_min_u32_e32 v31, 32, v31
	v_sub_nc_u32_e64 v31, v31, 4 clamp
	s_delay_alu instid0(VALU_DEP_1) | instskip(SKIP_1) | instid1(VALU_DEP_2)
	v_lshlrev_b32_e32 v32, v31, v30
	v_lshlrev_b32_e32 v31, 23, v31
                                        ; implicit-def: $vgpr30
	v_lshrrev_b32_e32 v32, 4, v32
	s_delay_alu instid0(VALU_DEP_1) | instskip(SKIP_1) | instid1(VALU_DEP_2)
	v_sub_nc_u32_e32 v31, v32, v31
	v_ashrrev_i32_e32 v32, 8, v33
	v_add_nc_u32_e32 v31, 0x3c000000, v31
	s_delay_alu instid0(VALU_DEP_1) | instskip(NEXT) | instid1(VALU_DEP_1)
	v_and_or_b32 v31, 0x7f800000, v32, v31
	v_cndmask_b32_e64 v32, 0, v31, s3
	s_delay_alu instid0(VALU_DEP_1) | instskip(NEXT) | instid1(VALU_DEP_1)
	v_and_or_b32 v29, 0x80000000, v29, v32
	v_and_b32_e32 v31, 0x7fffffff, v29
	s_delay_alu instid0(VALU_DEP_1)
	v_cmpx_gt_u32_e32 0x43f00000, v31
	s_xor_b32 s10, exec_lo, s10
	s_cbranch_execz .LBB360_71
; %bb.66:                               ;   in Loop: Header=BB360_41 Depth=1
	s_mov_b32 s11, exec_lo
                                        ; implicit-def: $vgpr30
	v_cmpx_lt_u32_e32 0x3c7fffff, v31
	s_xor_b32 s11, exec_lo, s11
; %bb.67:                               ;   in Loop: Header=BB360_41 Depth=1
	v_bfe_u32 v30, v32, 20, 1
	s_delay_alu instid0(VALU_DEP_1) | instskip(NEXT) | instid1(VALU_DEP_1)
	v_add3_u32 v30, v29, v30, 0x407ffff
	v_and_b32_e32 v31, 0xff00000, v30
	v_lshrrev_b32_e32 v30, 20, v30
	s_delay_alu instid0(VALU_DEP_2) | instskip(NEXT) | instid1(VALU_DEP_1)
	v_cmp_ne_u32_e64 s3, 0x7f00000, v31
	v_cndmask_b32_e64 v30, 0x7e, v30, s3
; %bb.68:                               ;   in Loop: Header=BB360_41 Depth=1
	s_and_not1_saveexec_b32 s3, s11
; %bb.69:                               ;   in Loop: Header=BB360_41 Depth=1
	v_add_f32_e64 v30, 0x46800000, |v29|
; %bb.70:                               ;   in Loop: Header=BB360_41 Depth=1
	s_or_b32 exec_lo, exec_lo, s3
                                        ; implicit-def: $vgpr31
.LBB360_71:                             ;   in Loop: Header=BB360_41 Depth=1
	s_and_not1_saveexec_b32 s10, s10
; %bb.72:                               ;   in Loop: Header=BB360_41 Depth=1
	v_cmp_lt_u32_e64 s3, 0x7f800000, v31
	s_delay_alu instid0(VALU_DEP_1)
	v_cndmask_b32_e64 v30, 0x7e, v23, s3
; %bb.73:                               ;   in Loop: Header=BB360_41 Depth=1
	s_or_b32 exec_lo, exec_lo, s10
	v_lshlrev_b32_e32 v26, 24, v26
	s_mov_b32 s10, exec_lo
	s_delay_alu instid0(VALU_DEP_1) | instskip(NEXT) | instid1(VALU_DEP_1)
	v_and_b32_e32 v31, 0x7f000000, v26
	v_clz_i32_u32_e32 v32, v31
	v_add_nc_u32_e32 v34, 0x1000000, v31
	v_cmp_ne_u32_e64 s3, 0, v31
	s_delay_alu instid0(VALU_DEP_3) | instskip(NEXT) | instid1(VALU_DEP_1)
	v_min_u32_e32 v32, 32, v32
	v_sub_nc_u32_e64 v32, v32, 4 clamp
	s_delay_alu instid0(VALU_DEP_1) | instskip(SKIP_1) | instid1(VALU_DEP_2)
	v_lshlrev_b32_e32 v33, v32, v31
	v_lshlrev_b32_e32 v32, 23, v32
                                        ; implicit-def: $vgpr31
	v_lshrrev_b32_e32 v33, 4, v33
	s_delay_alu instid0(VALU_DEP_1) | instskip(SKIP_1) | instid1(VALU_DEP_2)
	v_sub_nc_u32_e32 v32, v33, v32
	v_ashrrev_i32_e32 v33, 8, v34
	v_add_nc_u32_e32 v32, 0x3c000000, v32
	s_delay_alu instid0(VALU_DEP_1) | instskip(NEXT) | instid1(VALU_DEP_1)
	v_and_or_b32 v32, 0x7f800000, v33, v32
	v_cndmask_b32_e64 v33, 0, v32, s3
	s_delay_alu instid0(VALU_DEP_1) | instskip(NEXT) | instid1(VALU_DEP_1)
	v_and_or_b32 v26, 0x80000000, v26, v33
	v_and_b32_e32 v32, 0x7fffffff, v26
	s_delay_alu instid0(VALU_DEP_1)
	v_cmpx_gt_u32_e32 0x43f00000, v32
	s_xor_b32 s10, exec_lo, s10
	s_cbranch_execnz .LBB360_79
; %bb.74:                               ;   in Loop: Header=BB360_41 Depth=1
	s_and_not1_saveexec_b32 s10, s10
	s_cbranch_execnz .LBB360_84
.LBB360_75:                             ;   in Loop: Header=BB360_41 Depth=1
	s_or_b32 exec_lo, exec_lo, s10
	s_and_saveexec_b32 s3, vcc_lo
	s_delay_alu instid0(SALU_CYCLE_1)
	s_xor_b32 s3, exec_lo, s3
	s_cbranch_execnz .LBB360_85
.LBB360_76:                             ;   in Loop: Header=BB360_41 Depth=1
	s_or_b32 exec_lo, exec_lo, s3
	s_and_saveexec_b32 s3, s0
	s_cbranch_execnz .LBB360_86
.LBB360_77:                             ;   in Loop: Header=BB360_41 Depth=1
	s_or_b32 exec_lo, exec_lo, s3
	s_and_saveexec_b32 s0, s1
	s_cbranch_execnz .LBB360_87
.LBB360_78:                             ;   in Loop: Header=BB360_41 Depth=1
	s_or_b32 exec_lo, exec_lo, s0
	s_and_saveexec_b32 s0, s2
	s_cbranch_execz .LBB360_40
	s_branch .LBB360_88
.LBB360_79:                             ;   in Loop: Header=BB360_41 Depth=1
	s_mov_b32 s11, exec_lo
                                        ; implicit-def: $vgpr31
	v_cmpx_lt_u32_e32 0x3c7fffff, v32
	s_xor_b32 s11, exec_lo, s11
; %bb.80:                               ;   in Loop: Header=BB360_41 Depth=1
	v_bfe_u32 v31, v33, 20, 1
	s_delay_alu instid0(VALU_DEP_1) | instskip(NEXT) | instid1(VALU_DEP_1)
	v_add3_u32 v31, v26, v31, 0x407ffff
	v_and_b32_e32 v32, 0xff00000, v31
	v_lshrrev_b32_e32 v31, 20, v31
	s_delay_alu instid0(VALU_DEP_2) | instskip(NEXT) | instid1(VALU_DEP_1)
	v_cmp_ne_u32_e64 s3, 0x7f00000, v32
	v_cndmask_b32_e64 v31, 0x7e, v31, s3
; %bb.81:                               ;   in Loop: Header=BB360_41 Depth=1
	s_and_not1_saveexec_b32 s3, s11
; %bb.82:                               ;   in Loop: Header=BB360_41 Depth=1
	v_add_f32_e64 v31, 0x46800000, |v26|
; %bb.83:                               ;   in Loop: Header=BB360_41 Depth=1
	s_or_b32 exec_lo, exec_lo, s3
                                        ; implicit-def: $vgpr32
	s_and_not1_saveexec_b32 s10, s10
	s_cbranch_execz .LBB360_75
.LBB360_84:                             ;   in Loop: Header=BB360_41 Depth=1
	v_cmp_lt_u32_e64 s3, 0x7f800000, v32
	s_delay_alu instid0(VALU_DEP_1) | instskip(SKIP_2) | instid1(SALU_CYCLE_1)
	v_cndmask_b32_e64 v31, 0x7e, v23, s3
	s_or_b32 exec_lo, exec_lo, s10
	s_and_saveexec_b32 s3, vcc_lo
	s_xor_b32 s3, exec_lo, s3
	s_cbranch_execz .LBB360_76
.LBB360_85:                             ;   in Loop: Header=BB360_41 Depth=1
	v_lshrrev_b32_e32 v24, 24, v24
	s_delay_alu instid0(VALU_DEP_1)
	v_and_or_b32 v32, 0x80, v24, v25
	v_add_co_u32 v24, vcc_lo, v3, s8
	v_add_co_ci_u32_e32 v25, vcc_lo, s9, v4, vcc_lo
	global_store_b8 v[24:25], v32, off
	s_or_b32 exec_lo, exec_lo, s3
	s_and_saveexec_b32 s3, s0
	s_cbranch_execz .LBB360_77
.LBB360_86:                             ;   in Loop: Header=BB360_41 Depth=1
	v_lshrrev_b32_e32 v24, 24, v27
	s_delay_alu instid0(VALU_DEP_1)
	v_and_or_b32 v27, 0x80, v24, v28
	v_add_co_u32 v24, vcc_lo, v19, s8
	v_add_co_ci_u32_e32 v25, vcc_lo, s9, v20, vcc_lo
	global_store_b8 v[24:25], v27, off
	s_or_b32 exec_lo, exec_lo, s3
	s_and_saveexec_b32 s0, s1
	s_cbranch_execz .LBB360_78
.LBB360_87:                             ;   in Loop: Header=BB360_41 Depth=1
	v_lshrrev_b32_e32 v24, 24, v29
	s_delay_alu instid0(VALU_DEP_1)
	v_and_or_b32 v27, 0x80, v24, v30
	v_add_co_u32 v24, vcc_lo, v13, s8
	v_add_co_ci_u32_e32 v25, vcc_lo, s9, v14, vcc_lo
	global_store_b8 v[24:25], v27, off
	s_or_b32 exec_lo, exec_lo, s0
	s_and_saveexec_b32 s0, s2
	s_cbranch_execz .LBB360_40
.LBB360_88:                             ;   in Loop: Header=BB360_41 Depth=1
	v_lshrrev_b32_e32 v24, 24, v26
	s_delay_alu instid0(VALU_DEP_1)
	v_and_or_b32 v26, 0x80, v24, v31
	v_add_co_u32 v24, vcc_lo, v7, s8
	v_add_co_ci_u32_e32 v25, vcc_lo, s9, v8, vcc_lo
	global_store_b8 v[24:25], v26, off
	s_branch .LBB360_40
.LBB360_89:
	s_nop 0
	s_sendmsg sendmsg(MSG_DEALLOC_VGPRS)
	s_endpgm
	.section	.rodata,"a",@progbits
	.p2align	6, 0x0
	.amdhsa_kernel _ZN2at6native12_GLOBAL__N_125multi_tensor_apply_kernelINS1_18TensorListMetadataILi2EEENS1_14UnaryOpFunctorIN3c1013Float8_e4m3fnELi2ELi1ELi1EEEJNS0_4CopyIS7_S7_EEEEEvT_T0_DpT1_
		.amdhsa_group_segment_fixed_size 0
		.amdhsa_private_segment_fixed_size 0
		.amdhsa_kernarg_size 3408
		.amdhsa_user_sgpr_count 15
		.amdhsa_user_sgpr_dispatch_ptr 0
		.amdhsa_user_sgpr_queue_ptr 0
		.amdhsa_user_sgpr_kernarg_segment_ptr 1
		.amdhsa_user_sgpr_dispatch_id 0
		.amdhsa_user_sgpr_private_segment_size 0
		.amdhsa_wavefront_size32 1
		.amdhsa_uses_dynamic_stack 0
		.amdhsa_enable_private_segment 0
		.amdhsa_system_sgpr_workgroup_id_x 1
		.amdhsa_system_sgpr_workgroup_id_y 0
		.amdhsa_system_sgpr_workgroup_id_z 0
		.amdhsa_system_sgpr_workgroup_info 0
		.amdhsa_system_vgpr_workitem_id 0
		.amdhsa_next_free_vgpr 35
		.amdhsa_next_free_sgpr 19
		.amdhsa_reserve_vcc 1
		.amdhsa_float_round_mode_32 0
		.amdhsa_float_round_mode_16_64 0
		.amdhsa_float_denorm_mode_32 3
		.amdhsa_float_denorm_mode_16_64 3
		.amdhsa_dx10_clamp 1
		.amdhsa_ieee_mode 1
		.amdhsa_fp16_overflow 0
		.amdhsa_workgroup_processor_mode 1
		.amdhsa_memory_ordered 1
		.amdhsa_forward_progress 0
		.amdhsa_shared_vgpr_count 0
		.amdhsa_exception_fp_ieee_invalid_op 0
		.amdhsa_exception_fp_denorm_src 0
		.amdhsa_exception_fp_ieee_div_zero 0
		.amdhsa_exception_fp_ieee_overflow 0
		.amdhsa_exception_fp_ieee_underflow 0
		.amdhsa_exception_fp_ieee_inexact 0
		.amdhsa_exception_int_div_zero 0
	.end_amdhsa_kernel
	.section	.text._ZN2at6native12_GLOBAL__N_125multi_tensor_apply_kernelINS1_18TensorListMetadataILi2EEENS1_14UnaryOpFunctorIN3c1013Float8_e4m3fnELi2ELi1ELi1EEEJNS0_4CopyIS7_S7_EEEEEvT_T0_DpT1_,"axG",@progbits,_ZN2at6native12_GLOBAL__N_125multi_tensor_apply_kernelINS1_18TensorListMetadataILi2EEENS1_14UnaryOpFunctorIN3c1013Float8_e4m3fnELi2ELi1ELi1EEEJNS0_4CopyIS7_S7_EEEEEvT_T0_DpT1_,comdat
.Lfunc_end360:
	.size	_ZN2at6native12_GLOBAL__N_125multi_tensor_apply_kernelINS1_18TensorListMetadataILi2EEENS1_14UnaryOpFunctorIN3c1013Float8_e4m3fnELi2ELi1ELi1EEEJNS0_4CopyIS7_S7_EEEEEvT_T0_DpT1_, .Lfunc_end360-_ZN2at6native12_GLOBAL__N_125multi_tensor_apply_kernelINS1_18TensorListMetadataILi2EEENS1_14UnaryOpFunctorIN3c1013Float8_e4m3fnELi2ELi1ELi1EEEJNS0_4CopyIS7_S7_EEEEEvT_T0_DpT1_
                                        ; -- End function
	.section	.AMDGPU.csdata,"",@progbits
; Kernel info:
; codeLenInByte = 3704
; NumSgprs: 21
; NumVgprs: 35
; ScratchSize: 0
; MemoryBound: 0
; FloatMode: 240
; IeeeMode: 1
; LDSByteSize: 0 bytes/workgroup (compile time only)
; SGPRBlocks: 2
; VGPRBlocks: 4
; NumSGPRsForWavesPerEU: 21
; NumVGPRsForWavesPerEU: 35
; Occupancy: 16
; WaveLimiterHint : 0
; COMPUTE_PGM_RSRC2:SCRATCH_EN: 0
; COMPUTE_PGM_RSRC2:USER_SGPR: 15
; COMPUTE_PGM_RSRC2:TRAP_HANDLER: 0
; COMPUTE_PGM_RSRC2:TGID_X_EN: 1
; COMPUTE_PGM_RSRC2:TGID_Y_EN: 0
; COMPUTE_PGM_RSRC2:TGID_Z_EN: 0
; COMPUTE_PGM_RSRC2:TIDIG_COMP_CNT: 0
	.section	.text._ZN2at6native12_GLOBAL__N_125multi_tensor_apply_kernelINS1_18TensorListMetadataILi2EEENS1_11CopyFunctorIN3c1013Float8_e4m3fnENS6_15Float8_e4m3fnuzELi2ELi1ELi1EEEJNS0_4CopyIS7_S8_EEEEEvT_T0_DpT1_,"axG",@progbits,_ZN2at6native12_GLOBAL__N_125multi_tensor_apply_kernelINS1_18TensorListMetadataILi2EEENS1_11CopyFunctorIN3c1013Float8_e4m3fnENS6_15Float8_e4m3fnuzELi2ELi1ELi1EEEJNS0_4CopyIS7_S8_EEEEEvT_T0_DpT1_,comdat
	.globl	_ZN2at6native12_GLOBAL__N_125multi_tensor_apply_kernelINS1_18TensorListMetadataILi2EEENS1_11CopyFunctorIN3c1013Float8_e4m3fnENS6_15Float8_e4m3fnuzELi2ELi1ELi1EEEJNS0_4CopyIS7_S8_EEEEEvT_T0_DpT1_ ; -- Begin function _ZN2at6native12_GLOBAL__N_125multi_tensor_apply_kernelINS1_18TensorListMetadataILi2EEENS1_11CopyFunctorIN3c1013Float8_e4m3fnENS6_15Float8_e4m3fnuzELi2ELi1ELi1EEEJNS0_4CopyIS7_S8_EEEEEvT_T0_DpT1_
	.p2align	8
	.type	_ZN2at6native12_GLOBAL__N_125multi_tensor_apply_kernelINS1_18TensorListMetadataILi2EEENS1_11CopyFunctorIN3c1013Float8_e4m3fnENS6_15Float8_e4m3fnuzELi2ELi1ELi1EEEJNS0_4CopyIS7_S8_EEEEEvT_T0_DpT1_,@function
_ZN2at6native12_GLOBAL__N_125multi_tensor_apply_kernelINS1_18TensorListMetadataILi2EEENS1_11CopyFunctorIN3c1013Float8_e4m3fnENS6_15Float8_e4m3fnuzELi2ELi1ELi1EEEJNS0_4CopyIS7_S8_EEEEEvT_T0_DpT1_: ; @_ZN2at6native12_GLOBAL__N_125multi_tensor_apply_kernelINS1_18TensorListMetadataILi2EEENS1_11CopyFunctorIN3c1013Float8_e4m3fnENS6_15Float8_e4m3fnuzELi2ELi1ELi1EEEJNS0_4CopyIS7_S8_EEEEEvT_T0_DpT1_
; %bb.0:
	v_mov_b32_e32 v1, s15
	s_add_u32 s2, s0, s15
	s_mul_i32 s4, s15, 3
	s_addc_u32 s3, s1, 0
	s_mul_hi_u32 s5, s15, 3
	global_load_u8 v1, v1, s[0:1] offset:1536
	s_add_u32 s2, s2, s4
	s_addc_u32 s3, s3, s5
	s_load_b32 s2, s[2:3], 0x740
	s_waitcnt vmcnt(0)
	v_readfirstlane_b32 s4, v1
	s_delay_alu instid0(VALU_DEP_1)
	s_lshl_b32 s3, s4, 3
	s_clause 0x2
	s_load_b64 s[6:7], s[0:1], s3 offset:0x0
	s_load_b64 s[8:9], s[0:1], s3 offset:0x200
	;; [unrolled: 1-line block ×3, first 2 shown]
	s_waitcnt lgkmcnt(0)
	s_ashr_i32 s3, s2, 31
	s_delay_alu instid0(SALU_CYCLE_1) | instskip(NEXT) | instid1(SALU_CYCLE_1)
	s_lshl_b64 s[10:11], s[2:3], 16
	s_add_u32 s3, s6, s10
	s_addc_u32 s14, s7, s11
	s_add_u32 s12, s8, s10
	s_addc_u32 s13, s9, s11
	s_delay_alu instid0(SALU_CYCLE_1) | instskip(NEXT) | instid1(SALU_CYCLE_1)
	s_or_b64 s[16:17], s[4:5], s[12:13]
	s_or_b32 s2, s3, s16
	s_delay_alu instid0(SALU_CYCLE_1)
	s_and_b32 s2, s2, 3
	s_sub_u32 s4, s4, s10
	s_subb_u32 s5, s5, s11
	s_cmp_eq_u32 s2, 0
	s_mov_b32 s2, -1
	s_cbranch_scc0 .LBB361_69
; %bb.1:
	v_dual_mov_b32 v2, 0 :: v_dual_lshlrev_b32 v1, 2, v0
	s_mov_b32 s15, exec_lo
	s_delay_alu instid0(VALU_DEP_1)
	v_cmpx_gt_i64_e64 s[4:5], v[1:2]
	s_cbranch_execz .LBB361_68
; %bb.2:
	s_load_b32 s2, s[0:1], 0xc5c
	v_mov_b32_e32 v3, 0x7f
	s_mov_b32 s17, 0
	s_waitcnt lgkmcnt(0)
	s_and_b32 s2, s2, 0xffff
	s_delay_alu instid0(SALU_CYCLE_1)
	s_lshl_b32 s16, s2, 2
	s_branch .LBB361_4
.LBB361_3:                              ;   in Loop: Header=BB361_4 Depth=1
	s_or_b32 exec_lo, exec_lo, s2
	v_lshrrev_b32_e32 v9, 24, v9
	v_lshrrev_b32_e32 v7, 24, v7
	v_add_co_u32 v12, vcc_lo, s12, v1
	v_add_co_ci_u32_e32 v13, vcc_lo, s13, v2, vcc_lo
	s_delay_alu instid0(VALU_DEP_4) | instskip(NEXT) | instid1(VALU_DEP_4)
	v_and_b32_e32 v9, 0x80, v9
	v_and_b32_e32 v7, 0x80, v7
	v_add_co_u32 v1, vcc_lo, s16, v1
	v_add_co_ci_u32_e32 v2, vcc_lo, 0, v2, vcc_lo
	s_delay_alu instid0(VALU_DEP_4)
	v_and_or_b32 v9, 0xff, v10, v9
	v_lshlrev_b32_e32 v5, 24, v5
	v_and_b32_e32 v11, 0x80000000, v11
	v_lshrrev_b32_e32 v4, 24, v4
	v_and_or_b32 v7, 0xff, v8, v7
	v_lshlrev_b32_e32 v9, 16, v9
	v_and_b32_e32 v6, 0xff, v6
	v_cmp_le_i64_e32 vcc_lo, s[4:5], v[1:2]
	v_cmp_lt_u64_e64 s2, 0xffff, v[1:2]
	v_lshlrev_b32_e32 v7, 8, v7
	v_or3_b32 v5, v11, v5, v9
	v_and_or_b32 v4, 0x80, v4, v6
	s_delay_alu instid0(VALU_DEP_4) | instskip(NEXT) | instid1(VALU_DEP_1)
	s_or_b32 s2, vcc_lo, s2
	v_or3_b32 v4, v5, v7, v4
	s_and_b32 s2, exec_lo, s2
	s_delay_alu instid0(SALU_CYCLE_1)
	s_or_b32 s17, s2, s17
	global_store_b32 v[12:13], v4, off
	s_and_not1_b32 exec_lo, exec_lo, s17
	s_cbranch_execz .LBB361_68
.LBB361_4:                              ; =>This Inner Loop Header: Depth=1
	v_add_co_u32 v4, vcc_lo, s3, v1
	v_add_co_ci_u32_e32 v5, vcc_lo, s14, v2, vcc_lo
	s_mov_b32 s2, 0
	s_mov_b32 s19, exec_lo
                                        ; implicit-def: $sgpr18
	global_load_b32 v5, v[4:5], off
	s_waitcnt vmcnt(0)
	v_and_b32_e32 v6, 0xff, v5
	s_delay_alu instid0(VALU_DEP_1)
	v_cmpx_lt_i16_e32 0x7f, v6
	s_xor_b32 s19, exec_lo, s19
	s_cbranch_execnz .LBB361_52
; %bb.5:                                ;   in Loop: Header=BB361_4 Depth=1
	s_or_saveexec_b32 s19, s19
	v_mov_b32_e32 v4, s18
	s_xor_b32 exec_lo, exec_lo, s19
	s_cbranch_execnz .LBB361_55
.LBB361_6:                              ;   in Loop: Header=BB361_4 Depth=1
	s_or_b32 exec_lo, exec_lo, s19
	s_and_saveexec_b32 s18, s2
	s_cbranch_execz .LBB361_8
.LBB361_7:                              ;   in Loop: Header=BB361_4 Depth=1
	v_and_b32_e32 v4, 7, v5
	v_bfe_u32 v8, v5, 3, 4
	s_delay_alu instid0(VALU_DEP_2) | instskip(NEXT) | instid1(VALU_DEP_2)
	v_clz_i32_u32_e32 v6, v4
	v_cmp_eq_u32_e32 vcc_lo, 0, v8
	s_delay_alu instid0(VALU_DEP_2) | instskip(NEXT) | instid1(VALU_DEP_1)
	v_min_u32_e32 v6, 32, v6
	v_subrev_nc_u32_e32 v7, 28, v6
	v_sub_nc_u32_e32 v6, 29, v6
	s_delay_alu instid0(VALU_DEP_1) | instskip(NEXT) | instid1(VALU_DEP_1)
	v_dual_cndmask_b32 v6, v8, v6 :: v_dual_lshlrev_b32 v7, v7, v5
	v_and_b32_e32 v7, 7, v7
	v_lshlrev_b32_e32 v9, 24, v5
	s_delay_alu instid0(VALU_DEP_3) | instskip(NEXT) | instid1(VALU_DEP_2)
	v_lshl_add_u32 v6, v6, 23, 0x3b800000
	v_dual_cndmask_b32 v4, v4, v7 :: v_dual_and_b32 v7, 0x80000000, v9
	s_delay_alu instid0(VALU_DEP_1) | instskip(NEXT) | instid1(VALU_DEP_1)
	v_lshlrev_b32_e32 v4, 20, v4
	v_or3_b32 v4, v7, v6, v4
.LBB361_8:                              ;   in Loop: Header=BB361_4 Depth=1
	s_or_b32 exec_lo, exec_lo, s18
	s_delay_alu instid0(VALU_DEP_1) | instskip(SKIP_1) | instid1(VALU_DEP_1)
	v_and_b32_e32 v7, 0x7fffffff, v4
	s_mov_b32 s2, exec_lo
                                        ; implicit-def: $vgpr6
	v_cmpx_gt_u32_e32 0x43f00000, v7
	s_xor_b32 s2, exec_lo, s2
	s_cbranch_execz .LBB361_14
; %bb.9:                                ;   in Loop: Header=BB361_4 Depth=1
	s_mov_b32 s18, exec_lo
                                        ; implicit-def: $vgpr6
	v_cmpx_lt_u32_e32 0x3c7fffff, v7
	s_xor_b32 s18, exec_lo, s18
; %bb.10:                               ;   in Loop: Header=BB361_4 Depth=1
	v_bfe_u32 v6, v4, 20, 1
	s_delay_alu instid0(VALU_DEP_1) | instskip(NEXT) | instid1(VALU_DEP_1)
	v_add3_u32 v6, v4, v6, 0x407ffff
	v_and_b32_e32 v7, 0xff00000, v6
	v_lshrrev_b32_e32 v6, 20, v6
	s_delay_alu instid0(VALU_DEP_2) | instskip(NEXT) | instid1(VALU_DEP_2)
	v_cmp_ne_u32_e32 vcc_lo, 0x7f00000, v7
	v_cndmask_b32_e32 v6, 0x7e, v6, vcc_lo
; %bb.11:                               ;   in Loop: Header=BB361_4 Depth=1
	s_and_not1_saveexec_b32 s18, s18
; %bb.12:                               ;   in Loop: Header=BB361_4 Depth=1
	v_add_f32_e64 v6, 0x46800000, |v4|
; %bb.13:                               ;   in Loop: Header=BB361_4 Depth=1
	s_or_b32 exec_lo, exec_lo, s18
                                        ; implicit-def: $vgpr7
.LBB361_14:                             ;   in Loop: Header=BB361_4 Depth=1
	s_and_not1_saveexec_b32 s2, s2
; %bb.15:                               ;   in Loop: Header=BB361_4 Depth=1
	v_cmp_lt_u32_e32 vcc_lo, 0x7f800000, v7
	v_cndmask_b32_e32 v6, 0x7e, v3, vcc_lo
; %bb.16:                               ;   in Loop: Header=BB361_4 Depth=1
	s_or_b32 exec_lo, exec_lo, s2
	v_lshrrev_b32_e32 v8, 8, v5
	s_mov_b32 s2, 0
	s_mov_b32 s19, exec_lo
                                        ; implicit-def: $sgpr18
	s_delay_alu instid0(VALU_DEP_1) | instskip(NEXT) | instid1(VALU_DEP_1)
	v_and_b32_e32 v9, 0xff, v8
	v_cmpx_lt_i16_e32 0x7f, v9
	s_xor_b32 s19, exec_lo, s19
	s_cbranch_execnz .LBB361_56
; %bb.17:                               ;   in Loop: Header=BB361_4 Depth=1
	s_or_saveexec_b32 s19, s19
	v_mov_b32_e32 v7, s18
	s_xor_b32 exec_lo, exec_lo, s19
	s_cbranch_execnz .LBB361_59
.LBB361_18:                             ;   in Loop: Header=BB361_4 Depth=1
	s_or_b32 exec_lo, exec_lo, s19
	s_and_saveexec_b32 s18, s2
	s_cbranch_execz .LBB361_20
.LBB361_19:                             ;   in Loop: Header=BB361_4 Depth=1
	v_bfe_u32 v7, v5, 8, 3
	v_bfe_u32 v11, v5, 11, 4
	s_delay_alu instid0(VALU_DEP_2) | instskip(NEXT) | instid1(VALU_DEP_2)
	v_clz_i32_u32_e32 v9, v7
	v_cmp_eq_u32_e32 vcc_lo, 0, v11
	s_delay_alu instid0(VALU_DEP_2) | instskip(NEXT) | instid1(VALU_DEP_1)
	v_min_u32_e32 v9, 32, v9
	v_subrev_nc_u32_e32 v10, 28, v9
	v_sub_nc_u32_e32 v9, 29, v9
	s_delay_alu instid0(VALU_DEP_1) | instskip(NEXT) | instid1(VALU_DEP_1)
	v_dual_cndmask_b32 v9, v11, v9 :: v_dual_lshlrev_b32 v10, v10, v8
	v_and_b32_e32 v10, 7, v10
	v_lshlrev_b32_e32 v8, 24, v8
	s_delay_alu instid0(VALU_DEP_3) | instskip(NEXT) | instid1(VALU_DEP_2)
	v_lshl_add_u32 v9, v9, 23, 0x3b800000
	v_dual_cndmask_b32 v7, v7, v10 :: v_dual_and_b32 v8, 0x80000000, v8
	s_delay_alu instid0(VALU_DEP_1) | instskip(NEXT) | instid1(VALU_DEP_1)
	v_lshlrev_b32_e32 v7, 20, v7
	v_or3_b32 v7, v8, v9, v7
.LBB361_20:                             ;   in Loop: Header=BB361_4 Depth=1
	s_or_b32 exec_lo, exec_lo, s18
	s_delay_alu instid0(VALU_DEP_1) | instskip(SKIP_1) | instid1(VALU_DEP_1)
	v_and_b32_e32 v9, 0x7fffffff, v7
	s_mov_b32 s2, exec_lo
                                        ; implicit-def: $vgpr8
	v_cmpx_gt_u32_e32 0x43f00000, v9
	s_xor_b32 s2, exec_lo, s2
	s_cbranch_execz .LBB361_26
; %bb.21:                               ;   in Loop: Header=BB361_4 Depth=1
	s_mov_b32 s18, exec_lo
                                        ; implicit-def: $vgpr8
	v_cmpx_lt_u32_e32 0x3c7fffff, v9
	s_xor_b32 s18, exec_lo, s18
; %bb.22:                               ;   in Loop: Header=BB361_4 Depth=1
	v_bfe_u32 v8, v7, 20, 1
	s_delay_alu instid0(VALU_DEP_1) | instskip(NEXT) | instid1(VALU_DEP_1)
	v_add3_u32 v8, v7, v8, 0x407ffff
	v_and_b32_e32 v9, 0xff00000, v8
	v_lshrrev_b32_e32 v8, 20, v8
	s_delay_alu instid0(VALU_DEP_2) | instskip(NEXT) | instid1(VALU_DEP_2)
	v_cmp_ne_u32_e32 vcc_lo, 0x7f00000, v9
	v_cndmask_b32_e32 v8, 0x7e, v8, vcc_lo
; %bb.23:                               ;   in Loop: Header=BB361_4 Depth=1
	s_and_not1_saveexec_b32 s18, s18
; %bb.24:                               ;   in Loop: Header=BB361_4 Depth=1
	v_add_f32_e64 v8, 0x46800000, |v7|
; %bb.25:                               ;   in Loop: Header=BB361_4 Depth=1
	s_or_b32 exec_lo, exec_lo, s18
                                        ; implicit-def: $vgpr9
.LBB361_26:                             ;   in Loop: Header=BB361_4 Depth=1
	s_and_not1_saveexec_b32 s2, s2
; %bb.27:                               ;   in Loop: Header=BB361_4 Depth=1
	v_cmp_lt_u32_e32 vcc_lo, 0x7f800000, v9
	v_cndmask_b32_e32 v8, 0x7e, v3, vcc_lo
; %bb.28:                               ;   in Loop: Header=BB361_4 Depth=1
	s_or_b32 exec_lo, exec_lo, s2
	v_lshrrev_b32_e32 v10, 16, v5
	s_mov_b32 s2, 0
	s_mov_b32 s19, exec_lo
                                        ; implicit-def: $sgpr18
	s_delay_alu instid0(VALU_DEP_1) | instskip(NEXT) | instid1(VALU_DEP_1)
	v_and_b32_e32 v11, 0xff, v10
	v_cmpx_lt_i16_e32 0x7f, v11
	s_xor_b32 s19, exec_lo, s19
	s_cbranch_execnz .LBB361_60
; %bb.29:                               ;   in Loop: Header=BB361_4 Depth=1
	s_or_saveexec_b32 s19, s19
	v_mov_b32_e32 v9, s18
	s_xor_b32 exec_lo, exec_lo, s19
	s_cbranch_execnz .LBB361_63
.LBB361_30:                             ;   in Loop: Header=BB361_4 Depth=1
	s_or_b32 exec_lo, exec_lo, s19
	s_and_saveexec_b32 s18, s2
	s_cbranch_execz .LBB361_32
.LBB361_31:                             ;   in Loop: Header=BB361_4 Depth=1
	v_bfe_u32 v9, v5, 16, 3
	v_bfe_u32 v13, v5, 19, 4
	s_delay_alu instid0(VALU_DEP_2) | instskip(NEXT) | instid1(VALU_DEP_2)
	v_clz_i32_u32_e32 v11, v9
	v_cmp_eq_u32_e32 vcc_lo, 0, v13
	s_delay_alu instid0(VALU_DEP_2) | instskip(NEXT) | instid1(VALU_DEP_1)
	v_min_u32_e32 v11, 32, v11
	v_subrev_nc_u32_e32 v12, 28, v11
	v_sub_nc_u32_e32 v11, 29, v11
	s_delay_alu instid0(VALU_DEP_1) | instskip(NEXT) | instid1(VALU_DEP_1)
	v_dual_cndmask_b32 v11, v13, v11 :: v_dual_lshlrev_b32 v12, v12, v10
	v_and_b32_e32 v12, 7, v12
	v_lshlrev_b32_e32 v10, 24, v10
	s_delay_alu instid0(VALU_DEP_3) | instskip(NEXT) | instid1(VALU_DEP_2)
	v_lshl_add_u32 v11, v11, 23, 0x3b800000
	v_dual_cndmask_b32 v9, v9, v12 :: v_dual_and_b32 v10, 0x80000000, v10
	s_delay_alu instid0(VALU_DEP_1) | instskip(NEXT) | instid1(VALU_DEP_1)
	v_lshlrev_b32_e32 v9, 20, v9
	v_or3_b32 v9, v10, v11, v9
.LBB361_32:                             ;   in Loop: Header=BB361_4 Depth=1
	s_or_b32 exec_lo, exec_lo, s18
	s_delay_alu instid0(VALU_DEP_1) | instskip(SKIP_1) | instid1(VALU_DEP_1)
	v_and_b32_e32 v11, 0x7fffffff, v9
	s_mov_b32 s2, exec_lo
                                        ; implicit-def: $vgpr10
	v_cmpx_gt_u32_e32 0x43f00000, v11
	s_xor_b32 s2, exec_lo, s2
	s_cbranch_execz .LBB361_38
; %bb.33:                               ;   in Loop: Header=BB361_4 Depth=1
	s_mov_b32 s18, exec_lo
                                        ; implicit-def: $vgpr10
	v_cmpx_lt_u32_e32 0x3c7fffff, v11
	s_xor_b32 s18, exec_lo, s18
; %bb.34:                               ;   in Loop: Header=BB361_4 Depth=1
	v_bfe_u32 v10, v9, 20, 1
	s_delay_alu instid0(VALU_DEP_1) | instskip(NEXT) | instid1(VALU_DEP_1)
	v_add3_u32 v10, v9, v10, 0x407ffff
	v_and_b32_e32 v11, 0xff00000, v10
	v_lshrrev_b32_e32 v10, 20, v10
	s_delay_alu instid0(VALU_DEP_2) | instskip(NEXT) | instid1(VALU_DEP_2)
	v_cmp_ne_u32_e32 vcc_lo, 0x7f00000, v11
	v_cndmask_b32_e32 v10, 0x7e, v10, vcc_lo
; %bb.35:                               ;   in Loop: Header=BB361_4 Depth=1
	s_and_not1_saveexec_b32 s18, s18
; %bb.36:                               ;   in Loop: Header=BB361_4 Depth=1
	v_add_f32_e64 v10, 0x46800000, |v9|
; %bb.37:                               ;   in Loop: Header=BB361_4 Depth=1
	s_or_b32 exec_lo, exec_lo, s18
                                        ; implicit-def: $vgpr11
.LBB361_38:                             ;   in Loop: Header=BB361_4 Depth=1
	s_and_not1_saveexec_b32 s2, s2
; %bb.39:                               ;   in Loop: Header=BB361_4 Depth=1
	v_cmp_lt_u32_e32 vcc_lo, 0x7f800000, v11
	v_cndmask_b32_e32 v10, 0x7e, v3, vcc_lo
; %bb.40:                               ;   in Loop: Header=BB361_4 Depth=1
	s_or_b32 exec_lo, exec_lo, s2
	v_lshrrev_b32_e32 v12, 24, v5
	s_mov_b32 s2, 0
	s_mov_b32 s19, exec_lo
                                        ; implicit-def: $sgpr18
	s_delay_alu instid0(VALU_DEP_1)
	v_cmpx_lt_i16_e32 0x7f, v12
	s_xor_b32 s19, exec_lo, s19
	s_cbranch_execnz .LBB361_64
; %bb.41:                               ;   in Loop: Header=BB361_4 Depth=1
	s_or_saveexec_b32 s19, s19
	v_mov_b32_e32 v11, s18
	s_xor_b32 exec_lo, exec_lo, s19
	s_cbranch_execnz .LBB361_67
.LBB361_42:                             ;   in Loop: Header=BB361_4 Depth=1
	s_or_b32 exec_lo, exec_lo, s19
	s_and_saveexec_b32 s18, s2
	s_cbranch_execz .LBB361_44
.LBB361_43:                             ;   in Loop: Header=BB361_4 Depth=1
	v_bfe_u32 v11, v5, 24, 3
	s_delay_alu instid0(VALU_DEP_1) | instskip(NEXT) | instid1(VALU_DEP_1)
	v_clz_i32_u32_e32 v13, v11
	v_min_u32_e32 v13, 32, v13
	s_delay_alu instid0(VALU_DEP_1) | instskip(SKIP_1) | instid1(VALU_DEP_2)
	v_subrev_nc_u32_e32 v14, 28, v13
	v_sub_nc_u32_e32 v13, 29, v13
	v_lshlrev_b32_e32 v12, v14, v12
	v_bfe_u32 v14, v5, 27, 4
	v_and_b32_e32 v5, 0x80000000, v5
	s_delay_alu instid0(VALU_DEP_2) | instskip(NEXT) | instid1(VALU_DEP_4)
	v_cmp_eq_u32_e32 vcc_lo, 0, v14
	v_dual_cndmask_b32 v13, v14, v13 :: v_dual_and_b32 v12, 7, v12
	s_delay_alu instid0(VALU_DEP_1) | instskip(NEXT) | instid1(VALU_DEP_2)
	v_cndmask_b32_e32 v11, v11, v12, vcc_lo
	v_lshl_add_u32 v12, v13, 23, 0x3b800000
	s_delay_alu instid0(VALU_DEP_2) | instskip(NEXT) | instid1(VALU_DEP_1)
	v_lshlrev_b32_e32 v11, 20, v11
	v_or3_b32 v11, v5, v12, v11
.LBB361_44:                             ;   in Loop: Header=BB361_4 Depth=1
	s_or_b32 exec_lo, exec_lo, s18
	s_delay_alu instid0(VALU_DEP_1) | instskip(SKIP_1) | instid1(VALU_DEP_1)
	v_and_b32_e32 v12, 0x7fffffff, v11
	s_mov_b32 s2, exec_lo
                                        ; implicit-def: $vgpr5
	v_cmpx_gt_u32_e32 0x43f00000, v12
	s_xor_b32 s2, exec_lo, s2
	s_cbranch_execz .LBB361_50
; %bb.45:                               ;   in Loop: Header=BB361_4 Depth=1
	s_mov_b32 s18, exec_lo
                                        ; implicit-def: $vgpr5
	v_cmpx_lt_u32_e32 0x3c7fffff, v12
	s_xor_b32 s18, exec_lo, s18
; %bb.46:                               ;   in Loop: Header=BB361_4 Depth=1
	v_bfe_u32 v5, v11, 20, 1
	s_delay_alu instid0(VALU_DEP_1) | instskip(NEXT) | instid1(VALU_DEP_1)
	v_add3_u32 v5, v11, v5, 0x407ffff
	v_and_b32_e32 v12, 0xff00000, v5
	v_lshrrev_b32_e32 v5, 20, v5
	s_delay_alu instid0(VALU_DEP_2) | instskip(NEXT) | instid1(VALU_DEP_2)
	v_cmp_ne_u32_e32 vcc_lo, 0x7f00000, v12
	v_cndmask_b32_e32 v5, 0x7e, v5, vcc_lo
; %bb.47:                               ;   in Loop: Header=BB361_4 Depth=1
	s_and_not1_saveexec_b32 s18, s18
; %bb.48:                               ;   in Loop: Header=BB361_4 Depth=1
	v_add_f32_e64 v5, 0x46800000, |v11|
; %bb.49:                               ;   in Loop: Header=BB361_4 Depth=1
	s_or_b32 exec_lo, exec_lo, s18
                                        ; implicit-def: $vgpr12
.LBB361_50:                             ;   in Loop: Header=BB361_4 Depth=1
	s_and_not1_saveexec_b32 s2, s2
	s_cbranch_execz .LBB361_3
; %bb.51:                               ;   in Loop: Header=BB361_4 Depth=1
	v_cmp_lt_u32_e32 vcc_lo, 0x7f800000, v12
	v_cndmask_b32_e32 v5, 0x7e, v3, vcc_lo
	s_branch .LBB361_3
.LBB361_52:                             ;   in Loop: Header=BB361_4 Depth=1
	s_mov_b32 s2, -1
	s_mov_b32 s20, exec_lo
                                        ; implicit-def: $sgpr18
	v_cmpx_eq_u16_e32 0x80, v6
; %bb.53:                               ;   in Loop: Header=BB361_4 Depth=1
	s_mov_b32 s18, 0x7f800001
	s_xor_b32 s2, exec_lo, -1
; %bb.54:                               ;   in Loop: Header=BB361_4 Depth=1
	s_or_b32 exec_lo, exec_lo, s20
	s_delay_alu instid0(SALU_CYCLE_1)
	s_and_b32 s2, s2, exec_lo
                                        ; implicit-def: $vgpr6
	s_or_saveexec_b32 s19, s19
	v_mov_b32_e32 v4, s18
	s_xor_b32 exec_lo, exec_lo, s19
	s_cbranch_execz .LBB361_6
.LBB361_55:                             ;   in Loop: Header=BB361_4 Depth=1
	v_cmp_ne_u16_e32 vcc_lo, 0, v6
	v_mov_b32_e32 v4, 0
	s_and_not1_b32 s2, s2, exec_lo
	s_and_b32 s18, vcc_lo, exec_lo
	s_delay_alu instid0(SALU_CYCLE_1)
	s_or_b32 s2, s2, s18
	s_or_b32 exec_lo, exec_lo, s19
	s_and_saveexec_b32 s18, s2
	s_cbranch_execnz .LBB361_7
	s_branch .LBB361_8
.LBB361_56:                             ;   in Loop: Header=BB361_4 Depth=1
	s_mov_b32 s2, -1
	s_mov_b32 s20, exec_lo
                                        ; implicit-def: $sgpr18
	v_cmpx_eq_u16_e32 0x80, v9
; %bb.57:                               ;   in Loop: Header=BB361_4 Depth=1
	s_mov_b32 s18, 0x7f800001
	s_xor_b32 s2, exec_lo, -1
; %bb.58:                               ;   in Loop: Header=BB361_4 Depth=1
	s_or_b32 exec_lo, exec_lo, s20
	s_delay_alu instid0(SALU_CYCLE_1)
	s_and_b32 s2, s2, exec_lo
                                        ; implicit-def: $vgpr9
	s_or_saveexec_b32 s19, s19
	v_mov_b32_e32 v7, s18
	s_xor_b32 exec_lo, exec_lo, s19
	s_cbranch_execz .LBB361_18
.LBB361_59:                             ;   in Loop: Header=BB361_4 Depth=1
	v_cmp_ne_u16_e32 vcc_lo, 0, v9
	v_mov_b32_e32 v7, 0
	s_and_not1_b32 s2, s2, exec_lo
	s_and_b32 s18, vcc_lo, exec_lo
	s_delay_alu instid0(SALU_CYCLE_1)
	s_or_b32 s2, s2, s18
	s_or_b32 exec_lo, exec_lo, s19
	s_and_saveexec_b32 s18, s2
	s_cbranch_execnz .LBB361_19
	s_branch .LBB361_20
.LBB361_60:                             ;   in Loop: Header=BB361_4 Depth=1
	s_mov_b32 s2, -1
	s_mov_b32 s20, exec_lo
                                        ; implicit-def: $sgpr18
	v_cmpx_eq_u16_e32 0x80, v11
; %bb.61:                               ;   in Loop: Header=BB361_4 Depth=1
	s_mov_b32 s18, 0x7f800001
	s_xor_b32 s2, exec_lo, -1
; %bb.62:                               ;   in Loop: Header=BB361_4 Depth=1
	s_or_b32 exec_lo, exec_lo, s20
	s_delay_alu instid0(SALU_CYCLE_1)
	s_and_b32 s2, s2, exec_lo
                                        ; implicit-def: $vgpr11
	s_or_saveexec_b32 s19, s19
	v_mov_b32_e32 v9, s18
	s_xor_b32 exec_lo, exec_lo, s19
	s_cbranch_execz .LBB361_30
.LBB361_63:                             ;   in Loop: Header=BB361_4 Depth=1
	v_cmp_ne_u16_e32 vcc_lo, 0, v11
	v_mov_b32_e32 v9, 0
	s_and_not1_b32 s2, s2, exec_lo
	s_and_b32 s18, vcc_lo, exec_lo
	s_delay_alu instid0(SALU_CYCLE_1)
	s_or_b32 s2, s2, s18
	s_or_b32 exec_lo, exec_lo, s19
	s_and_saveexec_b32 s18, s2
	s_cbranch_execnz .LBB361_31
	s_branch .LBB361_32
.LBB361_64:                             ;   in Loop: Header=BB361_4 Depth=1
	s_mov_b32 s2, -1
	s_mov_b32 s20, exec_lo
                                        ; implicit-def: $sgpr18
	v_cmpx_eq_u16_e32 0x80, v12
; %bb.65:                               ;   in Loop: Header=BB361_4 Depth=1
	s_mov_b32 s18, 0x7f800001
	s_xor_b32 s2, exec_lo, -1
; %bb.66:                               ;   in Loop: Header=BB361_4 Depth=1
	s_or_b32 exec_lo, exec_lo, s20
	s_delay_alu instid0(SALU_CYCLE_1)
	s_and_b32 s2, s2, exec_lo
	s_or_saveexec_b32 s19, s19
	v_mov_b32_e32 v11, s18
	s_xor_b32 exec_lo, exec_lo, s19
	s_cbranch_execz .LBB361_42
.LBB361_67:                             ;   in Loop: Header=BB361_4 Depth=1
	v_cmp_ne_u16_e32 vcc_lo, 0, v12
	v_mov_b32_e32 v11, 0
	s_and_not1_b32 s2, s2, exec_lo
	s_and_b32 s18, vcc_lo, exec_lo
	s_delay_alu instid0(SALU_CYCLE_1)
	s_or_b32 s2, s2, s18
	s_or_b32 exec_lo, exec_lo, s19
	s_and_saveexec_b32 s18, s2
	s_cbranch_execnz .LBB361_43
	s_branch .LBB361_44
.LBB361_68:
	s_or_b32 exec_lo, exec_lo, s15
	s_mov_b32 s2, 0
.LBB361_69:
	s_delay_alu instid0(SALU_CYCLE_1)
	s_and_not1_b32 vcc_lo, exec_lo, s2
	s_cbranch_vccnz .LBB361_153
; %bb.70:
	v_cmp_lt_i64_e64 s2, s[4:5], 1
	s_delay_alu instid0(VALU_DEP_1)
	s_and_b32 vcc_lo, exec_lo, s2
	s_cbranch_vccnz .LBB361_153
; %bb.71:
	s_load_b32 s0, s[0:1], 0xc5c
	v_add_co_u32 v1, s1, s10, v0
	s_delay_alu instid0(VALU_DEP_1) | instskip(SKIP_1) | instid1(VALU_DEP_3)
	v_add_co_ci_u32_e64 v2, null, s11, 0, s1
	v_cmp_gt_u64_e64 s1, 0x10000, s[4:5]
	v_add_co_u32 v9, vcc_lo, s6, v1
	s_delay_alu instid0(VALU_DEP_3)
	v_add_co_ci_u32_e32 v10, vcc_lo, s7, v2, vcc_lo
	v_add_co_u32 v11, vcc_lo, s8, v1
	v_add_co_ci_u32_e32 v12, vcc_lo, s9, v2, vcc_lo
	v_mov_b32_e32 v31, 0x7f
                                        ; implicit-def: $vgpr32
                                        ; implicit-def: $vgpr33
                                        ; implicit-def: $vgpr34
                                        ; implicit-def: $vgpr35
	s_waitcnt lgkmcnt(0)
	s_and_b32 s0, s0, 0xffff
	s_and_b32 s1, s1, exec_lo
	s_mul_i32 s13, s0, 3
	s_cselect_b32 s3, s5, 0
	s_cselect_b32 s2, s4, 0x10000
	s_lshl_b32 s12, s0, 1
	s_lshl_b32 s1, s0, 2
	s_add_u32 s14, s10, s13
	s_addc_u32 s15, s11, 0
	v_add_co_u32 v3, s14, s14, v0
	s_delay_alu instid0(VALU_DEP_1) | instskip(SKIP_1) | instid1(VALU_DEP_2)
	v_add_co_ci_u32_e64 v4, null, s15, 0, s14
	s_add_u32 s10, s10, s12
	v_add_co_u32 v13, vcc_lo, s6, v3
	s_delay_alu instid0(VALU_DEP_2)
	v_add_co_ci_u32_e32 v14, vcc_lo, s7, v4, vcc_lo
	v_add_co_u32 v15, vcc_lo, s8, v3
	s_addc_u32 s11, s11, 0
	v_add_co_u32 v3, s10, s10, v0
	v_add_co_ci_u32_e32 v16, vcc_lo, s9, v4, vcc_lo
	v_add_co_ci_u32_e64 v4, null, s11, 0, s10
	s_delay_alu instid0(VALU_DEP_3) | instskip(SKIP_1) | instid1(VALU_DEP_3)
	v_add_co_u32 v19, vcc_lo, s6, v3
	v_add_co_u32 v17, s10, s13, v0
	v_add_co_ci_u32_e32 v20, vcc_lo, s7, v4, vcc_lo
	v_add_co_u32 v21, vcc_lo, s8, v3
	v_add_co_ci_u32_e32 v22, vcc_lo, s9, v4, vcc_lo
	v_add_co_u32 v1, vcc_lo, v1, s0
	v_add_co_ci_u32_e32 v2, vcc_lo, 0, v2, vcc_lo
	v_add_co_ci_u32_e64 v18, null, 0, 0, s10
	s_delay_alu instid0(VALU_DEP_3) | instskip(NEXT) | instid1(VALU_DEP_3)
	v_add_co_u32 v25, vcc_lo, s6, v1
	v_add_co_ci_u32_e32 v26, vcc_lo, s7, v2, vcc_lo
	v_add_co_u32 v23, s10, s12, v0
	v_add_co_u32 v27, vcc_lo, s8, v1
	v_add_co_u32 v29, s0, v0, s0
	v_add_co_ci_u32_e64 v24, null, 0, 0, s10
	v_add_co_ci_u32_e32 v28, vcc_lo, s9, v2, vcc_lo
	v_add_co_ci_u32_e64 v30, null, 0, 0, s0
	s_mov_b64 s[6:7], 0
	s_branch .LBB361_73
.LBB361_72:                             ;   in Loop: Header=BB361_73 Depth=1
	s_or_b32 exec_lo, exec_lo, s0
	s_add_u32 s6, s6, s1
	s_addc_u32 s7, s7, 0
	s_delay_alu instid0(SALU_CYCLE_1) | instskip(SKIP_1) | instid1(VALU_DEP_1)
	v_cmp_ge_i64_e64 s0, s[6:7], s[4:5]
	v_cmp_lt_u64_e64 s8, 0xffff, s[6:7]
	s_or_b32 s0, s0, s8
	s_delay_alu instid0(SALU_CYCLE_1)
	s_and_b32 vcc_lo, exec_lo, s0
	s_cbranch_vccnz .LBB361_153
.LBB361_73:                             ; =>This Inner Loop Header: Depth=1
	v_add_co_u32 v1, s0, v0, s6
	s_delay_alu instid0(VALU_DEP_1) | instskip(NEXT) | instid1(VALU_DEP_1)
	v_add_co_ci_u32_e64 v2, null, 0, s7, s0
	v_cmp_gt_i64_e32 vcc_lo, s[4:5], v[1:2]
	v_cmp_gt_u64_e64 s0, 0x10000, v[1:2]
	s_delay_alu instid0(VALU_DEP_1) | instskip(NEXT) | instid1(SALU_CYCLE_1)
	s_and_b32 s8, vcc_lo, s0
	s_and_saveexec_b32 s0, s8
	s_cbranch_execz .LBB361_75
; %bb.74:                               ;   in Loop: Header=BB361_73 Depth=1
	v_add_co_u32 v3, vcc_lo, v9, s6
	v_add_co_ci_u32_e32 v4, vcc_lo, s7, v10, vcc_lo
	global_load_u8 v35, v[3:4], off
.LBB361_75:                             ;   in Loop: Header=BB361_73 Depth=1
	s_or_b32 exec_lo, exec_lo, s0
	v_add_co_u32 v3, vcc_lo, v29, s6
	v_add_co_ci_u32_e32 v4, vcc_lo, s7, v30, vcc_lo
	s_delay_alu instid0(VALU_DEP_1) | instskip(SKIP_1) | instid1(VALU_DEP_1)
	v_cmp_gt_i64_e32 vcc_lo, s[4:5], v[3:4]
	v_cmp_gt_u64_e64 s0, 0x10000, v[3:4]
	s_and_b32 s8, vcc_lo, s0
	s_delay_alu instid0(SALU_CYCLE_1)
	s_and_saveexec_b32 s0, s8
	s_cbranch_execz .LBB361_77
; %bb.76:                               ;   in Loop: Header=BB361_73 Depth=1
	v_add_co_u32 v5, vcc_lo, v25, s6
	v_add_co_ci_u32_e32 v6, vcc_lo, s7, v26, vcc_lo
	global_load_u8 v34, v[5:6], off
.LBB361_77:                             ;   in Loop: Header=BB361_73 Depth=1
	s_or_b32 exec_lo, exec_lo, s0
	v_add_co_u32 v5, vcc_lo, v23, s6
	v_add_co_ci_u32_e32 v6, vcc_lo, s7, v24, vcc_lo
	s_delay_alu instid0(VALU_DEP_1) | instskip(SKIP_1) | instid1(VALU_DEP_1)
	v_cmp_gt_i64_e32 vcc_lo, s[4:5], v[5:6]
	v_cmp_gt_u64_e64 s0, 0x10000, v[5:6]
	s_and_b32 s8, vcc_lo, s0
	s_delay_alu instid0(SALU_CYCLE_1)
	;; [unrolled: 15-line block ×3, first 2 shown]
	s_and_saveexec_b32 s0, s8
	s_cbranch_execz .LBB361_81
; %bb.80:                               ;   in Loop: Header=BB361_73 Depth=1
	v_add_co_u32 v36, vcc_lo, v13, s6
	v_add_co_ci_u32_e32 v37, vcc_lo, s7, v14, vcc_lo
	global_load_u8 v32, v[36:37], off
.LBB361_81:                             ;   in Loop: Header=BB361_73 Depth=1
	s_or_b32 exec_lo, exec_lo, s0
	s_waitcnt vmcnt(0)
	v_and_b32_e32 v37, 0xff, v35
	s_mov_b32 s0, 0
	s_mov_b32 s9, exec_lo
                                        ; implicit-def: $sgpr8
	s_delay_alu instid0(VALU_DEP_1)
	v_cmpx_lt_i16_e32 0x7f, v37
	s_xor_b32 s9, exec_lo, s9
	s_cbranch_execnz .LBB361_133
; %bb.82:                               ;   in Loop: Header=BB361_73 Depth=1
	s_or_saveexec_b32 s9, s9
	v_mov_b32_e32 v36, s8
	s_xor_b32 exec_lo, exec_lo, s9
	s_cbranch_execnz .LBB361_136
.LBB361_83:                             ;   in Loop: Header=BB361_73 Depth=1
	s_or_b32 exec_lo, exec_lo, s9
	s_and_saveexec_b32 s8, s0
	s_cbranch_execz .LBB361_85
.LBB361_84:                             ;   in Loop: Header=BB361_73 Depth=1
	v_lshrrev_b16 v39, 3, v35
	v_lshlrev_b32_e32 v40, 24, v35
	s_delay_alu instid0(VALU_DEP_2) | instskip(NEXT) | instid1(VALU_DEP_1)
	v_and_b32_e32 v39, 15, v39
	v_cmp_eq_u32_e32 vcc_lo, 0, v39
	v_and_b32_e32 v36, 7, v35
	s_delay_alu instid0(VALU_DEP_1) | instskip(NEXT) | instid1(VALU_DEP_1)
	v_clz_i32_u32_e32 v37, v36
	v_min_u32_e32 v37, 32, v37
	s_delay_alu instid0(VALU_DEP_1) | instskip(SKIP_1) | instid1(VALU_DEP_1)
	v_subrev_nc_u32_e32 v38, 28, v37
	v_sub_nc_u32_e32 v37, 29, v37
	v_dual_cndmask_b32 v37, v39, v37 :: v_dual_lshlrev_b32 v38, v38, v35
	s_delay_alu instid0(VALU_DEP_1) | instskip(NEXT) | instid1(VALU_DEP_2)
	v_and_b32_e32 v38, 7, v38
	v_lshl_add_u32 v37, v37, 23, 0x3b800000
	s_delay_alu instid0(VALU_DEP_2) | instskip(SKIP_1) | instid1(VALU_DEP_2)
	v_cndmask_b32_e32 v36, v36, v38, vcc_lo
	v_and_b32_e32 v38, 0x80000000, v40
	v_lshlrev_b32_e32 v36, 20, v36
	s_delay_alu instid0(VALU_DEP_1)
	v_or3_b32 v36, v38, v37, v36
.LBB361_85:                             ;   in Loop: Header=BB361_73 Depth=1
	s_or_b32 exec_lo, exec_lo, s8
	s_delay_alu instid0(VALU_DEP_1) | instskip(SKIP_1) | instid1(VALU_DEP_1)
	v_and_b32_e32 v38, 0x7fffffff, v36
	s_mov_b32 s0, exec_lo
                                        ; implicit-def: $vgpr37
	v_cmpx_gt_u32_e32 0x43f00000, v38
	s_xor_b32 s0, exec_lo, s0
	s_cbranch_execz .LBB361_91
; %bb.86:                               ;   in Loop: Header=BB361_73 Depth=1
	s_mov_b32 s8, exec_lo
                                        ; implicit-def: $vgpr37
	v_cmpx_lt_u32_e32 0x3c7fffff, v38
	s_xor_b32 s8, exec_lo, s8
; %bb.87:                               ;   in Loop: Header=BB361_73 Depth=1
	v_bfe_u32 v37, v36, 20, 1
	s_delay_alu instid0(VALU_DEP_1) | instskip(NEXT) | instid1(VALU_DEP_1)
	v_add3_u32 v37, v36, v37, 0x407ffff
	v_and_b32_e32 v38, 0xff00000, v37
	v_lshrrev_b32_e32 v37, 20, v37
	s_delay_alu instid0(VALU_DEP_2) | instskip(NEXT) | instid1(VALU_DEP_2)
	v_cmp_ne_u32_e32 vcc_lo, 0x7f00000, v38
	v_cndmask_b32_e32 v37, 0x7e, v37, vcc_lo
; %bb.88:                               ;   in Loop: Header=BB361_73 Depth=1
	s_and_not1_saveexec_b32 s8, s8
; %bb.89:                               ;   in Loop: Header=BB361_73 Depth=1
	v_add_f32_e64 v37, 0x46800000, |v36|
; %bb.90:                               ;   in Loop: Header=BB361_73 Depth=1
	s_or_b32 exec_lo, exec_lo, s8
                                        ; implicit-def: $vgpr38
.LBB361_91:                             ;   in Loop: Header=BB361_73 Depth=1
	s_and_not1_saveexec_b32 s0, s0
; %bb.92:                               ;   in Loop: Header=BB361_73 Depth=1
	v_cmp_lt_u32_e32 vcc_lo, 0x7f800000, v38
	v_cndmask_b32_e32 v37, 0x7e, v31, vcc_lo
; %bb.93:                               ;   in Loop: Header=BB361_73 Depth=1
	s_or_b32 exec_lo, exec_lo, s0
	v_and_b32_e32 v39, 0xff, v34
	s_mov_b32 s0, 0
	s_mov_b32 s9, exec_lo
                                        ; implicit-def: $sgpr8
	s_delay_alu instid0(VALU_DEP_1)
	v_cmpx_lt_i16_e32 0x7f, v39
	s_xor_b32 s9, exec_lo, s9
	s_cbranch_execnz .LBB361_137
; %bb.94:                               ;   in Loop: Header=BB361_73 Depth=1
	s_or_saveexec_b32 s9, s9
	v_mov_b32_e32 v38, s8
	s_xor_b32 exec_lo, exec_lo, s9
	s_cbranch_execnz .LBB361_140
.LBB361_95:                             ;   in Loop: Header=BB361_73 Depth=1
	s_or_b32 exec_lo, exec_lo, s9
	s_and_saveexec_b32 s8, s0
	s_cbranch_execz .LBB361_97
.LBB361_96:                             ;   in Loop: Header=BB361_73 Depth=1
	v_lshrrev_b16 v41, 3, v34
	v_lshlrev_b32_e32 v42, 24, v34
	s_delay_alu instid0(VALU_DEP_2) | instskip(NEXT) | instid1(VALU_DEP_1)
	v_and_b32_e32 v41, 15, v41
	v_cmp_eq_u32_e32 vcc_lo, 0, v41
	v_and_b32_e32 v38, 7, v34
	s_delay_alu instid0(VALU_DEP_1) | instskip(NEXT) | instid1(VALU_DEP_1)
	v_clz_i32_u32_e32 v39, v38
	v_min_u32_e32 v39, 32, v39
	s_delay_alu instid0(VALU_DEP_1) | instskip(SKIP_1) | instid1(VALU_DEP_1)
	v_subrev_nc_u32_e32 v40, 28, v39
	v_sub_nc_u32_e32 v39, 29, v39
	v_dual_cndmask_b32 v39, v41, v39 :: v_dual_lshlrev_b32 v40, v40, v34
	s_delay_alu instid0(VALU_DEP_1) | instskip(NEXT) | instid1(VALU_DEP_2)
	v_and_b32_e32 v40, 7, v40
	v_lshl_add_u32 v39, v39, 23, 0x3b800000
	s_delay_alu instid0(VALU_DEP_2) | instskip(SKIP_1) | instid1(VALU_DEP_2)
	v_cndmask_b32_e32 v38, v38, v40, vcc_lo
	v_and_b32_e32 v40, 0x80000000, v42
	v_lshlrev_b32_e32 v38, 20, v38
	s_delay_alu instid0(VALU_DEP_1)
	v_or3_b32 v38, v40, v39, v38
.LBB361_97:                             ;   in Loop: Header=BB361_73 Depth=1
	s_or_b32 exec_lo, exec_lo, s8
	s_delay_alu instid0(VALU_DEP_1) | instskip(SKIP_1) | instid1(VALU_DEP_1)
	v_and_b32_e32 v40, 0x7fffffff, v38
	s_mov_b32 s0, exec_lo
                                        ; implicit-def: $vgpr39
	v_cmpx_gt_u32_e32 0x43f00000, v40
	s_xor_b32 s0, exec_lo, s0
	s_cbranch_execz .LBB361_103
; %bb.98:                               ;   in Loop: Header=BB361_73 Depth=1
	s_mov_b32 s8, exec_lo
                                        ; implicit-def: $vgpr39
	v_cmpx_lt_u32_e32 0x3c7fffff, v40
	s_xor_b32 s8, exec_lo, s8
; %bb.99:                               ;   in Loop: Header=BB361_73 Depth=1
	v_bfe_u32 v39, v38, 20, 1
	s_delay_alu instid0(VALU_DEP_1) | instskip(NEXT) | instid1(VALU_DEP_1)
	v_add3_u32 v39, v38, v39, 0x407ffff
	v_and_b32_e32 v40, 0xff00000, v39
	v_lshrrev_b32_e32 v39, 20, v39
	s_delay_alu instid0(VALU_DEP_2) | instskip(NEXT) | instid1(VALU_DEP_2)
	v_cmp_ne_u32_e32 vcc_lo, 0x7f00000, v40
	v_cndmask_b32_e32 v39, 0x7e, v39, vcc_lo
; %bb.100:                              ;   in Loop: Header=BB361_73 Depth=1
	s_and_not1_saveexec_b32 s8, s8
; %bb.101:                              ;   in Loop: Header=BB361_73 Depth=1
	v_add_f32_e64 v39, 0x46800000, |v38|
; %bb.102:                              ;   in Loop: Header=BB361_73 Depth=1
	s_or_b32 exec_lo, exec_lo, s8
                                        ; implicit-def: $vgpr40
.LBB361_103:                            ;   in Loop: Header=BB361_73 Depth=1
	s_and_not1_saveexec_b32 s0, s0
; %bb.104:                              ;   in Loop: Header=BB361_73 Depth=1
	v_cmp_lt_u32_e32 vcc_lo, 0x7f800000, v40
	v_cndmask_b32_e32 v39, 0x7e, v31, vcc_lo
; %bb.105:                              ;   in Loop: Header=BB361_73 Depth=1
	s_or_b32 exec_lo, exec_lo, s0
	v_and_b32_e32 v41, 0xff, v33
	s_mov_b32 s0, 0
	s_mov_b32 s9, exec_lo
                                        ; implicit-def: $sgpr8
	s_delay_alu instid0(VALU_DEP_1)
	v_cmpx_lt_i16_e32 0x7f, v41
	s_xor_b32 s9, exec_lo, s9
	s_cbranch_execnz .LBB361_141
; %bb.106:                              ;   in Loop: Header=BB361_73 Depth=1
	s_or_saveexec_b32 s9, s9
	v_mov_b32_e32 v40, s8
	s_xor_b32 exec_lo, exec_lo, s9
	s_cbranch_execnz .LBB361_144
.LBB361_107:                            ;   in Loop: Header=BB361_73 Depth=1
	s_or_b32 exec_lo, exec_lo, s9
	s_and_saveexec_b32 s8, s0
	s_cbranch_execz .LBB361_109
.LBB361_108:                            ;   in Loop: Header=BB361_73 Depth=1
	v_and_b32_e32 v40, 7, v33
	v_lshrrev_b16 v43, 3, v33
	v_lshlrev_b32_e32 v44, 24, v33
	s_delay_alu instid0(VALU_DEP_3) | instskip(NEXT) | instid1(VALU_DEP_1)
	v_clz_i32_u32_e32 v41, v40
	v_min_u32_e32 v41, 32, v41
	s_delay_alu instid0(VALU_DEP_1) | instskip(SKIP_1) | instid1(VALU_DEP_2)
	v_subrev_nc_u32_e32 v42, 28, v41
	v_sub_nc_u32_e32 v41, 29, v41
	v_lshlrev_b32_e32 v42, v42, v33
	s_delay_alu instid0(VALU_DEP_1) | instskip(SKIP_1) | instid1(VALU_DEP_1)
	v_and_b32_e32 v42, 7, v42
	v_and_b32_e32 v43, 15, v43
	v_cmp_eq_u32_e32 vcc_lo, 0, v43
	s_delay_alu instid0(VALU_DEP_3) | instskip(SKIP_1) | instid1(VALU_DEP_2)
	v_dual_cndmask_b32 v40, v40, v42 :: v_dual_cndmask_b32 v41, v43, v41
	v_and_b32_e32 v42, 0x80000000, v44
	v_lshlrev_b32_e32 v40, 20, v40
	s_delay_alu instid0(VALU_DEP_3) | instskip(NEXT) | instid1(VALU_DEP_1)
	v_lshl_add_u32 v41, v41, 23, 0x3b800000
	v_or3_b32 v40, v42, v41, v40
.LBB361_109:                            ;   in Loop: Header=BB361_73 Depth=1
	s_or_b32 exec_lo, exec_lo, s8
	s_delay_alu instid0(VALU_DEP_1) | instskip(SKIP_1) | instid1(VALU_DEP_1)
	v_and_b32_e32 v42, 0x7fffffff, v40
	s_mov_b32 s0, exec_lo
                                        ; implicit-def: $vgpr41
	v_cmpx_gt_u32_e32 0x43f00000, v42
	s_xor_b32 s0, exec_lo, s0
	s_cbranch_execz .LBB361_115
; %bb.110:                              ;   in Loop: Header=BB361_73 Depth=1
	s_mov_b32 s8, exec_lo
                                        ; implicit-def: $vgpr41
	v_cmpx_lt_u32_e32 0x3c7fffff, v42
	s_xor_b32 s8, exec_lo, s8
; %bb.111:                              ;   in Loop: Header=BB361_73 Depth=1
	v_bfe_u32 v41, v40, 20, 1
	s_delay_alu instid0(VALU_DEP_1) | instskip(NEXT) | instid1(VALU_DEP_1)
	v_add3_u32 v41, v40, v41, 0x407ffff
	v_and_b32_e32 v42, 0xff00000, v41
	v_lshrrev_b32_e32 v41, 20, v41
	s_delay_alu instid0(VALU_DEP_2) | instskip(NEXT) | instid1(VALU_DEP_2)
	v_cmp_ne_u32_e32 vcc_lo, 0x7f00000, v42
	v_cndmask_b32_e32 v41, 0x7e, v41, vcc_lo
; %bb.112:                              ;   in Loop: Header=BB361_73 Depth=1
	s_and_not1_saveexec_b32 s8, s8
; %bb.113:                              ;   in Loop: Header=BB361_73 Depth=1
	v_add_f32_e64 v41, 0x46800000, |v40|
; %bb.114:                              ;   in Loop: Header=BB361_73 Depth=1
	s_or_b32 exec_lo, exec_lo, s8
                                        ; implicit-def: $vgpr42
.LBB361_115:                            ;   in Loop: Header=BB361_73 Depth=1
	s_and_not1_saveexec_b32 s0, s0
; %bb.116:                              ;   in Loop: Header=BB361_73 Depth=1
	v_cmp_lt_u32_e32 vcc_lo, 0x7f800000, v42
	v_cndmask_b32_e32 v41, 0x7e, v31, vcc_lo
; %bb.117:                              ;   in Loop: Header=BB361_73 Depth=1
	s_or_b32 exec_lo, exec_lo, s0
	v_and_b32_e32 v43, 0xff, v32
	s_mov_b32 s0, 0
	s_mov_b32 s9, exec_lo
                                        ; implicit-def: $sgpr8
	s_delay_alu instid0(VALU_DEP_1)
	v_cmpx_lt_i16_e32 0x7f, v43
	s_xor_b32 s9, exec_lo, s9
	s_cbranch_execnz .LBB361_145
; %bb.118:                              ;   in Loop: Header=BB361_73 Depth=1
	s_or_saveexec_b32 s9, s9
	v_mov_b32_e32 v42, s8
	s_xor_b32 exec_lo, exec_lo, s9
	s_cbranch_execnz .LBB361_148
.LBB361_119:                            ;   in Loop: Header=BB361_73 Depth=1
	s_or_b32 exec_lo, exec_lo, s9
	s_and_saveexec_b32 s8, s0
	s_cbranch_execz .LBB361_121
.LBB361_120:                            ;   in Loop: Header=BB361_73 Depth=1
	v_lshrrev_b16 v45, 3, v32
	v_lshlrev_b32_e32 v46, 24, v32
	s_delay_alu instid0(VALU_DEP_2) | instskip(NEXT) | instid1(VALU_DEP_1)
	v_and_b32_e32 v45, 15, v45
	v_cmp_eq_u32_e32 vcc_lo, 0, v45
	v_and_b32_e32 v42, 7, v32
	s_delay_alu instid0(VALU_DEP_1) | instskip(NEXT) | instid1(VALU_DEP_1)
	v_clz_i32_u32_e32 v43, v42
	v_min_u32_e32 v43, 32, v43
	s_delay_alu instid0(VALU_DEP_1) | instskip(SKIP_1) | instid1(VALU_DEP_1)
	v_subrev_nc_u32_e32 v44, 28, v43
	v_sub_nc_u32_e32 v43, 29, v43
	v_dual_cndmask_b32 v43, v45, v43 :: v_dual_lshlrev_b32 v44, v44, v32
	s_delay_alu instid0(VALU_DEP_1) | instskip(NEXT) | instid1(VALU_DEP_2)
	v_and_b32_e32 v44, 7, v44
	v_lshl_add_u32 v43, v43, 23, 0x3b800000
	s_delay_alu instid0(VALU_DEP_2) | instskip(SKIP_1) | instid1(VALU_DEP_2)
	v_cndmask_b32_e32 v42, v42, v44, vcc_lo
	v_and_b32_e32 v44, 0x80000000, v46
	v_lshlrev_b32_e32 v42, 20, v42
	s_delay_alu instid0(VALU_DEP_1)
	v_or3_b32 v42, v44, v43, v42
.LBB361_121:                            ;   in Loop: Header=BB361_73 Depth=1
	s_or_b32 exec_lo, exec_lo, s8
	s_delay_alu instid0(VALU_DEP_1) | instskip(SKIP_1) | instid1(VALU_DEP_1)
	v_and_b32_e32 v44, 0x7fffffff, v42
	s_mov_b32 s0, exec_lo
                                        ; implicit-def: $vgpr43
	v_cmpx_gt_u32_e32 0x43f00000, v44
	s_xor_b32 s0, exec_lo, s0
	s_cbranch_execz .LBB361_127
; %bb.122:                              ;   in Loop: Header=BB361_73 Depth=1
	s_mov_b32 s8, exec_lo
                                        ; implicit-def: $vgpr43
	v_cmpx_lt_u32_e32 0x3c7fffff, v44
	s_xor_b32 s8, exec_lo, s8
; %bb.123:                              ;   in Loop: Header=BB361_73 Depth=1
	v_bfe_u32 v43, v42, 20, 1
	s_delay_alu instid0(VALU_DEP_1) | instskip(NEXT) | instid1(VALU_DEP_1)
	v_add3_u32 v43, v42, v43, 0x407ffff
	v_and_b32_e32 v44, 0xff00000, v43
	v_lshrrev_b32_e32 v43, 20, v43
	s_delay_alu instid0(VALU_DEP_2) | instskip(NEXT) | instid1(VALU_DEP_2)
	v_cmp_ne_u32_e32 vcc_lo, 0x7f00000, v44
	v_cndmask_b32_e32 v43, 0x7e, v43, vcc_lo
; %bb.124:                              ;   in Loop: Header=BB361_73 Depth=1
	s_and_not1_saveexec_b32 s8, s8
; %bb.125:                              ;   in Loop: Header=BB361_73 Depth=1
	v_add_f32_e64 v43, 0x46800000, |v42|
; %bb.126:                              ;   in Loop: Header=BB361_73 Depth=1
	s_or_b32 exec_lo, exec_lo, s8
                                        ; implicit-def: $vgpr44
.LBB361_127:                            ;   in Loop: Header=BB361_73 Depth=1
	s_and_not1_saveexec_b32 s0, s0
; %bb.128:                              ;   in Loop: Header=BB361_73 Depth=1
	v_cmp_lt_u32_e32 vcc_lo, 0x7f800000, v44
	v_cndmask_b32_e32 v43, 0x7e, v31, vcc_lo
; %bb.129:                              ;   in Loop: Header=BB361_73 Depth=1
	s_or_b32 exec_lo, exec_lo, s0
	s_delay_alu instid0(SALU_CYCLE_1)
	s_mov_b32 s0, exec_lo
	v_cmpx_gt_u64_e64 s[2:3], v[1:2]
	s_xor_b32 s0, exec_lo, s0
	s_cbranch_execnz .LBB361_149
; %bb.130:                              ;   in Loop: Header=BB361_73 Depth=1
	s_or_b32 exec_lo, exec_lo, s0
	s_delay_alu instid0(SALU_CYCLE_1)
	s_mov_b32 s0, exec_lo
	v_cmpx_gt_u64_e64 s[2:3], v[3:4]
	s_cbranch_execnz .LBB361_150
.LBB361_131:                            ;   in Loop: Header=BB361_73 Depth=1
	s_or_b32 exec_lo, exec_lo, s0
	s_delay_alu instid0(SALU_CYCLE_1)
	s_mov_b32 s0, exec_lo
	v_cmpx_gt_u64_e64 s[2:3], v[5:6]
	s_cbranch_execnz .LBB361_151
.LBB361_132:                            ;   in Loop: Header=BB361_73 Depth=1
	s_or_b32 exec_lo, exec_lo, s0
	s_delay_alu instid0(SALU_CYCLE_1)
	s_mov_b32 s0, exec_lo
	v_cmpx_gt_u64_e64 s[2:3], v[7:8]
	s_cbranch_execz .LBB361_72
	s_branch .LBB361_152
.LBB361_133:                            ;   in Loop: Header=BB361_73 Depth=1
	s_mov_b32 s0, -1
	s_mov_b32 s10, exec_lo
                                        ; implicit-def: $sgpr8
	v_cmpx_eq_u16_e32 0x80, v37
; %bb.134:                              ;   in Loop: Header=BB361_73 Depth=1
	s_mov_b32 s8, 0x7f800001
	s_xor_b32 s0, exec_lo, -1
; %bb.135:                              ;   in Loop: Header=BB361_73 Depth=1
	s_or_b32 exec_lo, exec_lo, s10
	s_delay_alu instid0(SALU_CYCLE_1)
	s_and_b32 s0, s0, exec_lo
                                        ; implicit-def: $vgpr37
	s_or_saveexec_b32 s9, s9
	v_mov_b32_e32 v36, s8
	s_xor_b32 exec_lo, exec_lo, s9
	s_cbranch_execz .LBB361_83
.LBB361_136:                            ;   in Loop: Header=BB361_73 Depth=1
	v_cmp_ne_u16_e32 vcc_lo, 0, v37
	v_mov_b32_e32 v36, 0
	s_and_not1_b32 s0, s0, exec_lo
	s_and_b32 s8, vcc_lo, exec_lo
	s_delay_alu instid0(SALU_CYCLE_1)
	s_or_b32 s0, s0, s8
	s_or_b32 exec_lo, exec_lo, s9
	s_and_saveexec_b32 s8, s0
	s_cbranch_execnz .LBB361_84
	s_branch .LBB361_85
.LBB361_137:                            ;   in Loop: Header=BB361_73 Depth=1
	s_mov_b32 s0, -1
	s_mov_b32 s10, exec_lo
                                        ; implicit-def: $sgpr8
	v_cmpx_eq_u16_e32 0x80, v39
; %bb.138:                              ;   in Loop: Header=BB361_73 Depth=1
	s_mov_b32 s8, 0x7f800001
	s_xor_b32 s0, exec_lo, -1
; %bb.139:                              ;   in Loop: Header=BB361_73 Depth=1
	s_or_b32 exec_lo, exec_lo, s10
	s_delay_alu instid0(SALU_CYCLE_1)
	s_and_b32 s0, s0, exec_lo
                                        ; implicit-def: $vgpr39
	s_or_saveexec_b32 s9, s9
	v_mov_b32_e32 v38, s8
	s_xor_b32 exec_lo, exec_lo, s9
	s_cbranch_execz .LBB361_95
.LBB361_140:                            ;   in Loop: Header=BB361_73 Depth=1
	v_cmp_ne_u16_e32 vcc_lo, 0, v39
	v_mov_b32_e32 v38, 0
	s_and_not1_b32 s0, s0, exec_lo
	s_and_b32 s8, vcc_lo, exec_lo
	s_delay_alu instid0(SALU_CYCLE_1)
	s_or_b32 s0, s0, s8
	s_or_b32 exec_lo, exec_lo, s9
	s_and_saveexec_b32 s8, s0
	s_cbranch_execnz .LBB361_96
	s_branch .LBB361_97
.LBB361_141:                            ;   in Loop: Header=BB361_73 Depth=1
	s_mov_b32 s0, -1
	s_mov_b32 s10, exec_lo
                                        ; implicit-def: $sgpr8
	v_cmpx_eq_u16_e32 0x80, v41
; %bb.142:                              ;   in Loop: Header=BB361_73 Depth=1
	s_mov_b32 s8, 0x7f800001
	s_xor_b32 s0, exec_lo, -1
; %bb.143:                              ;   in Loop: Header=BB361_73 Depth=1
	s_or_b32 exec_lo, exec_lo, s10
	s_delay_alu instid0(SALU_CYCLE_1)
	s_and_b32 s0, s0, exec_lo
                                        ; implicit-def: $vgpr41
	s_or_saveexec_b32 s9, s9
	v_mov_b32_e32 v40, s8
	s_xor_b32 exec_lo, exec_lo, s9
	s_cbranch_execz .LBB361_107
.LBB361_144:                            ;   in Loop: Header=BB361_73 Depth=1
	v_cmp_ne_u16_e32 vcc_lo, 0, v41
	v_mov_b32_e32 v40, 0
	s_and_not1_b32 s0, s0, exec_lo
	s_and_b32 s8, vcc_lo, exec_lo
	s_delay_alu instid0(SALU_CYCLE_1)
	s_or_b32 s0, s0, s8
	s_or_b32 exec_lo, exec_lo, s9
	s_and_saveexec_b32 s8, s0
	s_cbranch_execnz .LBB361_108
	s_branch .LBB361_109
.LBB361_145:                            ;   in Loop: Header=BB361_73 Depth=1
	s_mov_b32 s0, -1
	s_mov_b32 s10, exec_lo
                                        ; implicit-def: $sgpr8
	v_cmpx_eq_u16_e32 0x80, v43
; %bb.146:                              ;   in Loop: Header=BB361_73 Depth=1
	s_mov_b32 s8, 0x7f800001
	s_xor_b32 s0, exec_lo, -1
; %bb.147:                              ;   in Loop: Header=BB361_73 Depth=1
	s_or_b32 exec_lo, exec_lo, s10
	s_delay_alu instid0(SALU_CYCLE_1)
	s_and_b32 s0, s0, exec_lo
                                        ; implicit-def: $vgpr43
	s_or_saveexec_b32 s9, s9
	v_mov_b32_e32 v42, s8
	s_xor_b32 exec_lo, exec_lo, s9
	s_cbranch_execz .LBB361_119
.LBB361_148:                            ;   in Loop: Header=BB361_73 Depth=1
	v_cmp_ne_u16_e32 vcc_lo, 0, v43
	v_mov_b32_e32 v42, 0
	s_and_not1_b32 s0, s0, exec_lo
	s_and_b32 s8, vcc_lo, exec_lo
	s_delay_alu instid0(SALU_CYCLE_1)
	s_or_b32 s0, s0, s8
	s_or_b32 exec_lo, exec_lo, s9
	s_and_saveexec_b32 s8, s0
	s_cbranch_execnz .LBB361_120
	s_branch .LBB361_121
.LBB361_149:                            ;   in Loop: Header=BB361_73 Depth=1
	v_lshrrev_b32_e32 v1, 24, v36
	s_delay_alu instid0(VALU_DEP_1) | instskip(SKIP_4) | instid1(SALU_CYCLE_1)
	v_and_or_b32 v36, 0x80, v1, v37
	v_add_co_u32 v1, vcc_lo, v11, s6
	v_add_co_ci_u32_e32 v2, vcc_lo, s7, v12, vcc_lo
	global_store_b8 v[1:2], v36, off
	s_or_b32 exec_lo, exec_lo, s0
	s_mov_b32 s0, exec_lo
	v_cmpx_gt_u64_e64 s[2:3], v[3:4]
	s_cbranch_execz .LBB361_131
.LBB361_150:                            ;   in Loop: Header=BB361_73 Depth=1
	v_lshrrev_b32_e32 v1, 24, v38
	s_delay_alu instid0(VALU_DEP_1) | instskip(SKIP_4) | instid1(SALU_CYCLE_1)
	v_and_or_b32 v3, 0x80, v1, v39
	v_add_co_u32 v1, vcc_lo, v27, s6
	v_add_co_ci_u32_e32 v2, vcc_lo, s7, v28, vcc_lo
	global_store_b8 v[1:2], v3, off
	s_or_b32 exec_lo, exec_lo, s0
	s_mov_b32 s0, exec_lo
	v_cmpx_gt_u64_e64 s[2:3], v[5:6]
	s_cbranch_execz .LBB361_132
.LBB361_151:                            ;   in Loop: Header=BB361_73 Depth=1
	v_lshrrev_b32_e32 v1, 24, v40
	s_delay_alu instid0(VALU_DEP_1) | instskip(SKIP_4) | instid1(SALU_CYCLE_1)
	v_and_or_b32 v3, 0x80, v1, v41
	v_add_co_u32 v1, vcc_lo, v21, s6
	v_add_co_ci_u32_e32 v2, vcc_lo, s7, v22, vcc_lo
	global_store_b8 v[1:2], v3, off
	s_or_b32 exec_lo, exec_lo, s0
	s_mov_b32 s0, exec_lo
	v_cmpx_gt_u64_e64 s[2:3], v[7:8]
	s_cbranch_execz .LBB361_72
.LBB361_152:                            ;   in Loop: Header=BB361_73 Depth=1
	v_lshrrev_b32_e32 v1, 24, v42
	s_delay_alu instid0(VALU_DEP_1)
	v_and_or_b32 v3, 0x80, v1, v43
	v_add_co_u32 v1, vcc_lo, v15, s6
	v_add_co_ci_u32_e32 v2, vcc_lo, s7, v16, vcc_lo
	global_store_b8 v[1:2], v3, off
	s_branch .LBB361_72
.LBB361_153:
	s_nop 0
	s_sendmsg sendmsg(MSG_DEALLOC_VGPRS)
	s_endpgm
	.section	.rodata,"a",@progbits
	.p2align	6, 0x0
	.amdhsa_kernel _ZN2at6native12_GLOBAL__N_125multi_tensor_apply_kernelINS1_18TensorListMetadataILi2EEENS1_11CopyFunctorIN3c1013Float8_e4m3fnENS6_15Float8_e4m3fnuzELi2ELi1ELi1EEEJNS0_4CopyIS7_S8_EEEEEvT_T0_DpT1_
		.amdhsa_group_segment_fixed_size 0
		.amdhsa_private_segment_fixed_size 0
		.amdhsa_kernarg_size 3408
		.amdhsa_user_sgpr_count 15
		.amdhsa_user_sgpr_dispatch_ptr 0
		.amdhsa_user_sgpr_queue_ptr 0
		.amdhsa_user_sgpr_kernarg_segment_ptr 1
		.amdhsa_user_sgpr_dispatch_id 0
		.amdhsa_user_sgpr_private_segment_size 0
		.amdhsa_wavefront_size32 1
		.amdhsa_uses_dynamic_stack 0
		.amdhsa_enable_private_segment 0
		.amdhsa_system_sgpr_workgroup_id_x 1
		.amdhsa_system_sgpr_workgroup_id_y 0
		.amdhsa_system_sgpr_workgroup_id_z 0
		.amdhsa_system_sgpr_workgroup_info 0
		.amdhsa_system_vgpr_workitem_id 0
		.amdhsa_next_free_vgpr 47
		.amdhsa_next_free_sgpr 21
		.amdhsa_reserve_vcc 1
		.amdhsa_float_round_mode_32 0
		.amdhsa_float_round_mode_16_64 0
		.amdhsa_float_denorm_mode_32 3
		.amdhsa_float_denorm_mode_16_64 3
		.amdhsa_dx10_clamp 1
		.amdhsa_ieee_mode 1
		.amdhsa_fp16_overflow 0
		.amdhsa_workgroup_processor_mode 1
		.amdhsa_memory_ordered 1
		.amdhsa_forward_progress 0
		.amdhsa_shared_vgpr_count 0
		.amdhsa_exception_fp_ieee_invalid_op 0
		.amdhsa_exception_fp_denorm_src 0
		.amdhsa_exception_fp_ieee_div_zero 0
		.amdhsa_exception_fp_ieee_overflow 0
		.amdhsa_exception_fp_ieee_underflow 0
		.amdhsa_exception_fp_ieee_inexact 0
		.amdhsa_exception_int_div_zero 0
	.end_amdhsa_kernel
	.section	.text._ZN2at6native12_GLOBAL__N_125multi_tensor_apply_kernelINS1_18TensorListMetadataILi2EEENS1_11CopyFunctorIN3c1013Float8_e4m3fnENS6_15Float8_e4m3fnuzELi2ELi1ELi1EEEJNS0_4CopyIS7_S8_EEEEEvT_T0_DpT1_,"axG",@progbits,_ZN2at6native12_GLOBAL__N_125multi_tensor_apply_kernelINS1_18TensorListMetadataILi2EEENS1_11CopyFunctorIN3c1013Float8_e4m3fnENS6_15Float8_e4m3fnuzELi2ELi1ELi1EEEJNS0_4CopyIS7_S8_EEEEEvT_T0_DpT1_,comdat
.Lfunc_end361:
	.size	_ZN2at6native12_GLOBAL__N_125multi_tensor_apply_kernelINS1_18TensorListMetadataILi2EEENS1_11CopyFunctorIN3c1013Float8_e4m3fnENS6_15Float8_e4m3fnuzELi2ELi1ELi1EEEJNS0_4CopyIS7_S8_EEEEEvT_T0_DpT1_, .Lfunc_end361-_ZN2at6native12_GLOBAL__N_125multi_tensor_apply_kernelINS1_18TensorListMetadataILi2EEENS1_11CopyFunctorIN3c1013Float8_e4m3fnENS6_15Float8_e4m3fnuzELi2ELi1ELi1EEEJNS0_4CopyIS7_S8_EEEEEvT_T0_DpT1_
                                        ; -- End function
	.section	.AMDGPU.csdata,"",@progbits
; Kernel info:
; codeLenInByte = 4868
; NumSgprs: 23
; NumVgprs: 47
; ScratchSize: 0
; MemoryBound: 0
; FloatMode: 240
; IeeeMode: 1
; LDSByteSize: 0 bytes/workgroup (compile time only)
; SGPRBlocks: 2
; VGPRBlocks: 5
; NumSGPRsForWavesPerEU: 23
; NumVGPRsForWavesPerEU: 47
; Occupancy: 16
; WaveLimiterHint : 0
; COMPUTE_PGM_RSRC2:SCRATCH_EN: 0
; COMPUTE_PGM_RSRC2:USER_SGPR: 15
; COMPUTE_PGM_RSRC2:TRAP_HANDLER: 0
; COMPUTE_PGM_RSRC2:TGID_X_EN: 1
; COMPUTE_PGM_RSRC2:TGID_Y_EN: 0
; COMPUTE_PGM_RSRC2:TGID_Z_EN: 0
; COMPUTE_PGM_RSRC2:TIDIG_COMP_CNT: 0
	.section	.text._ZN2at6native12_GLOBAL__N_125multi_tensor_apply_kernelINS1_18TensorListMetadataILi2EEENS1_11CopyFunctorIN3c1013Float8_e4m3fnENS6_11Float8_e5m2ELi2ELi1ELi1EEEJNS0_4CopyIS7_S8_EEEEEvT_T0_DpT1_,"axG",@progbits,_ZN2at6native12_GLOBAL__N_125multi_tensor_apply_kernelINS1_18TensorListMetadataILi2EEENS1_11CopyFunctorIN3c1013Float8_e4m3fnENS6_11Float8_e5m2ELi2ELi1ELi1EEEJNS0_4CopyIS7_S8_EEEEEvT_T0_DpT1_,comdat
	.globl	_ZN2at6native12_GLOBAL__N_125multi_tensor_apply_kernelINS1_18TensorListMetadataILi2EEENS1_11CopyFunctorIN3c1013Float8_e4m3fnENS6_11Float8_e5m2ELi2ELi1ELi1EEEJNS0_4CopyIS7_S8_EEEEEvT_T0_DpT1_ ; -- Begin function _ZN2at6native12_GLOBAL__N_125multi_tensor_apply_kernelINS1_18TensorListMetadataILi2EEENS1_11CopyFunctorIN3c1013Float8_e4m3fnENS6_11Float8_e5m2ELi2ELi1ELi1EEEJNS0_4CopyIS7_S8_EEEEEvT_T0_DpT1_
	.p2align	8
	.type	_ZN2at6native12_GLOBAL__N_125multi_tensor_apply_kernelINS1_18TensorListMetadataILi2EEENS1_11CopyFunctorIN3c1013Float8_e4m3fnENS6_11Float8_e5m2ELi2ELi1ELi1EEEJNS0_4CopyIS7_S8_EEEEEvT_T0_DpT1_,@function
_ZN2at6native12_GLOBAL__N_125multi_tensor_apply_kernelINS1_18TensorListMetadataILi2EEENS1_11CopyFunctorIN3c1013Float8_e4m3fnENS6_11Float8_e5m2ELi2ELi1ELi1EEEJNS0_4CopyIS7_S8_EEEEEvT_T0_DpT1_: ; @_ZN2at6native12_GLOBAL__N_125multi_tensor_apply_kernelINS1_18TensorListMetadataILi2EEENS1_11CopyFunctorIN3c1013Float8_e4m3fnENS6_11Float8_e5m2ELi2ELi1ELi1EEEJNS0_4CopyIS7_S8_EEEEEvT_T0_DpT1_
; %bb.0:
	v_mov_b32_e32 v1, s15
	s_add_u32 s2, s0, s15
	s_mul_i32 s4, s15, 3
	s_addc_u32 s3, s1, 0
	s_mul_hi_u32 s5, s15, 3
	global_load_u8 v1, v1, s[0:1] offset:1536
	s_add_u32 s2, s2, s4
	s_addc_u32 s3, s3, s5
	s_load_b32 s2, s[2:3], 0x740
	s_waitcnt vmcnt(0)
	v_readfirstlane_b32 s4, v1
	s_delay_alu instid0(VALU_DEP_1)
	s_lshl_b32 s3, s4, 3
	s_clause 0x2
	s_load_b64 s[6:7], s[0:1], s3 offset:0x0
	s_load_b64 s[8:9], s[0:1], s3 offset:0x200
	;; [unrolled: 1-line block ×3, first 2 shown]
	s_waitcnt lgkmcnt(0)
	s_ashr_i32 s3, s2, 31
	s_delay_alu instid0(SALU_CYCLE_1) | instskip(NEXT) | instid1(SALU_CYCLE_1)
	s_lshl_b64 s[10:11], s[2:3], 16
	s_add_u32 s3, s6, s10
	s_addc_u32 s14, s7, s11
	s_add_u32 s12, s8, s10
	s_addc_u32 s13, s9, s11
	s_delay_alu instid0(SALU_CYCLE_1) | instskip(NEXT) | instid1(SALU_CYCLE_1)
	s_or_b64 s[16:17], s[4:5], s[12:13]
	s_or_b32 s2, s3, s16
	s_delay_alu instid0(SALU_CYCLE_1)
	s_and_b32 s2, s2, 3
	s_sub_u32 s4, s4, s10
	s_subb_u32 s5, s5, s11
	s_cmp_eq_u32 s2, 0
	s_mov_b32 s2, -1
	s_cbranch_scc0 .LBB362_37
; %bb.1:
	v_dual_mov_b32 v2, 0 :: v_dual_lshlrev_b32 v1, 2, v0
	s_mov_b32 s15, exec_lo
	s_delay_alu instid0(VALU_DEP_1)
	v_cmpx_gt_i64_e64 s[4:5], v[1:2]
	s_cbranch_execz .LBB362_36
; %bb.2:
	s_load_b32 s2, s[0:1], 0xc5c
	v_mov_b32_e32 v3, 0x7f
	s_mov_b32 s16, 0
	s_mov_b32 s18, 0xfe00000
	s_waitcnt lgkmcnt(0)
	s_and_b32 s2, s2, 0xffff
	s_delay_alu instid0(SALU_CYCLE_1)
	s_lshl_b32 s17, s2, 2
	s_branch .LBB362_4
.LBB362_3:                              ;   in Loop: Header=BB362_4 Depth=1
	s_or_b32 exec_lo, exec_lo, s2
	v_lshrrev_b32_e32 v9, 24, v9
	v_lshrrev_b32_e32 v12, 24, v8
	v_add_co_u32 v8, vcc_lo, s12, v1
	v_lshlrev_b32_e32 v11, 24, v11
	s_delay_alu instid0(VALU_DEP_4) | instskip(SKIP_3) | instid1(VALU_DEP_4)
	v_and_b32_e32 v13, 0x80, v9
	v_add_co_ci_u32_e32 v9, vcc_lo, s13, v2, vcc_lo
	v_and_b32_e32 v12, 0x80, v12
	v_add_co_u32 v1, vcc_lo, s17, v1
	v_and_or_b32 v10, 0xff, v10, v13
	v_add_co_ci_u32_e32 v2, vcc_lo, 0, v2, vcc_lo
	v_and_b32_e32 v6, 0x80000000, v6
	v_lshrrev_b32_e32 v4, 24, v4
	s_delay_alu instid0(VALU_DEP_4)
	v_lshlrev_b32_e32 v10, 16, v10
	v_and_or_b32 v7, 0xff, v7, v12
	v_and_b32_e32 v5, 0xff, v5
	v_cmp_le_i64_e32 vcc_lo, s[4:5], v[1:2]
	v_cmp_lt_u64_e64 s2, 0xffff, v[1:2]
	v_or3_b32 v6, v6, v11, v10
	v_lshlrev_b32_e32 v7, 8, v7
	v_and_or_b32 v4, 0x80, v4, v5
	s_delay_alu instid0(VALU_DEP_4) | instskip(NEXT) | instid1(VALU_DEP_1)
	s_or_b32 s2, vcc_lo, s2
	v_or3_b32 v4, v6, v7, v4
	s_and_b32 s2, exec_lo, s2
	s_delay_alu instid0(SALU_CYCLE_1)
	s_or_b32 s16, s2, s16
	global_store_b32 v[8:9], v4, off
	s_and_not1_b32 exec_lo, exec_lo, s16
	s_cbranch_execz .LBB362_36
.LBB362_4:                              ; =>This Inner Loop Header: Depth=1
	v_add_co_u32 v4, vcc_lo, s3, v1
	v_add_co_ci_u32_e32 v5, vcc_lo, s14, v2, vcc_lo
	s_mov_b32 s2, exec_lo
	global_load_b32 v6, v[4:5], off
	s_waitcnt vmcnt(0)
	v_lshlrev_b32_e32 v4, 25, v6
	v_lshlrev_b16 v5, 8, v6
	s_delay_alu instid0(VALU_DEP_2) | instskip(NEXT) | instid1(VALU_DEP_2)
	v_lshrrev_b32_e32 v7, 4, v4
	v_and_or_b32 v8, 0x7f00, v5, 0.5
	s_delay_alu instid0(VALU_DEP_2) | instskip(NEXT) | instid1(VALU_DEP_1)
	v_or_b32_e32 v7, 0x70000000, v7
	v_dual_add_f32 v8, -0.5, v8 :: v_dual_mul_f32 v7, 0x7800000, v7
	v_cmp_gt_u32_e32 vcc_lo, 0x8000000, v4
	v_bfe_i32 v4, v5, 0, 16
                                        ; implicit-def: $vgpr5
	s_delay_alu instid0(VALU_DEP_3) | instskip(NEXT) | instid1(VALU_DEP_1)
	v_cndmask_b32_e32 v7, v7, v8, vcc_lo
	v_and_or_b32 v4, 0x80000000, v4, v7
	s_delay_alu instid0(VALU_DEP_1) | instskip(NEXT) | instid1(VALU_DEP_1)
	v_and_b32_e32 v8, 0x7fffffff, v4
	v_cmpx_gt_u32_e32 0x43f00000, v8
	s_xor_b32 s2, exec_lo, s2
	s_cbranch_execz .LBB362_10
; %bb.5:                                ;   in Loop: Header=BB362_4 Depth=1
	s_mov_b32 s19, exec_lo
                                        ; implicit-def: $vgpr5
	v_cmpx_lt_u32_e32 0x3c7fffff, v8
	s_xor_b32 s19, exec_lo, s19
; %bb.6:                                ;   in Loop: Header=BB362_4 Depth=1
	v_bfe_u32 v5, v7, 20, 1
	s_delay_alu instid0(VALU_DEP_1) | instskip(NEXT) | instid1(VALU_DEP_1)
	v_add3_u32 v5, v4, v5, 0x407ffff
	v_and_b32_e32 v7, 0xff00000, v5
	v_lshrrev_b32_e32 v5, 20, v5
	s_delay_alu instid0(VALU_DEP_2) | instskip(NEXT) | instid1(VALU_DEP_2)
	v_cmp_ne_u32_e32 vcc_lo, 0x7f00000, v7
	v_cndmask_b32_e32 v5, 0x7e, v5, vcc_lo
; %bb.7:                                ;   in Loop: Header=BB362_4 Depth=1
	s_and_not1_saveexec_b32 s19, s19
; %bb.8:                                ;   in Loop: Header=BB362_4 Depth=1
	v_add_f32_e64 v5, 0x46800000, |v4|
; %bb.9:                                ;   in Loop: Header=BB362_4 Depth=1
	s_or_b32 exec_lo, exec_lo, s19
                                        ; implicit-def: $vgpr8
.LBB362_10:                             ;   in Loop: Header=BB362_4 Depth=1
	s_and_not1_saveexec_b32 s2, s2
; %bb.11:                               ;   in Loop: Header=BB362_4 Depth=1
	v_cmp_lt_u32_e32 vcc_lo, 0x7f800000, v8
	v_cndmask_b32_e32 v5, 0x7e, v3, vcc_lo
; %bb.12:                               ;   in Loop: Header=BB362_4 Depth=1
	s_or_b32 exec_lo, exec_lo, s2
	v_and_or_b32 v8, 0x7f00, v6, 0.5
	v_lshlrev_b32_e32 v7, 13, v6
	v_lshlrev_b32_e32 v9, 17, v6
	s_mov_b32 s2, exec_lo
	s_delay_alu instid0(VALU_DEP_3) | instskip(NEXT) | instid1(VALU_DEP_3)
	v_add_f32_e32 v8, -0.5, v8
	v_and_or_b32 v7, v7, s18, 0x70000000
	s_delay_alu instid0(VALU_DEP_3) | instskip(NEXT) | instid1(VALU_DEP_2)
	v_cmp_gt_u32_e32 vcc_lo, 0x8000000, v9
	v_mul_f32_e32 v7, 0x7800000, v7
	s_delay_alu instid0(VALU_DEP_1) | instskip(SKIP_1) | instid1(VALU_DEP_1)
	v_cndmask_b32_e32 v9, v7, v8, vcc_lo
	v_lshlrev_b32_e32 v7, 16, v6
	v_and_or_b32 v8, 0x80000000, v7, v9
                                        ; implicit-def: $vgpr7
	s_delay_alu instid0(VALU_DEP_1) | instskip(NEXT) | instid1(VALU_DEP_1)
	v_and_b32_e32 v10, 0x7fffffff, v8
	v_cmpx_gt_u32_e32 0x43f00000, v10
	s_xor_b32 s2, exec_lo, s2
	s_cbranch_execz .LBB362_18
; %bb.13:                               ;   in Loop: Header=BB362_4 Depth=1
	s_mov_b32 s19, exec_lo
                                        ; implicit-def: $vgpr7
	v_cmpx_lt_u32_e32 0x3c7fffff, v10
	s_xor_b32 s19, exec_lo, s19
; %bb.14:                               ;   in Loop: Header=BB362_4 Depth=1
	v_bfe_u32 v7, v9, 20, 1
	s_delay_alu instid0(VALU_DEP_1) | instskip(NEXT) | instid1(VALU_DEP_1)
	v_add3_u32 v7, v8, v7, 0x407ffff
	v_and_b32_e32 v9, 0xff00000, v7
	v_lshrrev_b32_e32 v7, 20, v7
	s_delay_alu instid0(VALU_DEP_2) | instskip(NEXT) | instid1(VALU_DEP_2)
	v_cmp_ne_u32_e32 vcc_lo, 0x7f00000, v9
	v_cndmask_b32_e32 v7, 0x7e, v7, vcc_lo
; %bb.15:                               ;   in Loop: Header=BB362_4 Depth=1
	s_and_not1_saveexec_b32 s19, s19
; %bb.16:                               ;   in Loop: Header=BB362_4 Depth=1
	v_add_f32_e64 v7, 0x46800000, |v8|
; %bb.17:                               ;   in Loop: Header=BB362_4 Depth=1
	s_or_b32 exec_lo, exec_lo, s19
                                        ; implicit-def: $vgpr10
.LBB362_18:                             ;   in Loop: Header=BB362_4 Depth=1
	s_and_not1_saveexec_b32 s2, s2
; %bb.19:                               ;   in Loop: Header=BB362_4 Depth=1
	v_cmp_lt_u32_e32 vcc_lo, 0x7f800000, v10
	v_cndmask_b32_e32 v7, 0x7e, v3, vcc_lo
; %bb.20:                               ;   in Loop: Header=BB362_4 Depth=1
	s_or_b32 exec_lo, exec_lo, s2
	v_lshrrev_b32_e32 v9, 8, v6
	s_mov_b32 s2, exec_lo
	s_delay_alu instid0(VALU_DEP_1) | instskip(NEXT) | instid1(VALU_DEP_1)
	v_and_or_b32 v11, 0x7f00, v9, 0.5
	v_dual_add_f32 v11, -0.5, v11 :: v_dual_lshlrev_b32 v10, 5, v6
	s_delay_alu instid0(VALU_DEP_1) | instskip(NEXT) | instid1(VALU_DEP_1)
	v_and_or_b32 v10, v10, s18, 0x70000000
	v_dual_mul_f32 v10, 0x7800000, v10 :: v_dual_lshlrev_b32 v9, 17, v9
	s_delay_alu instid0(VALU_DEP_1) | instskip(SKIP_1) | instid1(VALU_DEP_3)
	v_cmp_gt_u32_e32 vcc_lo, 0x8000000, v9
	v_lshlrev_b32_e32 v9, 8, v6
	v_cndmask_b32_e32 v11, v10, v11, vcc_lo
                                        ; implicit-def: $vgpr10
	s_delay_alu instid0(VALU_DEP_1) | instskip(NEXT) | instid1(VALU_DEP_1)
	v_and_or_b32 v9, 0x80000000, v9, v11
	v_and_b32_e32 v12, 0x7fffffff, v9
	s_delay_alu instid0(VALU_DEP_1)
	v_cmpx_gt_u32_e32 0x43f00000, v12
	s_xor_b32 s2, exec_lo, s2
	s_cbranch_execz .LBB362_26
; %bb.21:                               ;   in Loop: Header=BB362_4 Depth=1
	s_mov_b32 s19, exec_lo
                                        ; implicit-def: $vgpr10
	v_cmpx_lt_u32_e32 0x3c7fffff, v12
	s_xor_b32 s19, exec_lo, s19
; %bb.22:                               ;   in Loop: Header=BB362_4 Depth=1
	v_bfe_u32 v10, v11, 20, 1
	s_delay_alu instid0(VALU_DEP_1) | instskip(NEXT) | instid1(VALU_DEP_1)
	v_add3_u32 v10, v9, v10, 0x407ffff
	v_and_b32_e32 v11, 0xff00000, v10
	v_lshrrev_b32_e32 v10, 20, v10
	s_delay_alu instid0(VALU_DEP_2) | instskip(NEXT) | instid1(VALU_DEP_2)
	v_cmp_ne_u32_e32 vcc_lo, 0x7f00000, v11
	v_cndmask_b32_e32 v10, 0x7e, v10, vcc_lo
; %bb.23:                               ;   in Loop: Header=BB362_4 Depth=1
	s_and_not1_saveexec_b32 s19, s19
; %bb.24:                               ;   in Loop: Header=BB362_4 Depth=1
	v_add_f32_e64 v10, 0x46800000, |v9|
; %bb.25:                               ;   in Loop: Header=BB362_4 Depth=1
	s_or_b32 exec_lo, exec_lo, s19
                                        ; implicit-def: $vgpr12
.LBB362_26:                             ;   in Loop: Header=BB362_4 Depth=1
	s_and_not1_saveexec_b32 s2, s2
; %bb.27:                               ;   in Loop: Header=BB362_4 Depth=1
	v_cmp_lt_u32_e32 vcc_lo, 0x7f800000, v12
	v_cndmask_b32_e32 v10, 0x7e, v3, vcc_lo
; %bb.28:                               ;   in Loop: Header=BB362_4 Depth=1
	s_or_b32 exec_lo, exec_lo, s2
	v_lshrrev_b32_e32 v11, 16, v6
	v_lshrrev_b32_e32 v12, 3, v6
	s_mov_b32 s2, exec_lo
	s_delay_alu instid0(VALU_DEP_2) | instskip(NEXT) | instid1(VALU_DEP_2)
	v_and_or_b32 v13, 0x7f00, v11, 0.5
	v_and_or_b32 v12, v12, s18, 0x70000000
	v_lshlrev_b32_e32 v11, 17, v11
	s_delay_alu instid0(VALU_DEP_2) | instskip(NEXT) | instid1(VALU_DEP_2)
	v_dual_add_f32 v13, -0.5, v13 :: v_dual_mul_f32 v12, 0x7800000, v12
	v_cmp_gt_u32_e32 vcc_lo, 0x8000000, v11
                                        ; implicit-def: $vgpr11
	s_delay_alu instid0(VALU_DEP_2) | instskip(NEXT) | instid1(VALU_DEP_1)
	v_cndmask_b32_e32 v13, v12, v13, vcc_lo
	v_and_or_b32 v6, 0x80000000, v6, v13
	s_delay_alu instid0(VALU_DEP_1) | instskip(NEXT) | instid1(VALU_DEP_1)
	v_and_b32_e32 v12, 0x7fffffff, v6
	v_cmpx_gt_u32_e32 0x43f00000, v12
	s_xor_b32 s2, exec_lo, s2
	s_cbranch_execz .LBB362_34
; %bb.29:                               ;   in Loop: Header=BB362_4 Depth=1
	s_mov_b32 s19, exec_lo
                                        ; implicit-def: $vgpr11
	v_cmpx_lt_u32_e32 0x3c7fffff, v12
	s_xor_b32 s19, exec_lo, s19
; %bb.30:                               ;   in Loop: Header=BB362_4 Depth=1
	v_bfe_u32 v11, v13, 20, 1
	s_delay_alu instid0(VALU_DEP_1) | instskip(NEXT) | instid1(VALU_DEP_1)
	v_add3_u32 v11, v6, v11, 0x407ffff
	v_and_b32_e32 v12, 0xff00000, v11
	v_lshrrev_b32_e32 v11, 20, v11
	s_delay_alu instid0(VALU_DEP_2) | instskip(NEXT) | instid1(VALU_DEP_2)
	v_cmp_ne_u32_e32 vcc_lo, 0x7f00000, v12
	v_cndmask_b32_e32 v11, 0x7e, v11, vcc_lo
; %bb.31:                               ;   in Loop: Header=BB362_4 Depth=1
	s_and_not1_saveexec_b32 s19, s19
; %bb.32:                               ;   in Loop: Header=BB362_4 Depth=1
	v_add_f32_e64 v11, 0x46800000, |v6|
; %bb.33:                               ;   in Loop: Header=BB362_4 Depth=1
	s_or_b32 exec_lo, exec_lo, s19
                                        ; implicit-def: $vgpr12
.LBB362_34:                             ;   in Loop: Header=BB362_4 Depth=1
	s_and_not1_saveexec_b32 s2, s2
	s_cbranch_execz .LBB362_3
; %bb.35:                               ;   in Loop: Header=BB362_4 Depth=1
	v_cmp_lt_u32_e32 vcc_lo, 0x7f800000, v12
	v_cndmask_b32_e32 v11, 0x7e, v3, vcc_lo
	s_branch .LBB362_3
.LBB362_36:
	s_or_b32 exec_lo, exec_lo, s15
	s_mov_b32 s2, 0
.LBB362_37:
	s_delay_alu instid0(SALU_CYCLE_1)
	s_and_not1_b32 vcc_lo, exec_lo, s2
	s_cbranch_vccnz .LBB362_89
; %bb.38:
	v_cmp_lt_i64_e64 s2, s[4:5], 1
	s_delay_alu instid0(VALU_DEP_1)
	s_and_b32 vcc_lo, exec_lo, s2
	s_cbranch_vccnz .LBB362_89
; %bb.39:
	s_load_b32 s0, s[0:1], 0xc5c
	v_add_co_u32 v1, s1, s10, v0
	s_delay_alu instid0(VALU_DEP_1) | instskip(SKIP_1) | instid1(VALU_DEP_3)
	v_add_co_ci_u32_e64 v2, null, s11, 0, s1
	v_cmp_gt_u64_e64 s1, 0x10000, s[4:5]
	v_add_co_u32 v9, vcc_lo, s6, v1
	s_delay_alu instid0(VALU_DEP_3)
	v_add_co_ci_u32_e32 v10, vcc_lo, s7, v2, vcc_lo
	v_add_co_u32 v11, vcc_lo, s8, v1
	v_add_co_ci_u32_e32 v12, vcc_lo, s9, v2, vcc_lo
	v_mov_b32_e32 v31, 0x7f
                                        ; implicit-def: $vgpr32
                                        ; implicit-def: $vgpr33
                                        ; implicit-def: $vgpr34
                                        ; implicit-def: $vgpr35
	s_waitcnt lgkmcnt(0)
	s_and_b32 s0, s0, 0xffff
	s_and_b32 s1, s1, exec_lo
	s_mul_i32 s13, s0, 3
	s_cselect_b32 s3, s5, 0
	s_cselect_b32 s2, s4, 0x10000
	s_lshl_b32 s12, s0, 1
	s_lshl_b32 s1, s0, 2
	s_add_u32 s14, s10, s13
	s_addc_u32 s15, s11, 0
	v_add_co_u32 v3, s14, s14, v0
	s_delay_alu instid0(VALU_DEP_1) | instskip(SKIP_1) | instid1(VALU_DEP_2)
	v_add_co_ci_u32_e64 v4, null, s15, 0, s14
	s_add_u32 s10, s10, s12
	v_add_co_u32 v13, vcc_lo, s6, v3
	s_delay_alu instid0(VALU_DEP_2)
	v_add_co_ci_u32_e32 v14, vcc_lo, s7, v4, vcc_lo
	v_add_co_u32 v15, vcc_lo, s8, v3
	s_addc_u32 s11, s11, 0
	v_add_co_u32 v3, s10, s10, v0
	v_add_co_ci_u32_e32 v16, vcc_lo, s9, v4, vcc_lo
	v_add_co_ci_u32_e64 v4, null, s11, 0, s10
	s_delay_alu instid0(VALU_DEP_3) | instskip(SKIP_1) | instid1(VALU_DEP_3)
	v_add_co_u32 v19, vcc_lo, s6, v3
	v_add_co_u32 v17, s10, s13, v0
	v_add_co_ci_u32_e32 v20, vcc_lo, s7, v4, vcc_lo
	v_add_co_u32 v21, vcc_lo, s8, v3
	v_add_co_ci_u32_e32 v22, vcc_lo, s9, v4, vcc_lo
	v_add_co_u32 v1, vcc_lo, v1, s0
	v_add_co_ci_u32_e32 v2, vcc_lo, 0, v2, vcc_lo
	v_add_co_ci_u32_e64 v18, null, 0, 0, s10
	s_delay_alu instid0(VALU_DEP_3) | instskip(NEXT) | instid1(VALU_DEP_3)
	v_add_co_u32 v25, vcc_lo, s6, v1
	v_add_co_ci_u32_e32 v26, vcc_lo, s7, v2, vcc_lo
	v_add_co_u32 v23, s10, s12, v0
	v_add_co_u32 v27, vcc_lo, s8, v1
	v_add_co_u32 v29, s0, v0, s0
	v_add_co_ci_u32_e64 v24, null, 0, 0, s10
	v_add_co_ci_u32_e32 v28, vcc_lo, s9, v2, vcc_lo
	v_add_co_ci_u32_e64 v30, null, 0, 0, s0
	s_mov_b64 s[6:7], 0
	s_branch .LBB362_41
.LBB362_40:                             ;   in Loop: Header=BB362_41 Depth=1
	s_or_b32 exec_lo, exec_lo, s0
	s_add_u32 s6, s6, s1
	s_addc_u32 s7, s7, 0
	s_delay_alu instid0(SALU_CYCLE_1) | instskip(SKIP_1) | instid1(VALU_DEP_1)
	v_cmp_ge_i64_e64 s0, s[6:7], s[4:5]
	v_cmp_lt_u64_e64 s8, 0xffff, s[6:7]
	s_or_b32 s0, s0, s8
	s_delay_alu instid0(SALU_CYCLE_1)
	s_and_b32 vcc_lo, exec_lo, s0
	s_cbranch_vccnz .LBB362_89
.LBB362_41:                             ; =>This Inner Loop Header: Depth=1
	v_add_co_u32 v1, s0, v0, s6
	s_delay_alu instid0(VALU_DEP_1) | instskip(NEXT) | instid1(VALU_DEP_1)
	v_add_co_ci_u32_e64 v2, null, 0, s7, s0
	v_cmp_gt_i64_e32 vcc_lo, s[4:5], v[1:2]
	v_cmp_gt_u64_e64 s0, 0x10000, v[1:2]
	s_delay_alu instid0(VALU_DEP_1) | instskip(NEXT) | instid1(SALU_CYCLE_1)
	s_and_b32 s8, vcc_lo, s0
	s_and_saveexec_b32 s0, s8
	s_cbranch_execz .LBB362_43
; %bb.42:                               ;   in Loop: Header=BB362_41 Depth=1
	v_add_co_u32 v3, vcc_lo, v9, s6
	v_add_co_ci_u32_e32 v4, vcc_lo, s7, v10, vcc_lo
	global_load_u8 v35, v[3:4], off
.LBB362_43:                             ;   in Loop: Header=BB362_41 Depth=1
	s_or_b32 exec_lo, exec_lo, s0
	v_add_co_u32 v3, vcc_lo, v29, s6
	v_add_co_ci_u32_e32 v4, vcc_lo, s7, v30, vcc_lo
	s_delay_alu instid0(VALU_DEP_1) | instskip(SKIP_1) | instid1(VALU_DEP_1)
	v_cmp_gt_i64_e32 vcc_lo, s[4:5], v[3:4]
	v_cmp_gt_u64_e64 s0, 0x10000, v[3:4]
	s_and_b32 s8, vcc_lo, s0
	s_delay_alu instid0(SALU_CYCLE_1)
	s_and_saveexec_b32 s0, s8
	s_cbranch_execz .LBB362_45
; %bb.44:                               ;   in Loop: Header=BB362_41 Depth=1
	v_add_co_u32 v5, vcc_lo, v25, s6
	v_add_co_ci_u32_e32 v6, vcc_lo, s7, v26, vcc_lo
	global_load_u8 v34, v[5:6], off
.LBB362_45:                             ;   in Loop: Header=BB362_41 Depth=1
	s_or_b32 exec_lo, exec_lo, s0
	v_add_co_u32 v5, vcc_lo, v23, s6
	v_add_co_ci_u32_e32 v6, vcc_lo, s7, v24, vcc_lo
	s_delay_alu instid0(VALU_DEP_1) | instskip(SKIP_1) | instid1(VALU_DEP_1)
	v_cmp_gt_i64_e32 vcc_lo, s[4:5], v[5:6]
	v_cmp_gt_u64_e64 s0, 0x10000, v[5:6]
	s_and_b32 s8, vcc_lo, s0
	s_delay_alu instid0(SALU_CYCLE_1)
	;; [unrolled: 15-line block ×3, first 2 shown]
	s_and_saveexec_b32 s0, s8
	s_cbranch_execz .LBB362_49
; %bb.48:                               ;   in Loop: Header=BB362_41 Depth=1
	v_add_co_u32 v36, vcc_lo, v13, s6
	v_add_co_ci_u32_e32 v37, vcc_lo, s7, v14, vcc_lo
	global_load_u8 v32, v[36:37], off
.LBB362_49:                             ;   in Loop: Header=BB362_41 Depth=1
	s_or_b32 exec_lo, exec_lo, s0
	s_waitcnt vmcnt(0)
	v_lshlrev_b32_e32 v36, 25, v35
	v_lshlrev_b16 v37, 8, v35
	s_mov_b32 s0, exec_lo
	s_delay_alu instid0(VALU_DEP_2) | instskip(NEXT) | instid1(VALU_DEP_2)
	v_lshrrev_b32_e32 v38, 4, v36
	v_and_or_b32 v39, 0x7f00, v37, 0.5
	v_cmp_gt_u32_e32 vcc_lo, 0x8000000, v36
	v_bfe_i32 v36, v37, 0, 16
                                        ; implicit-def: $vgpr37
	s_delay_alu instid0(VALU_DEP_4) | instskip(NEXT) | instid1(VALU_DEP_1)
	v_or_b32_e32 v38, 0x70000000, v38
	v_dual_add_f32 v39, -0.5, v39 :: v_dual_mul_f32 v38, 0x7800000, v38
	s_delay_alu instid0(VALU_DEP_1) | instskip(NEXT) | instid1(VALU_DEP_1)
	v_cndmask_b32_e32 v38, v38, v39, vcc_lo
	v_and_or_b32 v36, 0x80000000, v36, v38
	s_delay_alu instid0(VALU_DEP_1) | instskip(NEXT) | instid1(VALU_DEP_1)
	v_and_b32_e32 v39, 0x7fffffff, v36
	v_cmpx_gt_u32_e32 0x43f00000, v39
	s_xor_b32 s0, exec_lo, s0
	s_cbranch_execz .LBB362_55
; %bb.50:                               ;   in Loop: Header=BB362_41 Depth=1
	s_mov_b32 s8, exec_lo
                                        ; implicit-def: $vgpr37
	v_cmpx_lt_u32_e32 0x3c7fffff, v39
	s_xor_b32 s8, exec_lo, s8
; %bb.51:                               ;   in Loop: Header=BB362_41 Depth=1
	v_bfe_u32 v37, v38, 20, 1
	s_delay_alu instid0(VALU_DEP_1) | instskip(NEXT) | instid1(VALU_DEP_1)
	v_add3_u32 v37, v36, v37, 0x407ffff
	v_and_b32_e32 v38, 0xff00000, v37
	v_lshrrev_b32_e32 v37, 20, v37
	s_delay_alu instid0(VALU_DEP_2) | instskip(NEXT) | instid1(VALU_DEP_2)
	v_cmp_ne_u32_e32 vcc_lo, 0x7f00000, v38
	v_cndmask_b32_e32 v37, 0x7e, v37, vcc_lo
; %bb.52:                               ;   in Loop: Header=BB362_41 Depth=1
	s_and_not1_saveexec_b32 s8, s8
; %bb.53:                               ;   in Loop: Header=BB362_41 Depth=1
	v_add_f32_e64 v37, 0x46800000, |v36|
; %bb.54:                               ;   in Loop: Header=BB362_41 Depth=1
	s_or_b32 exec_lo, exec_lo, s8
                                        ; implicit-def: $vgpr39
.LBB362_55:                             ;   in Loop: Header=BB362_41 Depth=1
	s_and_not1_saveexec_b32 s0, s0
; %bb.56:                               ;   in Loop: Header=BB362_41 Depth=1
	v_cmp_lt_u32_e32 vcc_lo, 0x7f800000, v39
	v_cndmask_b32_e32 v37, 0x7e, v31, vcc_lo
; %bb.57:                               ;   in Loop: Header=BB362_41 Depth=1
	s_or_b32 exec_lo, exec_lo, s0
	v_lshlrev_b16 v39, 8, v34
	s_mov_b32 s0, exec_lo
	s_delay_alu instid0(VALU_DEP_1) | instskip(NEXT) | instid1(VALU_DEP_1)
	v_and_or_b32 v41, 0x7f00, v39, 0.5
	v_dual_add_f32 v41, -0.5, v41 :: v_dual_lshlrev_b32 v38, 25, v34
	s_delay_alu instid0(VALU_DEP_1) | instskip(SKIP_2) | instid1(VALU_DEP_3)
	v_lshrrev_b32_e32 v40, 4, v38
	v_cmp_gt_u32_e32 vcc_lo, 0x8000000, v38
	v_bfe_i32 v38, v39, 0, 16
                                        ; implicit-def: $vgpr39
	v_or_b32_e32 v40, 0x70000000, v40
	s_delay_alu instid0(VALU_DEP_1) | instskip(NEXT) | instid1(VALU_DEP_1)
	v_mul_f32_e32 v40, 0x7800000, v40
	v_cndmask_b32_e32 v40, v40, v41, vcc_lo
	s_delay_alu instid0(VALU_DEP_1) | instskip(NEXT) | instid1(VALU_DEP_1)
	v_and_or_b32 v38, 0x80000000, v38, v40
	v_and_b32_e32 v41, 0x7fffffff, v38
	s_delay_alu instid0(VALU_DEP_1)
	v_cmpx_gt_u32_e32 0x43f00000, v41
	s_xor_b32 s0, exec_lo, s0
	s_cbranch_execz .LBB362_63
; %bb.58:                               ;   in Loop: Header=BB362_41 Depth=1
	s_mov_b32 s8, exec_lo
                                        ; implicit-def: $vgpr39
	v_cmpx_lt_u32_e32 0x3c7fffff, v41
	s_xor_b32 s8, exec_lo, s8
; %bb.59:                               ;   in Loop: Header=BB362_41 Depth=1
	v_bfe_u32 v39, v40, 20, 1
	s_delay_alu instid0(VALU_DEP_1) | instskip(NEXT) | instid1(VALU_DEP_1)
	v_add3_u32 v39, v38, v39, 0x407ffff
	v_and_b32_e32 v40, 0xff00000, v39
	v_lshrrev_b32_e32 v39, 20, v39
	s_delay_alu instid0(VALU_DEP_2) | instskip(NEXT) | instid1(VALU_DEP_2)
	v_cmp_ne_u32_e32 vcc_lo, 0x7f00000, v40
	v_cndmask_b32_e32 v39, 0x7e, v39, vcc_lo
; %bb.60:                               ;   in Loop: Header=BB362_41 Depth=1
	s_and_not1_saveexec_b32 s8, s8
; %bb.61:                               ;   in Loop: Header=BB362_41 Depth=1
	v_add_f32_e64 v39, 0x46800000, |v38|
; %bb.62:                               ;   in Loop: Header=BB362_41 Depth=1
	s_or_b32 exec_lo, exec_lo, s8
                                        ; implicit-def: $vgpr41
.LBB362_63:                             ;   in Loop: Header=BB362_41 Depth=1
	s_and_not1_saveexec_b32 s0, s0
; %bb.64:                               ;   in Loop: Header=BB362_41 Depth=1
	v_cmp_lt_u32_e32 vcc_lo, 0x7f800000, v41
	v_cndmask_b32_e32 v39, 0x7e, v31, vcc_lo
; %bb.65:                               ;   in Loop: Header=BB362_41 Depth=1
	s_or_b32 exec_lo, exec_lo, s0
	v_lshlrev_b16 v41, 8, v33
	s_mov_b32 s0, exec_lo
	s_delay_alu instid0(VALU_DEP_1) | instskip(NEXT) | instid1(VALU_DEP_1)
	v_and_or_b32 v43, 0x7f00, v41, 0.5
	v_dual_add_f32 v43, -0.5, v43 :: v_dual_lshlrev_b32 v40, 25, v33
	s_delay_alu instid0(VALU_DEP_1) | instskip(SKIP_2) | instid1(VALU_DEP_3)
	v_lshrrev_b32_e32 v42, 4, v40
	v_cmp_gt_u32_e32 vcc_lo, 0x8000000, v40
	v_bfe_i32 v40, v41, 0, 16
                                        ; implicit-def: $vgpr41
	v_or_b32_e32 v42, 0x70000000, v42
	s_delay_alu instid0(VALU_DEP_1) | instskip(NEXT) | instid1(VALU_DEP_1)
	v_mul_f32_e32 v42, 0x7800000, v42
	v_cndmask_b32_e32 v42, v42, v43, vcc_lo
	s_delay_alu instid0(VALU_DEP_1) | instskip(NEXT) | instid1(VALU_DEP_1)
	v_and_or_b32 v40, 0x80000000, v40, v42
	v_and_b32_e32 v43, 0x7fffffff, v40
	s_delay_alu instid0(VALU_DEP_1)
	v_cmpx_gt_u32_e32 0x43f00000, v43
	s_xor_b32 s0, exec_lo, s0
	s_cbranch_execz .LBB362_71
; %bb.66:                               ;   in Loop: Header=BB362_41 Depth=1
	s_mov_b32 s8, exec_lo
                                        ; implicit-def: $vgpr41
	v_cmpx_lt_u32_e32 0x3c7fffff, v43
	s_xor_b32 s8, exec_lo, s8
; %bb.67:                               ;   in Loop: Header=BB362_41 Depth=1
	v_bfe_u32 v41, v42, 20, 1
	s_delay_alu instid0(VALU_DEP_1) | instskip(NEXT) | instid1(VALU_DEP_1)
	v_add3_u32 v41, v40, v41, 0x407ffff
	v_and_b32_e32 v42, 0xff00000, v41
	v_lshrrev_b32_e32 v41, 20, v41
	s_delay_alu instid0(VALU_DEP_2) | instskip(NEXT) | instid1(VALU_DEP_2)
	v_cmp_ne_u32_e32 vcc_lo, 0x7f00000, v42
	v_cndmask_b32_e32 v41, 0x7e, v41, vcc_lo
; %bb.68:                               ;   in Loop: Header=BB362_41 Depth=1
	s_and_not1_saveexec_b32 s8, s8
; %bb.69:                               ;   in Loop: Header=BB362_41 Depth=1
	v_add_f32_e64 v41, 0x46800000, |v40|
; %bb.70:                               ;   in Loop: Header=BB362_41 Depth=1
	s_or_b32 exec_lo, exec_lo, s8
                                        ; implicit-def: $vgpr43
.LBB362_71:                             ;   in Loop: Header=BB362_41 Depth=1
	s_and_not1_saveexec_b32 s0, s0
; %bb.72:                               ;   in Loop: Header=BB362_41 Depth=1
	v_cmp_lt_u32_e32 vcc_lo, 0x7f800000, v43
	v_cndmask_b32_e32 v41, 0x7e, v31, vcc_lo
; %bb.73:                               ;   in Loop: Header=BB362_41 Depth=1
	s_or_b32 exec_lo, exec_lo, s0
	v_lshlrev_b16 v43, 8, v32
	s_mov_b32 s0, exec_lo
	s_delay_alu instid0(VALU_DEP_1) | instskip(NEXT) | instid1(VALU_DEP_1)
	v_and_or_b32 v45, 0x7f00, v43, 0.5
	v_dual_add_f32 v45, -0.5, v45 :: v_dual_lshlrev_b32 v42, 25, v32
	s_delay_alu instid0(VALU_DEP_1) | instskip(SKIP_2) | instid1(VALU_DEP_3)
	v_lshrrev_b32_e32 v44, 4, v42
	v_cmp_gt_u32_e32 vcc_lo, 0x8000000, v42
	v_bfe_i32 v42, v43, 0, 16
                                        ; implicit-def: $vgpr43
	v_or_b32_e32 v44, 0x70000000, v44
	s_delay_alu instid0(VALU_DEP_1) | instskip(NEXT) | instid1(VALU_DEP_1)
	v_mul_f32_e32 v44, 0x7800000, v44
	v_cndmask_b32_e32 v44, v44, v45, vcc_lo
	s_delay_alu instid0(VALU_DEP_1) | instskip(NEXT) | instid1(VALU_DEP_1)
	v_and_or_b32 v42, 0x80000000, v42, v44
	v_and_b32_e32 v45, 0x7fffffff, v42
	s_delay_alu instid0(VALU_DEP_1)
	v_cmpx_gt_u32_e32 0x43f00000, v45
	s_xor_b32 s0, exec_lo, s0
	s_cbranch_execz .LBB362_79
; %bb.74:                               ;   in Loop: Header=BB362_41 Depth=1
	s_mov_b32 s8, exec_lo
                                        ; implicit-def: $vgpr43
	v_cmpx_lt_u32_e32 0x3c7fffff, v45
	s_xor_b32 s8, exec_lo, s8
; %bb.75:                               ;   in Loop: Header=BB362_41 Depth=1
	v_bfe_u32 v43, v44, 20, 1
	s_delay_alu instid0(VALU_DEP_1) | instskip(NEXT) | instid1(VALU_DEP_1)
	v_add3_u32 v43, v42, v43, 0x407ffff
	v_and_b32_e32 v44, 0xff00000, v43
	v_lshrrev_b32_e32 v43, 20, v43
	s_delay_alu instid0(VALU_DEP_2) | instskip(NEXT) | instid1(VALU_DEP_2)
	v_cmp_ne_u32_e32 vcc_lo, 0x7f00000, v44
	v_cndmask_b32_e32 v43, 0x7e, v43, vcc_lo
; %bb.76:                               ;   in Loop: Header=BB362_41 Depth=1
	s_and_not1_saveexec_b32 s8, s8
; %bb.77:                               ;   in Loop: Header=BB362_41 Depth=1
	v_add_f32_e64 v43, 0x46800000, |v42|
; %bb.78:                               ;   in Loop: Header=BB362_41 Depth=1
	s_or_b32 exec_lo, exec_lo, s8
                                        ; implicit-def: $vgpr45
.LBB362_79:                             ;   in Loop: Header=BB362_41 Depth=1
	s_and_not1_saveexec_b32 s0, s0
; %bb.80:                               ;   in Loop: Header=BB362_41 Depth=1
	v_cmp_lt_u32_e32 vcc_lo, 0x7f800000, v45
	v_cndmask_b32_e32 v43, 0x7e, v31, vcc_lo
; %bb.81:                               ;   in Loop: Header=BB362_41 Depth=1
	s_or_b32 exec_lo, exec_lo, s0
	s_delay_alu instid0(SALU_CYCLE_1)
	s_mov_b32 s0, exec_lo
	v_cmpx_gt_u64_e64 s[2:3], v[1:2]
	s_xor_b32 s0, exec_lo, s0
	s_cbranch_execnz .LBB362_85
; %bb.82:                               ;   in Loop: Header=BB362_41 Depth=1
	s_or_b32 exec_lo, exec_lo, s0
	s_delay_alu instid0(SALU_CYCLE_1)
	s_mov_b32 s0, exec_lo
	v_cmpx_gt_u64_e64 s[2:3], v[3:4]
	s_cbranch_execnz .LBB362_86
.LBB362_83:                             ;   in Loop: Header=BB362_41 Depth=1
	s_or_b32 exec_lo, exec_lo, s0
	s_delay_alu instid0(SALU_CYCLE_1)
	s_mov_b32 s0, exec_lo
	v_cmpx_gt_u64_e64 s[2:3], v[5:6]
	s_cbranch_execnz .LBB362_87
.LBB362_84:                             ;   in Loop: Header=BB362_41 Depth=1
	s_or_b32 exec_lo, exec_lo, s0
	s_delay_alu instid0(SALU_CYCLE_1)
	s_mov_b32 s0, exec_lo
	v_cmpx_gt_u64_e64 s[2:3], v[7:8]
	s_cbranch_execz .LBB362_40
	s_branch .LBB362_88
.LBB362_85:                             ;   in Loop: Header=BB362_41 Depth=1
	v_lshrrev_b32_e32 v1, 24, v36
	s_delay_alu instid0(VALU_DEP_1) | instskip(SKIP_4) | instid1(SALU_CYCLE_1)
	v_and_or_b32 v36, 0x80, v1, v37
	v_add_co_u32 v1, vcc_lo, v11, s6
	v_add_co_ci_u32_e32 v2, vcc_lo, s7, v12, vcc_lo
	global_store_b8 v[1:2], v36, off
	s_or_b32 exec_lo, exec_lo, s0
	s_mov_b32 s0, exec_lo
	v_cmpx_gt_u64_e64 s[2:3], v[3:4]
	s_cbranch_execz .LBB362_83
.LBB362_86:                             ;   in Loop: Header=BB362_41 Depth=1
	v_lshrrev_b32_e32 v1, 24, v38
	s_delay_alu instid0(VALU_DEP_1) | instskip(SKIP_4) | instid1(SALU_CYCLE_1)
	v_and_or_b32 v3, 0x80, v1, v39
	v_add_co_u32 v1, vcc_lo, v27, s6
	v_add_co_ci_u32_e32 v2, vcc_lo, s7, v28, vcc_lo
	global_store_b8 v[1:2], v3, off
	s_or_b32 exec_lo, exec_lo, s0
	s_mov_b32 s0, exec_lo
	v_cmpx_gt_u64_e64 s[2:3], v[5:6]
	s_cbranch_execz .LBB362_84
.LBB362_87:                             ;   in Loop: Header=BB362_41 Depth=1
	v_lshrrev_b32_e32 v1, 24, v40
	s_delay_alu instid0(VALU_DEP_1) | instskip(SKIP_4) | instid1(SALU_CYCLE_1)
	v_and_or_b32 v3, 0x80, v1, v41
	v_add_co_u32 v1, vcc_lo, v21, s6
	v_add_co_ci_u32_e32 v2, vcc_lo, s7, v22, vcc_lo
	global_store_b8 v[1:2], v3, off
	s_or_b32 exec_lo, exec_lo, s0
	s_mov_b32 s0, exec_lo
	v_cmpx_gt_u64_e64 s[2:3], v[7:8]
	s_cbranch_execz .LBB362_40
.LBB362_88:                             ;   in Loop: Header=BB362_41 Depth=1
	v_lshrrev_b32_e32 v1, 24, v42
	s_delay_alu instid0(VALU_DEP_1)
	v_and_or_b32 v3, 0x80, v1, v43
	v_add_co_u32 v1, vcc_lo, v15, s6
	v_add_co_ci_u32_e32 v2, vcc_lo, s7, v16, vcc_lo
	global_store_b8 v[1:2], v3, off
	s_branch .LBB362_40
.LBB362_89:
	s_nop 0
	s_sendmsg sendmsg(MSG_DEALLOC_VGPRS)
	s_endpgm
	.section	.rodata,"a",@progbits
	.p2align	6, 0x0
	.amdhsa_kernel _ZN2at6native12_GLOBAL__N_125multi_tensor_apply_kernelINS1_18TensorListMetadataILi2EEENS1_11CopyFunctorIN3c1013Float8_e4m3fnENS6_11Float8_e5m2ELi2ELi1ELi1EEEJNS0_4CopyIS7_S8_EEEEEvT_T0_DpT1_
		.amdhsa_group_segment_fixed_size 0
		.amdhsa_private_segment_fixed_size 0
		.amdhsa_kernarg_size 3408
		.amdhsa_user_sgpr_count 15
		.amdhsa_user_sgpr_dispatch_ptr 0
		.amdhsa_user_sgpr_queue_ptr 0
		.amdhsa_user_sgpr_kernarg_segment_ptr 1
		.amdhsa_user_sgpr_dispatch_id 0
		.amdhsa_user_sgpr_private_segment_size 0
		.amdhsa_wavefront_size32 1
		.amdhsa_uses_dynamic_stack 0
		.amdhsa_enable_private_segment 0
		.amdhsa_system_sgpr_workgroup_id_x 1
		.amdhsa_system_sgpr_workgroup_id_y 0
		.amdhsa_system_sgpr_workgroup_id_z 0
		.amdhsa_system_sgpr_workgroup_info 0
		.amdhsa_system_vgpr_workitem_id 0
		.amdhsa_next_free_vgpr 46
		.amdhsa_next_free_sgpr 20
		.amdhsa_reserve_vcc 1
		.amdhsa_float_round_mode_32 0
		.amdhsa_float_round_mode_16_64 0
		.amdhsa_float_denorm_mode_32 3
		.amdhsa_float_denorm_mode_16_64 3
		.amdhsa_dx10_clamp 1
		.amdhsa_ieee_mode 1
		.amdhsa_fp16_overflow 0
		.amdhsa_workgroup_processor_mode 1
		.amdhsa_memory_ordered 1
		.amdhsa_forward_progress 0
		.amdhsa_shared_vgpr_count 0
		.amdhsa_exception_fp_ieee_invalid_op 0
		.amdhsa_exception_fp_denorm_src 0
		.amdhsa_exception_fp_ieee_div_zero 0
		.amdhsa_exception_fp_ieee_overflow 0
		.amdhsa_exception_fp_ieee_underflow 0
		.amdhsa_exception_fp_ieee_inexact 0
		.amdhsa_exception_int_div_zero 0
	.end_amdhsa_kernel
	.section	.text._ZN2at6native12_GLOBAL__N_125multi_tensor_apply_kernelINS1_18TensorListMetadataILi2EEENS1_11CopyFunctorIN3c1013Float8_e4m3fnENS6_11Float8_e5m2ELi2ELi1ELi1EEEJNS0_4CopyIS7_S8_EEEEEvT_T0_DpT1_,"axG",@progbits,_ZN2at6native12_GLOBAL__N_125multi_tensor_apply_kernelINS1_18TensorListMetadataILi2EEENS1_11CopyFunctorIN3c1013Float8_e4m3fnENS6_11Float8_e5m2ELi2ELi1ELi1EEEJNS0_4CopyIS7_S8_EEEEEvT_T0_DpT1_,comdat
.Lfunc_end362:
	.size	_ZN2at6native12_GLOBAL__N_125multi_tensor_apply_kernelINS1_18TensorListMetadataILi2EEENS1_11CopyFunctorIN3c1013Float8_e4m3fnENS6_11Float8_e5m2ELi2ELi1ELi1EEEJNS0_4CopyIS7_S8_EEEEEvT_T0_DpT1_, .Lfunc_end362-_ZN2at6native12_GLOBAL__N_125multi_tensor_apply_kernelINS1_18TensorListMetadataILi2EEENS1_11CopyFunctorIN3c1013Float8_e4m3fnENS6_11Float8_e5m2ELi2ELi1ELi1EEEJNS0_4CopyIS7_S8_EEEEEvT_T0_DpT1_
                                        ; -- End function
	.section	.AMDGPU.csdata,"",@progbits
; Kernel info:
; codeLenInByte = 3424
; NumSgprs: 22
; NumVgprs: 46
; ScratchSize: 0
; MemoryBound: 0
; FloatMode: 240
; IeeeMode: 1
; LDSByteSize: 0 bytes/workgroup (compile time only)
; SGPRBlocks: 2
; VGPRBlocks: 5
; NumSGPRsForWavesPerEU: 22
; NumVGPRsForWavesPerEU: 46
; Occupancy: 16
; WaveLimiterHint : 0
; COMPUTE_PGM_RSRC2:SCRATCH_EN: 0
; COMPUTE_PGM_RSRC2:USER_SGPR: 15
; COMPUTE_PGM_RSRC2:TRAP_HANDLER: 0
; COMPUTE_PGM_RSRC2:TGID_X_EN: 1
; COMPUTE_PGM_RSRC2:TGID_Y_EN: 0
; COMPUTE_PGM_RSRC2:TGID_Z_EN: 0
; COMPUTE_PGM_RSRC2:TIDIG_COMP_CNT: 0
	.section	.text._ZN2at6native12_GLOBAL__N_125multi_tensor_apply_kernelINS1_18TensorListMetadataILi2EEENS1_11CopyFunctorIN3c1013Float8_e4m3fnENS6_15Float8_e5m2fnuzELi2ELi1ELi1EEEJNS0_4CopyIS7_S8_EEEEEvT_T0_DpT1_,"axG",@progbits,_ZN2at6native12_GLOBAL__N_125multi_tensor_apply_kernelINS1_18TensorListMetadataILi2EEENS1_11CopyFunctorIN3c1013Float8_e4m3fnENS6_15Float8_e5m2fnuzELi2ELi1ELi1EEEJNS0_4CopyIS7_S8_EEEEEvT_T0_DpT1_,comdat
	.globl	_ZN2at6native12_GLOBAL__N_125multi_tensor_apply_kernelINS1_18TensorListMetadataILi2EEENS1_11CopyFunctorIN3c1013Float8_e4m3fnENS6_15Float8_e5m2fnuzELi2ELi1ELi1EEEJNS0_4CopyIS7_S8_EEEEEvT_T0_DpT1_ ; -- Begin function _ZN2at6native12_GLOBAL__N_125multi_tensor_apply_kernelINS1_18TensorListMetadataILi2EEENS1_11CopyFunctorIN3c1013Float8_e4m3fnENS6_15Float8_e5m2fnuzELi2ELi1ELi1EEEJNS0_4CopyIS7_S8_EEEEEvT_T0_DpT1_
	.p2align	8
	.type	_ZN2at6native12_GLOBAL__N_125multi_tensor_apply_kernelINS1_18TensorListMetadataILi2EEENS1_11CopyFunctorIN3c1013Float8_e4m3fnENS6_15Float8_e5m2fnuzELi2ELi1ELi1EEEJNS0_4CopyIS7_S8_EEEEEvT_T0_DpT1_,@function
_ZN2at6native12_GLOBAL__N_125multi_tensor_apply_kernelINS1_18TensorListMetadataILi2EEENS1_11CopyFunctorIN3c1013Float8_e4m3fnENS6_15Float8_e5m2fnuzELi2ELi1ELi1EEEJNS0_4CopyIS7_S8_EEEEEvT_T0_DpT1_: ; @_ZN2at6native12_GLOBAL__N_125multi_tensor_apply_kernelINS1_18TensorListMetadataILi2EEENS1_11CopyFunctorIN3c1013Float8_e4m3fnENS6_15Float8_e5m2fnuzELi2ELi1ELi1EEEJNS0_4CopyIS7_S8_EEEEEvT_T0_DpT1_
; %bb.0:
	v_mov_b32_e32 v1, s15
	s_add_u32 s2, s0, s15
	s_mul_i32 s4, s15, 3
	s_addc_u32 s3, s1, 0
	s_mul_hi_u32 s5, s15, 3
	global_load_u8 v1, v1, s[0:1] offset:1536
	s_add_u32 s2, s2, s4
	s_addc_u32 s3, s3, s5
	s_load_b32 s2, s[2:3], 0x740
	s_waitcnt vmcnt(0)
	v_readfirstlane_b32 s4, v1
	s_delay_alu instid0(VALU_DEP_1)
	s_lshl_b32 s3, s4, 3
	s_clause 0x2
	s_load_b64 s[6:7], s[0:1], s3 offset:0x0
	s_load_b64 s[8:9], s[0:1], s3 offset:0x200
	;; [unrolled: 1-line block ×3, first 2 shown]
	s_waitcnt lgkmcnt(0)
	s_ashr_i32 s3, s2, 31
	s_delay_alu instid0(SALU_CYCLE_1) | instskip(NEXT) | instid1(SALU_CYCLE_1)
	s_lshl_b64 s[10:11], s[2:3], 16
	s_add_u32 s3, s6, s10
	s_addc_u32 s14, s7, s11
	s_add_u32 s12, s8, s10
	s_addc_u32 s13, s9, s11
	s_delay_alu instid0(SALU_CYCLE_1) | instskip(NEXT) | instid1(SALU_CYCLE_1)
	s_or_b64 s[16:17], s[4:5], s[12:13]
	s_or_b32 s2, s3, s16
	s_delay_alu instid0(SALU_CYCLE_1)
	s_and_b32 s2, s2, 3
	s_sub_u32 s4, s4, s10
	s_subb_u32 s5, s5, s11
	s_cmp_eq_u32 s2, 0
	s_mov_b32 s2, -1
	s_cbranch_scc0 .LBB363_69
; %bb.1:
	v_dual_mov_b32 v2, 0 :: v_dual_lshlrev_b32 v1, 2, v0
	s_mov_b32 s15, exec_lo
	s_delay_alu instid0(VALU_DEP_1)
	v_cmpx_gt_i64_e64 s[4:5], v[1:2]
	s_cbranch_execz .LBB363_68
; %bb.2:
	s_load_b32 s2, s[0:1], 0xc5c
	v_mov_b32_e32 v3, 0x7f
	s_mov_b32 s17, 0
	s_waitcnt lgkmcnt(0)
	s_and_b32 s2, s2, 0xffff
	s_delay_alu instid0(SALU_CYCLE_1)
	s_lshl_b32 s16, s2, 2
	s_branch .LBB363_4
.LBB363_3:                              ;   in Loop: Header=BB363_4 Depth=1
	s_or_b32 exec_lo, exec_lo, s2
	v_lshrrev_b32_e32 v9, 24, v9
	v_lshrrev_b32_e32 v7, 24, v7
	v_add_co_u32 v12, vcc_lo, s12, v1
	v_add_co_ci_u32_e32 v13, vcc_lo, s13, v2, vcc_lo
	s_delay_alu instid0(VALU_DEP_4) | instskip(NEXT) | instid1(VALU_DEP_4)
	v_and_b32_e32 v9, 0x80, v9
	v_and_b32_e32 v7, 0x80, v7
	v_add_co_u32 v1, vcc_lo, s16, v1
	v_add_co_ci_u32_e32 v2, vcc_lo, 0, v2, vcc_lo
	s_delay_alu instid0(VALU_DEP_4)
	v_and_or_b32 v9, 0xff, v10, v9
	v_lshlrev_b32_e32 v5, 24, v5
	v_and_b32_e32 v11, 0x80000000, v11
	v_lshrrev_b32_e32 v4, 24, v4
	v_and_or_b32 v7, 0xff, v8, v7
	v_lshlrev_b32_e32 v9, 16, v9
	v_and_b32_e32 v6, 0xff, v6
	v_cmp_le_i64_e32 vcc_lo, s[4:5], v[1:2]
	v_cmp_lt_u64_e64 s2, 0xffff, v[1:2]
	v_lshlrev_b32_e32 v7, 8, v7
	v_or3_b32 v5, v11, v5, v9
	v_and_or_b32 v4, 0x80, v4, v6
	s_delay_alu instid0(VALU_DEP_4) | instskip(NEXT) | instid1(VALU_DEP_1)
	s_or_b32 s2, vcc_lo, s2
	v_or3_b32 v4, v5, v7, v4
	s_and_b32 s2, exec_lo, s2
	s_delay_alu instid0(SALU_CYCLE_1)
	s_or_b32 s17, s2, s17
	global_store_b32 v[12:13], v4, off
	s_and_not1_b32 exec_lo, exec_lo, s17
	s_cbranch_execz .LBB363_68
.LBB363_4:                              ; =>This Inner Loop Header: Depth=1
	v_add_co_u32 v4, vcc_lo, s3, v1
	v_add_co_ci_u32_e32 v5, vcc_lo, s14, v2, vcc_lo
	s_mov_b32 s2, 0
	s_mov_b32 s19, exec_lo
                                        ; implicit-def: $sgpr18
	global_load_b32 v5, v[4:5], off
	s_waitcnt vmcnt(0)
	v_and_b32_e32 v6, 0xff, v5
	s_delay_alu instid0(VALU_DEP_1)
	v_cmpx_lt_i16_e32 0x7f, v6
	s_xor_b32 s19, exec_lo, s19
	s_cbranch_execnz .LBB363_52
; %bb.5:                                ;   in Loop: Header=BB363_4 Depth=1
	s_or_saveexec_b32 s19, s19
	v_mov_b32_e32 v4, s18
	s_xor_b32 exec_lo, exec_lo, s19
	s_cbranch_execnz .LBB363_55
.LBB363_6:                              ;   in Loop: Header=BB363_4 Depth=1
	s_or_b32 exec_lo, exec_lo, s19
	s_and_saveexec_b32 s18, s2
	s_cbranch_execz .LBB363_8
.LBB363_7:                              ;   in Loop: Header=BB363_4 Depth=1
	v_and_b32_e32 v4, 3, v5
	v_bfe_u32 v8, v5, 2, 5
	s_delay_alu instid0(VALU_DEP_2) | instskip(NEXT) | instid1(VALU_DEP_2)
	v_clz_i32_u32_e32 v6, v4
	v_cmp_eq_u32_e32 vcc_lo, 0, v8
	s_delay_alu instid0(VALU_DEP_2) | instskip(NEXT) | instid1(VALU_DEP_1)
	v_min_u32_e32 v6, 32, v6
	v_subrev_nc_u32_e32 v7, 29, v6
	v_sub_nc_u32_e32 v6, 30, v6
	s_delay_alu instid0(VALU_DEP_1) | instskip(NEXT) | instid1(VALU_DEP_1)
	v_dual_cndmask_b32 v6, v8, v6 :: v_dual_lshlrev_b32 v7, v7, v5
	v_and_b32_e32 v7, 3, v7
	v_lshlrev_b32_e32 v9, 24, v5
	s_delay_alu instid0(VALU_DEP_3) | instskip(NEXT) | instid1(VALU_DEP_2)
	v_lshl_add_u32 v6, v6, 23, 0x37800000
	v_dual_cndmask_b32 v4, v4, v7 :: v_dual_and_b32 v7, 0x80000000, v9
	s_delay_alu instid0(VALU_DEP_1) | instskip(NEXT) | instid1(VALU_DEP_1)
	v_lshlrev_b32_e32 v4, 21, v4
	v_or3_b32 v4, v7, v6, v4
.LBB363_8:                              ;   in Loop: Header=BB363_4 Depth=1
	s_or_b32 exec_lo, exec_lo, s18
	s_delay_alu instid0(VALU_DEP_1) | instskip(SKIP_1) | instid1(VALU_DEP_1)
	v_and_b32_e32 v7, 0x7fffffff, v4
	s_mov_b32 s2, exec_lo
                                        ; implicit-def: $vgpr6
	v_cmpx_gt_u32_e32 0x43f00000, v7
	s_xor_b32 s2, exec_lo, s2
	s_cbranch_execz .LBB363_14
; %bb.9:                                ;   in Loop: Header=BB363_4 Depth=1
	s_mov_b32 s18, exec_lo
                                        ; implicit-def: $vgpr6
	v_cmpx_lt_u32_e32 0x3c7fffff, v7
	s_xor_b32 s18, exec_lo, s18
; %bb.10:                               ;   in Loop: Header=BB363_4 Depth=1
	v_bfe_u32 v6, v4, 20, 1
	s_delay_alu instid0(VALU_DEP_1) | instskip(NEXT) | instid1(VALU_DEP_1)
	v_add3_u32 v6, v4, v6, 0x407ffff
	v_and_b32_e32 v7, 0xff00000, v6
	v_lshrrev_b32_e32 v6, 20, v6
	s_delay_alu instid0(VALU_DEP_2) | instskip(NEXT) | instid1(VALU_DEP_2)
	v_cmp_ne_u32_e32 vcc_lo, 0x7f00000, v7
	v_cndmask_b32_e32 v6, 0x7e, v6, vcc_lo
; %bb.11:                               ;   in Loop: Header=BB363_4 Depth=1
	s_and_not1_saveexec_b32 s18, s18
; %bb.12:                               ;   in Loop: Header=BB363_4 Depth=1
	v_add_f32_e64 v6, 0x46800000, |v4|
; %bb.13:                               ;   in Loop: Header=BB363_4 Depth=1
	s_or_b32 exec_lo, exec_lo, s18
                                        ; implicit-def: $vgpr7
.LBB363_14:                             ;   in Loop: Header=BB363_4 Depth=1
	s_and_not1_saveexec_b32 s2, s2
; %bb.15:                               ;   in Loop: Header=BB363_4 Depth=1
	v_cmp_lt_u32_e32 vcc_lo, 0x7f800000, v7
	v_cndmask_b32_e32 v6, 0x7e, v3, vcc_lo
; %bb.16:                               ;   in Loop: Header=BB363_4 Depth=1
	s_or_b32 exec_lo, exec_lo, s2
	v_lshrrev_b32_e32 v8, 8, v5
	s_mov_b32 s2, 0
	s_mov_b32 s19, exec_lo
                                        ; implicit-def: $sgpr18
	s_delay_alu instid0(VALU_DEP_1) | instskip(NEXT) | instid1(VALU_DEP_1)
	v_and_b32_e32 v9, 0xff, v8
	v_cmpx_lt_i16_e32 0x7f, v9
	s_xor_b32 s19, exec_lo, s19
	s_cbranch_execnz .LBB363_56
; %bb.17:                               ;   in Loop: Header=BB363_4 Depth=1
	s_or_saveexec_b32 s19, s19
	v_mov_b32_e32 v7, s18
	s_xor_b32 exec_lo, exec_lo, s19
	s_cbranch_execnz .LBB363_59
.LBB363_18:                             ;   in Loop: Header=BB363_4 Depth=1
	s_or_b32 exec_lo, exec_lo, s19
	s_and_saveexec_b32 s18, s2
	s_cbranch_execz .LBB363_20
.LBB363_19:                             ;   in Loop: Header=BB363_4 Depth=1
	v_bfe_u32 v7, v5, 8, 2
	v_bfe_u32 v11, v5, 10, 5
	s_delay_alu instid0(VALU_DEP_2) | instskip(NEXT) | instid1(VALU_DEP_2)
	v_clz_i32_u32_e32 v9, v7
	v_cmp_eq_u32_e32 vcc_lo, 0, v11
	s_delay_alu instid0(VALU_DEP_2) | instskip(NEXT) | instid1(VALU_DEP_1)
	v_min_u32_e32 v9, 32, v9
	v_subrev_nc_u32_e32 v10, 29, v9
	v_sub_nc_u32_e32 v9, 30, v9
	s_delay_alu instid0(VALU_DEP_1) | instskip(NEXT) | instid1(VALU_DEP_1)
	v_dual_cndmask_b32 v9, v11, v9 :: v_dual_lshlrev_b32 v10, v10, v8
	v_and_b32_e32 v10, 3, v10
	v_lshlrev_b32_e32 v8, 24, v8
	s_delay_alu instid0(VALU_DEP_3) | instskip(NEXT) | instid1(VALU_DEP_2)
	v_lshl_add_u32 v9, v9, 23, 0x37800000
	v_dual_cndmask_b32 v7, v7, v10 :: v_dual_and_b32 v8, 0x80000000, v8
	s_delay_alu instid0(VALU_DEP_1) | instskip(NEXT) | instid1(VALU_DEP_1)
	v_lshlrev_b32_e32 v7, 21, v7
	v_or3_b32 v7, v8, v9, v7
.LBB363_20:                             ;   in Loop: Header=BB363_4 Depth=1
	s_or_b32 exec_lo, exec_lo, s18
	s_delay_alu instid0(VALU_DEP_1) | instskip(SKIP_1) | instid1(VALU_DEP_1)
	v_and_b32_e32 v9, 0x7fffffff, v7
	s_mov_b32 s2, exec_lo
                                        ; implicit-def: $vgpr8
	v_cmpx_gt_u32_e32 0x43f00000, v9
	s_xor_b32 s2, exec_lo, s2
	s_cbranch_execz .LBB363_26
; %bb.21:                               ;   in Loop: Header=BB363_4 Depth=1
	s_mov_b32 s18, exec_lo
                                        ; implicit-def: $vgpr8
	v_cmpx_lt_u32_e32 0x3c7fffff, v9
	s_xor_b32 s18, exec_lo, s18
; %bb.22:                               ;   in Loop: Header=BB363_4 Depth=1
	v_bfe_u32 v8, v7, 20, 1
	s_delay_alu instid0(VALU_DEP_1) | instskip(NEXT) | instid1(VALU_DEP_1)
	v_add3_u32 v8, v7, v8, 0x407ffff
	v_and_b32_e32 v9, 0xff00000, v8
	v_lshrrev_b32_e32 v8, 20, v8
	s_delay_alu instid0(VALU_DEP_2) | instskip(NEXT) | instid1(VALU_DEP_2)
	v_cmp_ne_u32_e32 vcc_lo, 0x7f00000, v9
	v_cndmask_b32_e32 v8, 0x7e, v8, vcc_lo
; %bb.23:                               ;   in Loop: Header=BB363_4 Depth=1
	s_and_not1_saveexec_b32 s18, s18
; %bb.24:                               ;   in Loop: Header=BB363_4 Depth=1
	v_add_f32_e64 v8, 0x46800000, |v7|
; %bb.25:                               ;   in Loop: Header=BB363_4 Depth=1
	s_or_b32 exec_lo, exec_lo, s18
                                        ; implicit-def: $vgpr9
.LBB363_26:                             ;   in Loop: Header=BB363_4 Depth=1
	s_and_not1_saveexec_b32 s2, s2
; %bb.27:                               ;   in Loop: Header=BB363_4 Depth=1
	v_cmp_lt_u32_e32 vcc_lo, 0x7f800000, v9
	v_cndmask_b32_e32 v8, 0x7e, v3, vcc_lo
; %bb.28:                               ;   in Loop: Header=BB363_4 Depth=1
	s_or_b32 exec_lo, exec_lo, s2
	v_lshrrev_b32_e32 v10, 16, v5
	s_mov_b32 s2, 0
	s_mov_b32 s19, exec_lo
                                        ; implicit-def: $sgpr18
	s_delay_alu instid0(VALU_DEP_1) | instskip(NEXT) | instid1(VALU_DEP_1)
	v_and_b32_e32 v11, 0xff, v10
	v_cmpx_lt_i16_e32 0x7f, v11
	s_xor_b32 s19, exec_lo, s19
	s_cbranch_execnz .LBB363_60
; %bb.29:                               ;   in Loop: Header=BB363_4 Depth=1
	s_or_saveexec_b32 s19, s19
	v_mov_b32_e32 v9, s18
	s_xor_b32 exec_lo, exec_lo, s19
	s_cbranch_execnz .LBB363_63
.LBB363_30:                             ;   in Loop: Header=BB363_4 Depth=1
	s_or_b32 exec_lo, exec_lo, s19
	s_and_saveexec_b32 s18, s2
	s_cbranch_execz .LBB363_32
.LBB363_31:                             ;   in Loop: Header=BB363_4 Depth=1
	v_bfe_u32 v9, v5, 16, 2
	v_bfe_u32 v13, v5, 18, 5
	s_delay_alu instid0(VALU_DEP_2) | instskip(NEXT) | instid1(VALU_DEP_2)
	v_clz_i32_u32_e32 v11, v9
	v_cmp_eq_u32_e32 vcc_lo, 0, v13
	s_delay_alu instid0(VALU_DEP_2) | instskip(NEXT) | instid1(VALU_DEP_1)
	v_min_u32_e32 v11, 32, v11
	v_subrev_nc_u32_e32 v12, 29, v11
	v_sub_nc_u32_e32 v11, 30, v11
	s_delay_alu instid0(VALU_DEP_1) | instskip(NEXT) | instid1(VALU_DEP_1)
	v_dual_cndmask_b32 v11, v13, v11 :: v_dual_lshlrev_b32 v12, v12, v10
	v_and_b32_e32 v12, 3, v12
	v_lshlrev_b32_e32 v10, 24, v10
	s_delay_alu instid0(VALU_DEP_3) | instskip(NEXT) | instid1(VALU_DEP_2)
	v_lshl_add_u32 v11, v11, 23, 0x37800000
	v_dual_cndmask_b32 v9, v9, v12 :: v_dual_and_b32 v10, 0x80000000, v10
	s_delay_alu instid0(VALU_DEP_1) | instskip(NEXT) | instid1(VALU_DEP_1)
	v_lshlrev_b32_e32 v9, 21, v9
	v_or3_b32 v9, v10, v11, v9
.LBB363_32:                             ;   in Loop: Header=BB363_4 Depth=1
	s_or_b32 exec_lo, exec_lo, s18
	s_delay_alu instid0(VALU_DEP_1) | instskip(SKIP_1) | instid1(VALU_DEP_1)
	v_and_b32_e32 v11, 0x7fffffff, v9
	s_mov_b32 s2, exec_lo
                                        ; implicit-def: $vgpr10
	v_cmpx_gt_u32_e32 0x43f00000, v11
	s_xor_b32 s2, exec_lo, s2
	s_cbranch_execz .LBB363_38
; %bb.33:                               ;   in Loop: Header=BB363_4 Depth=1
	s_mov_b32 s18, exec_lo
                                        ; implicit-def: $vgpr10
	v_cmpx_lt_u32_e32 0x3c7fffff, v11
	s_xor_b32 s18, exec_lo, s18
; %bb.34:                               ;   in Loop: Header=BB363_4 Depth=1
	v_bfe_u32 v10, v9, 20, 1
	s_delay_alu instid0(VALU_DEP_1) | instskip(NEXT) | instid1(VALU_DEP_1)
	v_add3_u32 v10, v9, v10, 0x407ffff
	v_and_b32_e32 v11, 0xff00000, v10
	v_lshrrev_b32_e32 v10, 20, v10
	s_delay_alu instid0(VALU_DEP_2) | instskip(NEXT) | instid1(VALU_DEP_2)
	v_cmp_ne_u32_e32 vcc_lo, 0x7f00000, v11
	v_cndmask_b32_e32 v10, 0x7e, v10, vcc_lo
; %bb.35:                               ;   in Loop: Header=BB363_4 Depth=1
	s_and_not1_saveexec_b32 s18, s18
; %bb.36:                               ;   in Loop: Header=BB363_4 Depth=1
	v_add_f32_e64 v10, 0x46800000, |v9|
; %bb.37:                               ;   in Loop: Header=BB363_4 Depth=1
	s_or_b32 exec_lo, exec_lo, s18
                                        ; implicit-def: $vgpr11
.LBB363_38:                             ;   in Loop: Header=BB363_4 Depth=1
	s_and_not1_saveexec_b32 s2, s2
; %bb.39:                               ;   in Loop: Header=BB363_4 Depth=1
	v_cmp_lt_u32_e32 vcc_lo, 0x7f800000, v11
	v_cndmask_b32_e32 v10, 0x7e, v3, vcc_lo
; %bb.40:                               ;   in Loop: Header=BB363_4 Depth=1
	s_or_b32 exec_lo, exec_lo, s2
	v_lshrrev_b32_e32 v12, 24, v5
	s_mov_b32 s2, 0
	s_mov_b32 s19, exec_lo
                                        ; implicit-def: $sgpr18
	s_delay_alu instid0(VALU_DEP_1)
	v_cmpx_lt_i16_e32 0x7f, v12
	s_xor_b32 s19, exec_lo, s19
	s_cbranch_execnz .LBB363_64
; %bb.41:                               ;   in Loop: Header=BB363_4 Depth=1
	s_or_saveexec_b32 s19, s19
	v_mov_b32_e32 v11, s18
	s_xor_b32 exec_lo, exec_lo, s19
	s_cbranch_execnz .LBB363_67
.LBB363_42:                             ;   in Loop: Header=BB363_4 Depth=1
	s_or_b32 exec_lo, exec_lo, s19
	s_and_saveexec_b32 s18, s2
	s_cbranch_execz .LBB363_44
.LBB363_43:                             ;   in Loop: Header=BB363_4 Depth=1
	v_bfe_u32 v11, v5, 24, 2
	s_delay_alu instid0(VALU_DEP_1) | instskip(NEXT) | instid1(VALU_DEP_1)
	v_clz_i32_u32_e32 v13, v11
	v_min_u32_e32 v13, 32, v13
	s_delay_alu instid0(VALU_DEP_1) | instskip(SKIP_1) | instid1(VALU_DEP_2)
	v_subrev_nc_u32_e32 v14, 29, v13
	v_sub_nc_u32_e32 v13, 30, v13
	v_lshlrev_b32_e32 v12, v14, v12
	v_bfe_u32 v14, v5, 26, 5
	v_and_b32_e32 v5, 0x80000000, v5
	s_delay_alu instid0(VALU_DEP_2) | instskip(NEXT) | instid1(VALU_DEP_4)
	v_cmp_eq_u32_e32 vcc_lo, 0, v14
	v_dual_cndmask_b32 v13, v14, v13 :: v_dual_and_b32 v12, 3, v12
	s_delay_alu instid0(VALU_DEP_1) | instskip(NEXT) | instid1(VALU_DEP_2)
	v_cndmask_b32_e32 v11, v11, v12, vcc_lo
	v_lshl_add_u32 v12, v13, 23, 0x37800000
	s_delay_alu instid0(VALU_DEP_2) | instskip(NEXT) | instid1(VALU_DEP_1)
	v_lshlrev_b32_e32 v11, 21, v11
	v_or3_b32 v11, v5, v12, v11
.LBB363_44:                             ;   in Loop: Header=BB363_4 Depth=1
	s_or_b32 exec_lo, exec_lo, s18
	s_delay_alu instid0(VALU_DEP_1) | instskip(SKIP_1) | instid1(VALU_DEP_1)
	v_and_b32_e32 v12, 0x7fffffff, v11
	s_mov_b32 s2, exec_lo
                                        ; implicit-def: $vgpr5
	v_cmpx_gt_u32_e32 0x43f00000, v12
	s_xor_b32 s2, exec_lo, s2
	s_cbranch_execz .LBB363_50
; %bb.45:                               ;   in Loop: Header=BB363_4 Depth=1
	s_mov_b32 s18, exec_lo
                                        ; implicit-def: $vgpr5
	v_cmpx_lt_u32_e32 0x3c7fffff, v12
	s_xor_b32 s18, exec_lo, s18
; %bb.46:                               ;   in Loop: Header=BB363_4 Depth=1
	v_bfe_u32 v5, v11, 20, 1
	s_delay_alu instid0(VALU_DEP_1) | instskip(NEXT) | instid1(VALU_DEP_1)
	v_add3_u32 v5, v11, v5, 0x407ffff
	v_and_b32_e32 v12, 0xff00000, v5
	v_lshrrev_b32_e32 v5, 20, v5
	s_delay_alu instid0(VALU_DEP_2) | instskip(NEXT) | instid1(VALU_DEP_2)
	v_cmp_ne_u32_e32 vcc_lo, 0x7f00000, v12
	v_cndmask_b32_e32 v5, 0x7e, v5, vcc_lo
; %bb.47:                               ;   in Loop: Header=BB363_4 Depth=1
	s_and_not1_saveexec_b32 s18, s18
; %bb.48:                               ;   in Loop: Header=BB363_4 Depth=1
	v_add_f32_e64 v5, 0x46800000, |v11|
; %bb.49:                               ;   in Loop: Header=BB363_4 Depth=1
	s_or_b32 exec_lo, exec_lo, s18
                                        ; implicit-def: $vgpr12
.LBB363_50:                             ;   in Loop: Header=BB363_4 Depth=1
	s_and_not1_saveexec_b32 s2, s2
	s_cbranch_execz .LBB363_3
; %bb.51:                               ;   in Loop: Header=BB363_4 Depth=1
	v_cmp_lt_u32_e32 vcc_lo, 0x7f800000, v12
	v_cndmask_b32_e32 v5, 0x7e, v3, vcc_lo
	s_branch .LBB363_3
.LBB363_52:                             ;   in Loop: Header=BB363_4 Depth=1
	s_mov_b32 s2, -1
	s_mov_b32 s20, exec_lo
                                        ; implicit-def: $sgpr18
	v_cmpx_eq_u16_e32 0x80, v6
; %bb.53:                               ;   in Loop: Header=BB363_4 Depth=1
	s_mov_b32 s18, 0x7f800001
	s_xor_b32 s2, exec_lo, -1
; %bb.54:                               ;   in Loop: Header=BB363_4 Depth=1
	s_or_b32 exec_lo, exec_lo, s20
	s_delay_alu instid0(SALU_CYCLE_1)
	s_and_b32 s2, s2, exec_lo
                                        ; implicit-def: $vgpr6
	s_or_saveexec_b32 s19, s19
	v_mov_b32_e32 v4, s18
	s_xor_b32 exec_lo, exec_lo, s19
	s_cbranch_execz .LBB363_6
.LBB363_55:                             ;   in Loop: Header=BB363_4 Depth=1
	v_cmp_ne_u16_e32 vcc_lo, 0, v6
	v_mov_b32_e32 v4, 0
	s_and_not1_b32 s2, s2, exec_lo
	s_and_b32 s18, vcc_lo, exec_lo
	s_delay_alu instid0(SALU_CYCLE_1)
	s_or_b32 s2, s2, s18
	s_or_b32 exec_lo, exec_lo, s19
	s_and_saveexec_b32 s18, s2
	s_cbranch_execnz .LBB363_7
	s_branch .LBB363_8
.LBB363_56:                             ;   in Loop: Header=BB363_4 Depth=1
	s_mov_b32 s2, -1
	s_mov_b32 s20, exec_lo
                                        ; implicit-def: $sgpr18
	v_cmpx_eq_u16_e32 0x80, v9
; %bb.57:                               ;   in Loop: Header=BB363_4 Depth=1
	s_mov_b32 s18, 0x7f800001
	s_xor_b32 s2, exec_lo, -1
; %bb.58:                               ;   in Loop: Header=BB363_4 Depth=1
	s_or_b32 exec_lo, exec_lo, s20
	s_delay_alu instid0(SALU_CYCLE_1)
	s_and_b32 s2, s2, exec_lo
                                        ; implicit-def: $vgpr9
	s_or_saveexec_b32 s19, s19
	v_mov_b32_e32 v7, s18
	s_xor_b32 exec_lo, exec_lo, s19
	s_cbranch_execz .LBB363_18
.LBB363_59:                             ;   in Loop: Header=BB363_4 Depth=1
	v_cmp_ne_u16_e32 vcc_lo, 0, v9
	v_mov_b32_e32 v7, 0
	s_and_not1_b32 s2, s2, exec_lo
	s_and_b32 s18, vcc_lo, exec_lo
	s_delay_alu instid0(SALU_CYCLE_1)
	s_or_b32 s2, s2, s18
	s_or_b32 exec_lo, exec_lo, s19
	s_and_saveexec_b32 s18, s2
	s_cbranch_execnz .LBB363_19
	s_branch .LBB363_20
.LBB363_60:                             ;   in Loop: Header=BB363_4 Depth=1
	s_mov_b32 s2, -1
	s_mov_b32 s20, exec_lo
                                        ; implicit-def: $sgpr18
	v_cmpx_eq_u16_e32 0x80, v11
; %bb.61:                               ;   in Loop: Header=BB363_4 Depth=1
	s_mov_b32 s18, 0x7f800001
	s_xor_b32 s2, exec_lo, -1
; %bb.62:                               ;   in Loop: Header=BB363_4 Depth=1
	s_or_b32 exec_lo, exec_lo, s20
	s_delay_alu instid0(SALU_CYCLE_1)
	s_and_b32 s2, s2, exec_lo
                                        ; implicit-def: $vgpr11
	s_or_saveexec_b32 s19, s19
	v_mov_b32_e32 v9, s18
	s_xor_b32 exec_lo, exec_lo, s19
	s_cbranch_execz .LBB363_30
.LBB363_63:                             ;   in Loop: Header=BB363_4 Depth=1
	v_cmp_ne_u16_e32 vcc_lo, 0, v11
	v_mov_b32_e32 v9, 0
	s_and_not1_b32 s2, s2, exec_lo
	s_and_b32 s18, vcc_lo, exec_lo
	s_delay_alu instid0(SALU_CYCLE_1)
	s_or_b32 s2, s2, s18
	s_or_b32 exec_lo, exec_lo, s19
	s_and_saveexec_b32 s18, s2
	s_cbranch_execnz .LBB363_31
	s_branch .LBB363_32
.LBB363_64:                             ;   in Loop: Header=BB363_4 Depth=1
	s_mov_b32 s2, -1
	s_mov_b32 s20, exec_lo
                                        ; implicit-def: $sgpr18
	v_cmpx_eq_u16_e32 0x80, v12
; %bb.65:                               ;   in Loop: Header=BB363_4 Depth=1
	s_mov_b32 s18, 0x7f800001
	s_xor_b32 s2, exec_lo, -1
; %bb.66:                               ;   in Loop: Header=BB363_4 Depth=1
	s_or_b32 exec_lo, exec_lo, s20
	s_delay_alu instid0(SALU_CYCLE_1)
	s_and_b32 s2, s2, exec_lo
	s_or_saveexec_b32 s19, s19
	v_mov_b32_e32 v11, s18
	s_xor_b32 exec_lo, exec_lo, s19
	s_cbranch_execz .LBB363_42
.LBB363_67:                             ;   in Loop: Header=BB363_4 Depth=1
	v_cmp_ne_u16_e32 vcc_lo, 0, v12
	v_mov_b32_e32 v11, 0
	s_and_not1_b32 s2, s2, exec_lo
	s_and_b32 s18, vcc_lo, exec_lo
	s_delay_alu instid0(SALU_CYCLE_1)
	s_or_b32 s2, s2, s18
	s_or_b32 exec_lo, exec_lo, s19
	s_and_saveexec_b32 s18, s2
	s_cbranch_execnz .LBB363_43
	s_branch .LBB363_44
.LBB363_68:
	s_or_b32 exec_lo, exec_lo, s15
	s_mov_b32 s2, 0
.LBB363_69:
	s_delay_alu instid0(SALU_CYCLE_1)
	s_and_not1_b32 vcc_lo, exec_lo, s2
	s_cbranch_vccnz .LBB363_153
; %bb.70:
	v_cmp_lt_i64_e64 s2, s[4:5], 1
	s_delay_alu instid0(VALU_DEP_1)
	s_and_b32 vcc_lo, exec_lo, s2
	s_cbranch_vccnz .LBB363_153
; %bb.71:
	s_load_b32 s0, s[0:1], 0xc5c
	v_add_co_u32 v1, s1, s10, v0
	s_delay_alu instid0(VALU_DEP_1) | instskip(SKIP_1) | instid1(VALU_DEP_3)
	v_add_co_ci_u32_e64 v2, null, s11, 0, s1
	v_cmp_gt_u64_e64 s1, 0x10000, s[4:5]
	v_add_co_u32 v9, vcc_lo, s6, v1
	s_delay_alu instid0(VALU_DEP_3)
	v_add_co_ci_u32_e32 v10, vcc_lo, s7, v2, vcc_lo
	v_add_co_u32 v11, vcc_lo, s8, v1
	v_add_co_ci_u32_e32 v12, vcc_lo, s9, v2, vcc_lo
	v_mov_b32_e32 v31, 0x7f
                                        ; implicit-def: $vgpr32
                                        ; implicit-def: $vgpr33
                                        ; implicit-def: $vgpr34
                                        ; implicit-def: $vgpr35
	s_waitcnt lgkmcnt(0)
	s_and_b32 s0, s0, 0xffff
	s_and_b32 s1, s1, exec_lo
	s_mul_i32 s13, s0, 3
	s_cselect_b32 s3, s5, 0
	s_cselect_b32 s2, s4, 0x10000
	s_lshl_b32 s12, s0, 1
	s_lshl_b32 s1, s0, 2
	s_add_u32 s14, s10, s13
	s_addc_u32 s15, s11, 0
	v_add_co_u32 v3, s14, s14, v0
	s_delay_alu instid0(VALU_DEP_1) | instskip(SKIP_1) | instid1(VALU_DEP_2)
	v_add_co_ci_u32_e64 v4, null, s15, 0, s14
	s_add_u32 s10, s10, s12
	v_add_co_u32 v13, vcc_lo, s6, v3
	s_delay_alu instid0(VALU_DEP_2)
	v_add_co_ci_u32_e32 v14, vcc_lo, s7, v4, vcc_lo
	v_add_co_u32 v15, vcc_lo, s8, v3
	s_addc_u32 s11, s11, 0
	v_add_co_u32 v3, s10, s10, v0
	v_add_co_ci_u32_e32 v16, vcc_lo, s9, v4, vcc_lo
	v_add_co_ci_u32_e64 v4, null, s11, 0, s10
	s_delay_alu instid0(VALU_DEP_3) | instskip(SKIP_1) | instid1(VALU_DEP_3)
	v_add_co_u32 v19, vcc_lo, s6, v3
	v_add_co_u32 v17, s10, s13, v0
	v_add_co_ci_u32_e32 v20, vcc_lo, s7, v4, vcc_lo
	v_add_co_u32 v21, vcc_lo, s8, v3
	v_add_co_ci_u32_e32 v22, vcc_lo, s9, v4, vcc_lo
	v_add_co_u32 v1, vcc_lo, v1, s0
	v_add_co_ci_u32_e32 v2, vcc_lo, 0, v2, vcc_lo
	v_add_co_ci_u32_e64 v18, null, 0, 0, s10
	s_delay_alu instid0(VALU_DEP_3) | instskip(NEXT) | instid1(VALU_DEP_3)
	v_add_co_u32 v25, vcc_lo, s6, v1
	v_add_co_ci_u32_e32 v26, vcc_lo, s7, v2, vcc_lo
	v_add_co_u32 v23, s10, s12, v0
	v_add_co_u32 v27, vcc_lo, s8, v1
	v_add_co_u32 v29, s0, v0, s0
	v_add_co_ci_u32_e64 v24, null, 0, 0, s10
	v_add_co_ci_u32_e32 v28, vcc_lo, s9, v2, vcc_lo
	v_add_co_ci_u32_e64 v30, null, 0, 0, s0
	s_mov_b64 s[6:7], 0
	s_branch .LBB363_73
.LBB363_72:                             ;   in Loop: Header=BB363_73 Depth=1
	s_or_b32 exec_lo, exec_lo, s0
	s_add_u32 s6, s6, s1
	s_addc_u32 s7, s7, 0
	s_delay_alu instid0(SALU_CYCLE_1) | instskip(SKIP_1) | instid1(VALU_DEP_1)
	v_cmp_ge_i64_e64 s0, s[6:7], s[4:5]
	v_cmp_lt_u64_e64 s8, 0xffff, s[6:7]
	s_or_b32 s0, s0, s8
	s_delay_alu instid0(SALU_CYCLE_1)
	s_and_b32 vcc_lo, exec_lo, s0
	s_cbranch_vccnz .LBB363_153
.LBB363_73:                             ; =>This Inner Loop Header: Depth=1
	v_add_co_u32 v1, s0, v0, s6
	s_delay_alu instid0(VALU_DEP_1) | instskip(NEXT) | instid1(VALU_DEP_1)
	v_add_co_ci_u32_e64 v2, null, 0, s7, s0
	v_cmp_gt_i64_e32 vcc_lo, s[4:5], v[1:2]
	v_cmp_gt_u64_e64 s0, 0x10000, v[1:2]
	s_delay_alu instid0(VALU_DEP_1) | instskip(NEXT) | instid1(SALU_CYCLE_1)
	s_and_b32 s8, vcc_lo, s0
	s_and_saveexec_b32 s0, s8
	s_cbranch_execz .LBB363_75
; %bb.74:                               ;   in Loop: Header=BB363_73 Depth=1
	v_add_co_u32 v3, vcc_lo, v9, s6
	v_add_co_ci_u32_e32 v4, vcc_lo, s7, v10, vcc_lo
	global_load_u8 v35, v[3:4], off
.LBB363_75:                             ;   in Loop: Header=BB363_73 Depth=1
	s_or_b32 exec_lo, exec_lo, s0
	v_add_co_u32 v3, vcc_lo, v29, s6
	v_add_co_ci_u32_e32 v4, vcc_lo, s7, v30, vcc_lo
	s_delay_alu instid0(VALU_DEP_1) | instskip(SKIP_1) | instid1(VALU_DEP_1)
	v_cmp_gt_i64_e32 vcc_lo, s[4:5], v[3:4]
	v_cmp_gt_u64_e64 s0, 0x10000, v[3:4]
	s_and_b32 s8, vcc_lo, s0
	s_delay_alu instid0(SALU_CYCLE_1)
	s_and_saveexec_b32 s0, s8
	s_cbranch_execz .LBB363_77
; %bb.76:                               ;   in Loop: Header=BB363_73 Depth=1
	v_add_co_u32 v5, vcc_lo, v25, s6
	v_add_co_ci_u32_e32 v6, vcc_lo, s7, v26, vcc_lo
	global_load_u8 v34, v[5:6], off
.LBB363_77:                             ;   in Loop: Header=BB363_73 Depth=1
	s_or_b32 exec_lo, exec_lo, s0
	v_add_co_u32 v5, vcc_lo, v23, s6
	v_add_co_ci_u32_e32 v6, vcc_lo, s7, v24, vcc_lo
	s_delay_alu instid0(VALU_DEP_1) | instskip(SKIP_1) | instid1(VALU_DEP_1)
	v_cmp_gt_i64_e32 vcc_lo, s[4:5], v[5:6]
	v_cmp_gt_u64_e64 s0, 0x10000, v[5:6]
	s_and_b32 s8, vcc_lo, s0
	s_delay_alu instid0(SALU_CYCLE_1)
	;; [unrolled: 15-line block ×3, first 2 shown]
	s_and_saveexec_b32 s0, s8
	s_cbranch_execz .LBB363_81
; %bb.80:                               ;   in Loop: Header=BB363_73 Depth=1
	v_add_co_u32 v36, vcc_lo, v13, s6
	v_add_co_ci_u32_e32 v37, vcc_lo, s7, v14, vcc_lo
	global_load_u8 v32, v[36:37], off
.LBB363_81:                             ;   in Loop: Header=BB363_73 Depth=1
	s_or_b32 exec_lo, exec_lo, s0
	s_waitcnt vmcnt(0)
	v_and_b32_e32 v37, 0xff, v35
	s_mov_b32 s0, 0
	s_mov_b32 s9, exec_lo
                                        ; implicit-def: $sgpr8
	s_delay_alu instid0(VALU_DEP_1)
	v_cmpx_lt_i16_e32 0x7f, v37
	s_xor_b32 s9, exec_lo, s9
	s_cbranch_execnz .LBB363_133
; %bb.82:                               ;   in Loop: Header=BB363_73 Depth=1
	s_or_saveexec_b32 s9, s9
	v_mov_b32_e32 v36, s8
	s_xor_b32 exec_lo, exec_lo, s9
	s_cbranch_execnz .LBB363_136
.LBB363_83:                             ;   in Loop: Header=BB363_73 Depth=1
	s_or_b32 exec_lo, exec_lo, s9
	s_and_saveexec_b32 s8, s0
	s_cbranch_execz .LBB363_85
.LBB363_84:                             ;   in Loop: Header=BB363_73 Depth=1
	v_lshrrev_b16 v39, 2, v35
	v_lshlrev_b32_e32 v40, 24, v35
	s_delay_alu instid0(VALU_DEP_2) | instskip(NEXT) | instid1(VALU_DEP_1)
	v_and_b32_e32 v39, 31, v39
	v_cmp_eq_u32_e32 vcc_lo, 0, v39
	v_and_b32_e32 v36, 3, v35
	s_delay_alu instid0(VALU_DEP_1) | instskip(NEXT) | instid1(VALU_DEP_1)
	v_clz_i32_u32_e32 v37, v36
	v_min_u32_e32 v37, 32, v37
	s_delay_alu instid0(VALU_DEP_1) | instskip(SKIP_1) | instid1(VALU_DEP_1)
	v_subrev_nc_u32_e32 v38, 29, v37
	v_sub_nc_u32_e32 v37, 30, v37
	v_dual_cndmask_b32 v37, v39, v37 :: v_dual_lshlrev_b32 v38, v38, v35
	s_delay_alu instid0(VALU_DEP_1) | instskip(NEXT) | instid1(VALU_DEP_2)
	v_and_b32_e32 v38, 3, v38
	v_lshl_add_u32 v37, v37, 23, 0x37800000
	s_delay_alu instid0(VALU_DEP_2) | instskip(SKIP_1) | instid1(VALU_DEP_2)
	v_cndmask_b32_e32 v36, v36, v38, vcc_lo
	v_and_b32_e32 v38, 0x80000000, v40
	v_lshlrev_b32_e32 v36, 21, v36
	s_delay_alu instid0(VALU_DEP_1)
	v_or3_b32 v36, v38, v37, v36
.LBB363_85:                             ;   in Loop: Header=BB363_73 Depth=1
	s_or_b32 exec_lo, exec_lo, s8
	s_delay_alu instid0(VALU_DEP_1) | instskip(SKIP_1) | instid1(VALU_DEP_1)
	v_and_b32_e32 v38, 0x7fffffff, v36
	s_mov_b32 s0, exec_lo
                                        ; implicit-def: $vgpr37
	v_cmpx_gt_u32_e32 0x43f00000, v38
	s_xor_b32 s0, exec_lo, s0
	s_cbranch_execz .LBB363_91
; %bb.86:                               ;   in Loop: Header=BB363_73 Depth=1
	s_mov_b32 s8, exec_lo
                                        ; implicit-def: $vgpr37
	v_cmpx_lt_u32_e32 0x3c7fffff, v38
	s_xor_b32 s8, exec_lo, s8
; %bb.87:                               ;   in Loop: Header=BB363_73 Depth=1
	v_bfe_u32 v37, v36, 20, 1
	s_delay_alu instid0(VALU_DEP_1) | instskip(NEXT) | instid1(VALU_DEP_1)
	v_add3_u32 v37, v36, v37, 0x407ffff
	v_and_b32_e32 v38, 0xff00000, v37
	v_lshrrev_b32_e32 v37, 20, v37
	s_delay_alu instid0(VALU_DEP_2) | instskip(NEXT) | instid1(VALU_DEP_2)
	v_cmp_ne_u32_e32 vcc_lo, 0x7f00000, v38
	v_cndmask_b32_e32 v37, 0x7e, v37, vcc_lo
; %bb.88:                               ;   in Loop: Header=BB363_73 Depth=1
	s_and_not1_saveexec_b32 s8, s8
; %bb.89:                               ;   in Loop: Header=BB363_73 Depth=1
	v_add_f32_e64 v37, 0x46800000, |v36|
; %bb.90:                               ;   in Loop: Header=BB363_73 Depth=1
	s_or_b32 exec_lo, exec_lo, s8
                                        ; implicit-def: $vgpr38
.LBB363_91:                             ;   in Loop: Header=BB363_73 Depth=1
	s_and_not1_saveexec_b32 s0, s0
; %bb.92:                               ;   in Loop: Header=BB363_73 Depth=1
	v_cmp_lt_u32_e32 vcc_lo, 0x7f800000, v38
	v_cndmask_b32_e32 v37, 0x7e, v31, vcc_lo
; %bb.93:                               ;   in Loop: Header=BB363_73 Depth=1
	s_or_b32 exec_lo, exec_lo, s0
	v_and_b32_e32 v39, 0xff, v34
	s_mov_b32 s0, 0
	s_mov_b32 s9, exec_lo
                                        ; implicit-def: $sgpr8
	s_delay_alu instid0(VALU_DEP_1)
	v_cmpx_lt_i16_e32 0x7f, v39
	s_xor_b32 s9, exec_lo, s9
	s_cbranch_execnz .LBB363_137
; %bb.94:                               ;   in Loop: Header=BB363_73 Depth=1
	s_or_saveexec_b32 s9, s9
	v_mov_b32_e32 v38, s8
	s_xor_b32 exec_lo, exec_lo, s9
	s_cbranch_execnz .LBB363_140
.LBB363_95:                             ;   in Loop: Header=BB363_73 Depth=1
	s_or_b32 exec_lo, exec_lo, s9
	s_and_saveexec_b32 s8, s0
	s_cbranch_execz .LBB363_97
.LBB363_96:                             ;   in Loop: Header=BB363_73 Depth=1
	v_lshrrev_b16 v41, 2, v34
	v_lshlrev_b32_e32 v42, 24, v34
	s_delay_alu instid0(VALU_DEP_2) | instskip(NEXT) | instid1(VALU_DEP_1)
	v_and_b32_e32 v41, 31, v41
	v_cmp_eq_u32_e32 vcc_lo, 0, v41
	v_and_b32_e32 v38, 3, v34
	s_delay_alu instid0(VALU_DEP_1) | instskip(NEXT) | instid1(VALU_DEP_1)
	v_clz_i32_u32_e32 v39, v38
	v_min_u32_e32 v39, 32, v39
	s_delay_alu instid0(VALU_DEP_1) | instskip(SKIP_1) | instid1(VALU_DEP_1)
	v_subrev_nc_u32_e32 v40, 29, v39
	v_sub_nc_u32_e32 v39, 30, v39
	v_dual_cndmask_b32 v39, v41, v39 :: v_dual_lshlrev_b32 v40, v40, v34
	s_delay_alu instid0(VALU_DEP_1) | instskip(NEXT) | instid1(VALU_DEP_2)
	v_and_b32_e32 v40, 3, v40
	v_lshl_add_u32 v39, v39, 23, 0x37800000
	s_delay_alu instid0(VALU_DEP_2) | instskip(SKIP_1) | instid1(VALU_DEP_2)
	v_cndmask_b32_e32 v38, v38, v40, vcc_lo
	v_and_b32_e32 v40, 0x80000000, v42
	v_lshlrev_b32_e32 v38, 21, v38
	s_delay_alu instid0(VALU_DEP_1)
	v_or3_b32 v38, v40, v39, v38
.LBB363_97:                             ;   in Loop: Header=BB363_73 Depth=1
	s_or_b32 exec_lo, exec_lo, s8
	s_delay_alu instid0(VALU_DEP_1) | instskip(SKIP_1) | instid1(VALU_DEP_1)
	v_and_b32_e32 v40, 0x7fffffff, v38
	s_mov_b32 s0, exec_lo
                                        ; implicit-def: $vgpr39
	v_cmpx_gt_u32_e32 0x43f00000, v40
	s_xor_b32 s0, exec_lo, s0
	s_cbranch_execz .LBB363_103
; %bb.98:                               ;   in Loop: Header=BB363_73 Depth=1
	s_mov_b32 s8, exec_lo
                                        ; implicit-def: $vgpr39
	v_cmpx_lt_u32_e32 0x3c7fffff, v40
	s_xor_b32 s8, exec_lo, s8
; %bb.99:                               ;   in Loop: Header=BB363_73 Depth=1
	v_bfe_u32 v39, v38, 20, 1
	s_delay_alu instid0(VALU_DEP_1) | instskip(NEXT) | instid1(VALU_DEP_1)
	v_add3_u32 v39, v38, v39, 0x407ffff
	v_and_b32_e32 v40, 0xff00000, v39
	v_lshrrev_b32_e32 v39, 20, v39
	s_delay_alu instid0(VALU_DEP_2) | instskip(NEXT) | instid1(VALU_DEP_2)
	v_cmp_ne_u32_e32 vcc_lo, 0x7f00000, v40
	v_cndmask_b32_e32 v39, 0x7e, v39, vcc_lo
; %bb.100:                              ;   in Loop: Header=BB363_73 Depth=1
	s_and_not1_saveexec_b32 s8, s8
; %bb.101:                              ;   in Loop: Header=BB363_73 Depth=1
	v_add_f32_e64 v39, 0x46800000, |v38|
; %bb.102:                              ;   in Loop: Header=BB363_73 Depth=1
	s_or_b32 exec_lo, exec_lo, s8
                                        ; implicit-def: $vgpr40
.LBB363_103:                            ;   in Loop: Header=BB363_73 Depth=1
	s_and_not1_saveexec_b32 s0, s0
; %bb.104:                              ;   in Loop: Header=BB363_73 Depth=1
	v_cmp_lt_u32_e32 vcc_lo, 0x7f800000, v40
	v_cndmask_b32_e32 v39, 0x7e, v31, vcc_lo
; %bb.105:                              ;   in Loop: Header=BB363_73 Depth=1
	s_or_b32 exec_lo, exec_lo, s0
	v_and_b32_e32 v41, 0xff, v33
	s_mov_b32 s0, 0
	s_mov_b32 s9, exec_lo
                                        ; implicit-def: $sgpr8
	s_delay_alu instid0(VALU_DEP_1)
	v_cmpx_lt_i16_e32 0x7f, v41
	s_xor_b32 s9, exec_lo, s9
	s_cbranch_execnz .LBB363_141
; %bb.106:                              ;   in Loop: Header=BB363_73 Depth=1
	s_or_saveexec_b32 s9, s9
	v_mov_b32_e32 v40, s8
	s_xor_b32 exec_lo, exec_lo, s9
	s_cbranch_execnz .LBB363_144
.LBB363_107:                            ;   in Loop: Header=BB363_73 Depth=1
	s_or_b32 exec_lo, exec_lo, s9
	s_and_saveexec_b32 s8, s0
	s_cbranch_execz .LBB363_109
.LBB363_108:                            ;   in Loop: Header=BB363_73 Depth=1
	v_and_b32_e32 v40, 3, v33
	v_lshrrev_b16 v43, 2, v33
	v_lshlrev_b32_e32 v44, 24, v33
	s_delay_alu instid0(VALU_DEP_3) | instskip(NEXT) | instid1(VALU_DEP_1)
	v_clz_i32_u32_e32 v41, v40
	v_min_u32_e32 v41, 32, v41
	s_delay_alu instid0(VALU_DEP_1) | instskip(SKIP_1) | instid1(VALU_DEP_2)
	v_subrev_nc_u32_e32 v42, 29, v41
	v_sub_nc_u32_e32 v41, 30, v41
	v_lshlrev_b32_e32 v42, v42, v33
	s_delay_alu instid0(VALU_DEP_1) | instskip(SKIP_1) | instid1(VALU_DEP_1)
	v_and_b32_e32 v42, 3, v42
	v_and_b32_e32 v43, 31, v43
	v_cmp_eq_u32_e32 vcc_lo, 0, v43
	s_delay_alu instid0(VALU_DEP_3) | instskip(SKIP_1) | instid1(VALU_DEP_2)
	v_dual_cndmask_b32 v40, v40, v42 :: v_dual_cndmask_b32 v41, v43, v41
	v_and_b32_e32 v42, 0x80000000, v44
	v_lshlrev_b32_e32 v40, 21, v40
	s_delay_alu instid0(VALU_DEP_3) | instskip(NEXT) | instid1(VALU_DEP_1)
	v_lshl_add_u32 v41, v41, 23, 0x37800000
	v_or3_b32 v40, v42, v41, v40
.LBB363_109:                            ;   in Loop: Header=BB363_73 Depth=1
	s_or_b32 exec_lo, exec_lo, s8
	s_delay_alu instid0(VALU_DEP_1) | instskip(SKIP_1) | instid1(VALU_DEP_1)
	v_and_b32_e32 v42, 0x7fffffff, v40
	s_mov_b32 s0, exec_lo
                                        ; implicit-def: $vgpr41
	v_cmpx_gt_u32_e32 0x43f00000, v42
	s_xor_b32 s0, exec_lo, s0
	s_cbranch_execz .LBB363_115
; %bb.110:                              ;   in Loop: Header=BB363_73 Depth=1
	s_mov_b32 s8, exec_lo
                                        ; implicit-def: $vgpr41
	v_cmpx_lt_u32_e32 0x3c7fffff, v42
	s_xor_b32 s8, exec_lo, s8
; %bb.111:                              ;   in Loop: Header=BB363_73 Depth=1
	v_bfe_u32 v41, v40, 20, 1
	s_delay_alu instid0(VALU_DEP_1) | instskip(NEXT) | instid1(VALU_DEP_1)
	v_add3_u32 v41, v40, v41, 0x407ffff
	v_and_b32_e32 v42, 0xff00000, v41
	v_lshrrev_b32_e32 v41, 20, v41
	s_delay_alu instid0(VALU_DEP_2) | instskip(NEXT) | instid1(VALU_DEP_2)
	v_cmp_ne_u32_e32 vcc_lo, 0x7f00000, v42
	v_cndmask_b32_e32 v41, 0x7e, v41, vcc_lo
; %bb.112:                              ;   in Loop: Header=BB363_73 Depth=1
	s_and_not1_saveexec_b32 s8, s8
; %bb.113:                              ;   in Loop: Header=BB363_73 Depth=1
	v_add_f32_e64 v41, 0x46800000, |v40|
; %bb.114:                              ;   in Loop: Header=BB363_73 Depth=1
	s_or_b32 exec_lo, exec_lo, s8
                                        ; implicit-def: $vgpr42
.LBB363_115:                            ;   in Loop: Header=BB363_73 Depth=1
	s_and_not1_saveexec_b32 s0, s0
; %bb.116:                              ;   in Loop: Header=BB363_73 Depth=1
	v_cmp_lt_u32_e32 vcc_lo, 0x7f800000, v42
	v_cndmask_b32_e32 v41, 0x7e, v31, vcc_lo
; %bb.117:                              ;   in Loop: Header=BB363_73 Depth=1
	s_or_b32 exec_lo, exec_lo, s0
	v_and_b32_e32 v43, 0xff, v32
	s_mov_b32 s0, 0
	s_mov_b32 s9, exec_lo
                                        ; implicit-def: $sgpr8
	s_delay_alu instid0(VALU_DEP_1)
	v_cmpx_lt_i16_e32 0x7f, v43
	s_xor_b32 s9, exec_lo, s9
	s_cbranch_execnz .LBB363_145
; %bb.118:                              ;   in Loop: Header=BB363_73 Depth=1
	s_or_saveexec_b32 s9, s9
	v_mov_b32_e32 v42, s8
	s_xor_b32 exec_lo, exec_lo, s9
	s_cbranch_execnz .LBB363_148
.LBB363_119:                            ;   in Loop: Header=BB363_73 Depth=1
	s_or_b32 exec_lo, exec_lo, s9
	s_and_saveexec_b32 s8, s0
	s_cbranch_execz .LBB363_121
.LBB363_120:                            ;   in Loop: Header=BB363_73 Depth=1
	v_lshrrev_b16 v45, 2, v32
	v_lshlrev_b32_e32 v46, 24, v32
	s_delay_alu instid0(VALU_DEP_2) | instskip(NEXT) | instid1(VALU_DEP_1)
	v_and_b32_e32 v45, 31, v45
	v_cmp_eq_u32_e32 vcc_lo, 0, v45
	v_and_b32_e32 v42, 3, v32
	s_delay_alu instid0(VALU_DEP_1) | instskip(NEXT) | instid1(VALU_DEP_1)
	v_clz_i32_u32_e32 v43, v42
	v_min_u32_e32 v43, 32, v43
	s_delay_alu instid0(VALU_DEP_1) | instskip(SKIP_1) | instid1(VALU_DEP_1)
	v_subrev_nc_u32_e32 v44, 29, v43
	v_sub_nc_u32_e32 v43, 30, v43
	v_dual_cndmask_b32 v43, v45, v43 :: v_dual_lshlrev_b32 v44, v44, v32
	s_delay_alu instid0(VALU_DEP_1) | instskip(NEXT) | instid1(VALU_DEP_2)
	v_and_b32_e32 v44, 3, v44
	v_lshl_add_u32 v43, v43, 23, 0x37800000
	s_delay_alu instid0(VALU_DEP_2) | instskip(SKIP_1) | instid1(VALU_DEP_2)
	v_cndmask_b32_e32 v42, v42, v44, vcc_lo
	v_and_b32_e32 v44, 0x80000000, v46
	v_lshlrev_b32_e32 v42, 21, v42
	s_delay_alu instid0(VALU_DEP_1)
	v_or3_b32 v42, v44, v43, v42
.LBB363_121:                            ;   in Loop: Header=BB363_73 Depth=1
	s_or_b32 exec_lo, exec_lo, s8
	s_delay_alu instid0(VALU_DEP_1) | instskip(SKIP_1) | instid1(VALU_DEP_1)
	v_and_b32_e32 v44, 0x7fffffff, v42
	s_mov_b32 s0, exec_lo
                                        ; implicit-def: $vgpr43
	v_cmpx_gt_u32_e32 0x43f00000, v44
	s_xor_b32 s0, exec_lo, s0
	s_cbranch_execz .LBB363_127
; %bb.122:                              ;   in Loop: Header=BB363_73 Depth=1
	s_mov_b32 s8, exec_lo
                                        ; implicit-def: $vgpr43
	v_cmpx_lt_u32_e32 0x3c7fffff, v44
	s_xor_b32 s8, exec_lo, s8
; %bb.123:                              ;   in Loop: Header=BB363_73 Depth=1
	v_bfe_u32 v43, v42, 20, 1
	s_delay_alu instid0(VALU_DEP_1) | instskip(NEXT) | instid1(VALU_DEP_1)
	v_add3_u32 v43, v42, v43, 0x407ffff
	v_and_b32_e32 v44, 0xff00000, v43
	v_lshrrev_b32_e32 v43, 20, v43
	s_delay_alu instid0(VALU_DEP_2) | instskip(NEXT) | instid1(VALU_DEP_2)
	v_cmp_ne_u32_e32 vcc_lo, 0x7f00000, v44
	v_cndmask_b32_e32 v43, 0x7e, v43, vcc_lo
; %bb.124:                              ;   in Loop: Header=BB363_73 Depth=1
	s_and_not1_saveexec_b32 s8, s8
; %bb.125:                              ;   in Loop: Header=BB363_73 Depth=1
	v_add_f32_e64 v43, 0x46800000, |v42|
; %bb.126:                              ;   in Loop: Header=BB363_73 Depth=1
	s_or_b32 exec_lo, exec_lo, s8
                                        ; implicit-def: $vgpr44
.LBB363_127:                            ;   in Loop: Header=BB363_73 Depth=1
	s_and_not1_saveexec_b32 s0, s0
; %bb.128:                              ;   in Loop: Header=BB363_73 Depth=1
	v_cmp_lt_u32_e32 vcc_lo, 0x7f800000, v44
	v_cndmask_b32_e32 v43, 0x7e, v31, vcc_lo
; %bb.129:                              ;   in Loop: Header=BB363_73 Depth=1
	s_or_b32 exec_lo, exec_lo, s0
	s_delay_alu instid0(SALU_CYCLE_1)
	s_mov_b32 s0, exec_lo
	v_cmpx_gt_u64_e64 s[2:3], v[1:2]
	s_xor_b32 s0, exec_lo, s0
	s_cbranch_execnz .LBB363_149
; %bb.130:                              ;   in Loop: Header=BB363_73 Depth=1
	s_or_b32 exec_lo, exec_lo, s0
	s_delay_alu instid0(SALU_CYCLE_1)
	s_mov_b32 s0, exec_lo
	v_cmpx_gt_u64_e64 s[2:3], v[3:4]
	s_cbranch_execnz .LBB363_150
.LBB363_131:                            ;   in Loop: Header=BB363_73 Depth=1
	s_or_b32 exec_lo, exec_lo, s0
	s_delay_alu instid0(SALU_CYCLE_1)
	s_mov_b32 s0, exec_lo
	v_cmpx_gt_u64_e64 s[2:3], v[5:6]
	s_cbranch_execnz .LBB363_151
.LBB363_132:                            ;   in Loop: Header=BB363_73 Depth=1
	s_or_b32 exec_lo, exec_lo, s0
	s_delay_alu instid0(SALU_CYCLE_1)
	s_mov_b32 s0, exec_lo
	v_cmpx_gt_u64_e64 s[2:3], v[7:8]
	s_cbranch_execz .LBB363_72
	s_branch .LBB363_152
.LBB363_133:                            ;   in Loop: Header=BB363_73 Depth=1
	s_mov_b32 s0, -1
	s_mov_b32 s10, exec_lo
                                        ; implicit-def: $sgpr8
	v_cmpx_eq_u16_e32 0x80, v37
; %bb.134:                              ;   in Loop: Header=BB363_73 Depth=1
	s_mov_b32 s8, 0x7f800001
	s_xor_b32 s0, exec_lo, -1
; %bb.135:                              ;   in Loop: Header=BB363_73 Depth=1
	s_or_b32 exec_lo, exec_lo, s10
	s_delay_alu instid0(SALU_CYCLE_1)
	s_and_b32 s0, s0, exec_lo
                                        ; implicit-def: $vgpr37
	s_or_saveexec_b32 s9, s9
	v_mov_b32_e32 v36, s8
	s_xor_b32 exec_lo, exec_lo, s9
	s_cbranch_execz .LBB363_83
.LBB363_136:                            ;   in Loop: Header=BB363_73 Depth=1
	v_cmp_ne_u16_e32 vcc_lo, 0, v37
	v_mov_b32_e32 v36, 0
	s_and_not1_b32 s0, s0, exec_lo
	s_and_b32 s8, vcc_lo, exec_lo
	s_delay_alu instid0(SALU_CYCLE_1)
	s_or_b32 s0, s0, s8
	s_or_b32 exec_lo, exec_lo, s9
	s_and_saveexec_b32 s8, s0
	s_cbranch_execnz .LBB363_84
	s_branch .LBB363_85
.LBB363_137:                            ;   in Loop: Header=BB363_73 Depth=1
	s_mov_b32 s0, -1
	s_mov_b32 s10, exec_lo
                                        ; implicit-def: $sgpr8
	v_cmpx_eq_u16_e32 0x80, v39
; %bb.138:                              ;   in Loop: Header=BB363_73 Depth=1
	s_mov_b32 s8, 0x7f800001
	s_xor_b32 s0, exec_lo, -1
; %bb.139:                              ;   in Loop: Header=BB363_73 Depth=1
	s_or_b32 exec_lo, exec_lo, s10
	s_delay_alu instid0(SALU_CYCLE_1)
	s_and_b32 s0, s0, exec_lo
                                        ; implicit-def: $vgpr39
	s_or_saveexec_b32 s9, s9
	v_mov_b32_e32 v38, s8
	s_xor_b32 exec_lo, exec_lo, s9
	s_cbranch_execz .LBB363_95
.LBB363_140:                            ;   in Loop: Header=BB363_73 Depth=1
	v_cmp_ne_u16_e32 vcc_lo, 0, v39
	v_mov_b32_e32 v38, 0
	s_and_not1_b32 s0, s0, exec_lo
	s_and_b32 s8, vcc_lo, exec_lo
	s_delay_alu instid0(SALU_CYCLE_1)
	s_or_b32 s0, s0, s8
	s_or_b32 exec_lo, exec_lo, s9
	s_and_saveexec_b32 s8, s0
	s_cbranch_execnz .LBB363_96
	s_branch .LBB363_97
.LBB363_141:                            ;   in Loop: Header=BB363_73 Depth=1
	s_mov_b32 s0, -1
	s_mov_b32 s10, exec_lo
                                        ; implicit-def: $sgpr8
	v_cmpx_eq_u16_e32 0x80, v41
; %bb.142:                              ;   in Loop: Header=BB363_73 Depth=1
	s_mov_b32 s8, 0x7f800001
	s_xor_b32 s0, exec_lo, -1
; %bb.143:                              ;   in Loop: Header=BB363_73 Depth=1
	s_or_b32 exec_lo, exec_lo, s10
	s_delay_alu instid0(SALU_CYCLE_1)
	s_and_b32 s0, s0, exec_lo
                                        ; implicit-def: $vgpr41
	s_or_saveexec_b32 s9, s9
	v_mov_b32_e32 v40, s8
	s_xor_b32 exec_lo, exec_lo, s9
	s_cbranch_execz .LBB363_107
.LBB363_144:                            ;   in Loop: Header=BB363_73 Depth=1
	v_cmp_ne_u16_e32 vcc_lo, 0, v41
	v_mov_b32_e32 v40, 0
	s_and_not1_b32 s0, s0, exec_lo
	s_and_b32 s8, vcc_lo, exec_lo
	s_delay_alu instid0(SALU_CYCLE_1)
	s_or_b32 s0, s0, s8
	s_or_b32 exec_lo, exec_lo, s9
	s_and_saveexec_b32 s8, s0
	s_cbranch_execnz .LBB363_108
	s_branch .LBB363_109
.LBB363_145:                            ;   in Loop: Header=BB363_73 Depth=1
	s_mov_b32 s0, -1
	s_mov_b32 s10, exec_lo
                                        ; implicit-def: $sgpr8
	v_cmpx_eq_u16_e32 0x80, v43
; %bb.146:                              ;   in Loop: Header=BB363_73 Depth=1
	s_mov_b32 s8, 0x7f800001
	s_xor_b32 s0, exec_lo, -1
; %bb.147:                              ;   in Loop: Header=BB363_73 Depth=1
	s_or_b32 exec_lo, exec_lo, s10
	s_delay_alu instid0(SALU_CYCLE_1)
	s_and_b32 s0, s0, exec_lo
                                        ; implicit-def: $vgpr43
	s_or_saveexec_b32 s9, s9
	v_mov_b32_e32 v42, s8
	s_xor_b32 exec_lo, exec_lo, s9
	s_cbranch_execz .LBB363_119
.LBB363_148:                            ;   in Loop: Header=BB363_73 Depth=1
	v_cmp_ne_u16_e32 vcc_lo, 0, v43
	v_mov_b32_e32 v42, 0
	s_and_not1_b32 s0, s0, exec_lo
	s_and_b32 s8, vcc_lo, exec_lo
	s_delay_alu instid0(SALU_CYCLE_1)
	s_or_b32 s0, s0, s8
	s_or_b32 exec_lo, exec_lo, s9
	s_and_saveexec_b32 s8, s0
	s_cbranch_execnz .LBB363_120
	s_branch .LBB363_121
.LBB363_149:                            ;   in Loop: Header=BB363_73 Depth=1
	v_lshrrev_b32_e32 v1, 24, v36
	s_delay_alu instid0(VALU_DEP_1) | instskip(SKIP_4) | instid1(SALU_CYCLE_1)
	v_and_or_b32 v36, 0x80, v1, v37
	v_add_co_u32 v1, vcc_lo, v11, s6
	v_add_co_ci_u32_e32 v2, vcc_lo, s7, v12, vcc_lo
	global_store_b8 v[1:2], v36, off
	s_or_b32 exec_lo, exec_lo, s0
	s_mov_b32 s0, exec_lo
	v_cmpx_gt_u64_e64 s[2:3], v[3:4]
	s_cbranch_execz .LBB363_131
.LBB363_150:                            ;   in Loop: Header=BB363_73 Depth=1
	v_lshrrev_b32_e32 v1, 24, v38
	s_delay_alu instid0(VALU_DEP_1) | instskip(SKIP_4) | instid1(SALU_CYCLE_1)
	v_and_or_b32 v3, 0x80, v1, v39
	v_add_co_u32 v1, vcc_lo, v27, s6
	v_add_co_ci_u32_e32 v2, vcc_lo, s7, v28, vcc_lo
	global_store_b8 v[1:2], v3, off
	s_or_b32 exec_lo, exec_lo, s0
	s_mov_b32 s0, exec_lo
	v_cmpx_gt_u64_e64 s[2:3], v[5:6]
	s_cbranch_execz .LBB363_132
.LBB363_151:                            ;   in Loop: Header=BB363_73 Depth=1
	v_lshrrev_b32_e32 v1, 24, v40
	s_delay_alu instid0(VALU_DEP_1) | instskip(SKIP_4) | instid1(SALU_CYCLE_1)
	v_and_or_b32 v3, 0x80, v1, v41
	v_add_co_u32 v1, vcc_lo, v21, s6
	v_add_co_ci_u32_e32 v2, vcc_lo, s7, v22, vcc_lo
	global_store_b8 v[1:2], v3, off
	s_or_b32 exec_lo, exec_lo, s0
	s_mov_b32 s0, exec_lo
	v_cmpx_gt_u64_e64 s[2:3], v[7:8]
	s_cbranch_execz .LBB363_72
.LBB363_152:                            ;   in Loop: Header=BB363_73 Depth=1
	v_lshrrev_b32_e32 v1, 24, v42
	s_delay_alu instid0(VALU_DEP_1)
	v_and_or_b32 v3, 0x80, v1, v43
	v_add_co_u32 v1, vcc_lo, v15, s6
	v_add_co_ci_u32_e32 v2, vcc_lo, s7, v16, vcc_lo
	global_store_b8 v[1:2], v3, off
	s_branch .LBB363_72
.LBB363_153:
	s_nop 0
	s_sendmsg sendmsg(MSG_DEALLOC_VGPRS)
	s_endpgm
	.section	.rodata,"a",@progbits
	.p2align	6, 0x0
	.amdhsa_kernel _ZN2at6native12_GLOBAL__N_125multi_tensor_apply_kernelINS1_18TensorListMetadataILi2EEENS1_11CopyFunctorIN3c1013Float8_e4m3fnENS6_15Float8_e5m2fnuzELi2ELi1ELi1EEEJNS0_4CopyIS7_S8_EEEEEvT_T0_DpT1_
		.amdhsa_group_segment_fixed_size 0
		.amdhsa_private_segment_fixed_size 0
		.amdhsa_kernarg_size 3408
		.amdhsa_user_sgpr_count 15
		.amdhsa_user_sgpr_dispatch_ptr 0
		.amdhsa_user_sgpr_queue_ptr 0
		.amdhsa_user_sgpr_kernarg_segment_ptr 1
		.amdhsa_user_sgpr_dispatch_id 0
		.amdhsa_user_sgpr_private_segment_size 0
		.amdhsa_wavefront_size32 1
		.amdhsa_uses_dynamic_stack 0
		.amdhsa_enable_private_segment 0
		.amdhsa_system_sgpr_workgroup_id_x 1
		.amdhsa_system_sgpr_workgroup_id_y 0
		.amdhsa_system_sgpr_workgroup_id_z 0
		.amdhsa_system_sgpr_workgroup_info 0
		.amdhsa_system_vgpr_workitem_id 0
		.amdhsa_next_free_vgpr 47
		.amdhsa_next_free_sgpr 21
		.amdhsa_reserve_vcc 1
		.amdhsa_float_round_mode_32 0
		.amdhsa_float_round_mode_16_64 0
		.amdhsa_float_denorm_mode_32 3
		.amdhsa_float_denorm_mode_16_64 3
		.amdhsa_dx10_clamp 1
		.amdhsa_ieee_mode 1
		.amdhsa_fp16_overflow 0
		.amdhsa_workgroup_processor_mode 1
		.amdhsa_memory_ordered 1
		.amdhsa_forward_progress 0
		.amdhsa_shared_vgpr_count 0
		.amdhsa_exception_fp_ieee_invalid_op 0
		.amdhsa_exception_fp_denorm_src 0
		.amdhsa_exception_fp_ieee_div_zero 0
		.amdhsa_exception_fp_ieee_overflow 0
		.amdhsa_exception_fp_ieee_underflow 0
		.amdhsa_exception_fp_ieee_inexact 0
		.amdhsa_exception_int_div_zero 0
	.end_amdhsa_kernel
	.section	.text._ZN2at6native12_GLOBAL__N_125multi_tensor_apply_kernelINS1_18TensorListMetadataILi2EEENS1_11CopyFunctorIN3c1013Float8_e4m3fnENS6_15Float8_e5m2fnuzELi2ELi1ELi1EEEJNS0_4CopyIS7_S8_EEEEEvT_T0_DpT1_,"axG",@progbits,_ZN2at6native12_GLOBAL__N_125multi_tensor_apply_kernelINS1_18TensorListMetadataILi2EEENS1_11CopyFunctorIN3c1013Float8_e4m3fnENS6_15Float8_e5m2fnuzELi2ELi1ELi1EEEJNS0_4CopyIS7_S8_EEEEEvT_T0_DpT1_,comdat
.Lfunc_end363:
	.size	_ZN2at6native12_GLOBAL__N_125multi_tensor_apply_kernelINS1_18TensorListMetadataILi2EEENS1_11CopyFunctorIN3c1013Float8_e4m3fnENS6_15Float8_e5m2fnuzELi2ELi1ELi1EEEJNS0_4CopyIS7_S8_EEEEEvT_T0_DpT1_, .Lfunc_end363-_ZN2at6native12_GLOBAL__N_125multi_tensor_apply_kernelINS1_18TensorListMetadataILi2EEENS1_11CopyFunctorIN3c1013Float8_e4m3fnENS6_15Float8_e5m2fnuzELi2ELi1ELi1EEEJNS0_4CopyIS7_S8_EEEEEvT_T0_DpT1_
                                        ; -- End function
	.section	.AMDGPU.csdata,"",@progbits
; Kernel info:
; codeLenInByte = 4868
; NumSgprs: 23
; NumVgprs: 47
; ScratchSize: 0
; MemoryBound: 0
; FloatMode: 240
; IeeeMode: 1
; LDSByteSize: 0 bytes/workgroup (compile time only)
; SGPRBlocks: 2
; VGPRBlocks: 5
; NumSGPRsForWavesPerEU: 23
; NumVGPRsForWavesPerEU: 47
; Occupancy: 16
; WaveLimiterHint : 0
; COMPUTE_PGM_RSRC2:SCRATCH_EN: 0
; COMPUTE_PGM_RSRC2:USER_SGPR: 15
; COMPUTE_PGM_RSRC2:TRAP_HANDLER: 0
; COMPUTE_PGM_RSRC2:TGID_X_EN: 1
; COMPUTE_PGM_RSRC2:TGID_Y_EN: 0
; COMPUTE_PGM_RSRC2:TGID_Z_EN: 0
; COMPUTE_PGM_RSRC2:TIDIG_COMP_CNT: 0
	.section	.text._ZN2at6native12_GLOBAL__N_125multi_tensor_apply_kernelINS1_18TensorListMetadataILi2EEENS1_11CopyFunctorIN3c1015Float8_e4m3fnuzEhLi2ELi1ELi1EEEJNS0_4CopyIS7_hEEEEEvT_T0_DpT1_,"axG",@progbits,_ZN2at6native12_GLOBAL__N_125multi_tensor_apply_kernelINS1_18TensorListMetadataILi2EEENS1_11CopyFunctorIN3c1015Float8_e4m3fnuzEhLi2ELi1ELi1EEEJNS0_4CopyIS7_hEEEEEvT_T0_DpT1_,comdat
	.globl	_ZN2at6native12_GLOBAL__N_125multi_tensor_apply_kernelINS1_18TensorListMetadataILi2EEENS1_11CopyFunctorIN3c1015Float8_e4m3fnuzEhLi2ELi1ELi1EEEJNS0_4CopyIS7_hEEEEEvT_T0_DpT1_ ; -- Begin function _ZN2at6native12_GLOBAL__N_125multi_tensor_apply_kernelINS1_18TensorListMetadataILi2EEENS1_11CopyFunctorIN3c1015Float8_e4m3fnuzEhLi2ELi1ELi1EEEJNS0_4CopyIS7_hEEEEEvT_T0_DpT1_
	.p2align	8
	.type	_ZN2at6native12_GLOBAL__N_125multi_tensor_apply_kernelINS1_18TensorListMetadataILi2EEENS1_11CopyFunctorIN3c1015Float8_e4m3fnuzEhLi2ELi1ELi1EEEJNS0_4CopyIS7_hEEEEEvT_T0_DpT1_,@function
_ZN2at6native12_GLOBAL__N_125multi_tensor_apply_kernelINS1_18TensorListMetadataILi2EEENS1_11CopyFunctorIN3c1015Float8_e4m3fnuzEhLi2ELi1ELi1EEEJNS0_4CopyIS7_hEEEEEvT_T0_DpT1_: ; @_ZN2at6native12_GLOBAL__N_125multi_tensor_apply_kernelINS1_18TensorListMetadataILi2EEENS1_11CopyFunctorIN3c1015Float8_e4m3fnuzEhLi2ELi1ELi1EEEJNS0_4CopyIS7_hEEEEEvT_T0_DpT1_
; %bb.0:
	v_mov_b32_e32 v1, s15
	s_add_u32 s2, s0, s15
	s_mul_i32 s4, s15, 3
	s_addc_u32 s3, s1, 0
	s_mul_hi_u32 s5, s15, 3
	global_load_u8 v1, v1, s[0:1] offset:1536
	s_add_u32 s2, s2, s4
	s_addc_u32 s3, s3, s5
	s_load_b32 s2, s[2:3], 0x740
	s_waitcnt vmcnt(0)
	v_readfirstlane_b32 s4, v1
	s_delay_alu instid0(VALU_DEP_1)
	s_lshl_b32 s3, s4, 3
	s_clause 0x2
	s_load_b64 s[6:7], s[0:1], s3 offset:0x0
	s_load_b64 s[8:9], s[0:1], s3 offset:0x200
	;; [unrolled: 1-line block ×3, first 2 shown]
	s_waitcnt lgkmcnt(0)
	s_ashr_i32 s3, s2, 31
	s_delay_alu instid0(SALU_CYCLE_1) | instskip(NEXT) | instid1(SALU_CYCLE_1)
	s_lshl_b64 s[10:11], s[2:3], 16
	s_add_u32 s3, s6, s10
	s_addc_u32 s14, s7, s11
	s_add_u32 s12, s8, s10
	s_addc_u32 s13, s9, s11
	s_delay_alu instid0(SALU_CYCLE_1) | instskip(NEXT) | instid1(SALU_CYCLE_1)
	s_or_b64 s[16:17], s[4:5], s[12:13]
	s_or_b32 s2, s3, s16
	s_delay_alu instid0(SALU_CYCLE_1)
	s_and_b32 s2, s2, 3
	s_sub_u32 s4, s4, s10
	s_subb_u32 s5, s5, s11
	s_cmp_eq_u32 s2, 0
	s_mov_b32 s2, -1
	s_cbranch_scc0 .LBB364_29
; %bb.1:
	v_dual_mov_b32 v2, 0 :: v_dual_lshlrev_b32 v1, 2, v0
	s_mov_b32 s15, exec_lo
	s_delay_alu instid0(VALU_DEP_1)
	v_cmpx_gt_i64_e64 s[4:5], v[1:2]
	s_cbranch_execz .LBB364_28
; %bb.2:
	s_load_b32 s2, s[0:1], 0xc5c
	s_mov_b32 s17, 0
	s_waitcnt lgkmcnt(0)
	s_and_b32 s2, s2, 0xffff
	s_delay_alu instid0(SALU_CYCLE_1)
	s_lshl_b32 s16, s2, 2
	s_branch .LBB364_5
.LBB364_3:                              ;   in Loop: Header=BB364_5 Depth=1
	s_or_b32 exec_lo, exec_lo, s18
.LBB364_4:                              ;   in Loop: Header=BB364_5 Depth=1
	s_delay_alu instid0(SALU_CYCLE_1)
	s_or_b32 exec_lo, exec_lo, s2
	v_add_co_u32 v8, vcc_lo, s12, v1
	v_add_co_ci_u32_e32 v9, vcc_lo, s13, v2, vcc_lo
	v_add_co_u32 v1, vcc_lo, s16, v1
	v_add_co_ci_u32_e32 v2, vcc_lo, 0, v2, vcc_lo
	v_lshlrev_b32_e32 v5, 16, v7
	v_lshlrev_b32_e32 v4, 8, v4
	v_and_b32_e32 v3, 0xff, v3
	s_delay_alu instid0(VALU_DEP_4) | instskip(SKIP_3) | instid1(VALU_DEP_3)
	v_cmp_le_i64_e32 vcc_lo, s[4:5], v[1:2]
	v_cmp_lt_u64_e64 s2, 0xffff, v[1:2]
	v_perm_b32 v5, v6, v5, 0x4020c0c
	v_and_b32_e32 v4, 0xff00, v4
	s_or_b32 s2, vcc_lo, s2
	s_delay_alu instid0(VALU_DEP_1) | instskip(SKIP_1) | instid1(SALU_CYCLE_1)
	v_or3_b32 v3, v5, v4, v3
	s_and_b32 s2, exec_lo, s2
	s_or_b32 s17, s2, s17
	global_store_b32 v[8:9], v3, off
	s_and_not1_b32 exec_lo, exec_lo, s17
	s_cbranch_execz .LBB364_28
.LBB364_5:                              ; =>This Inner Loop Header: Depth=1
	v_add_co_u32 v3, vcc_lo, s3, v1
	v_add_co_ci_u32_e32 v4, vcc_lo, s14, v2, vcc_lo
	s_mov_b32 s2, exec_lo
	global_load_b32 v5, v[3:4], off
	v_dual_mov_b32 v4, 0x80 :: v_dual_mov_b32 v3, 0x80
	s_waitcnt vmcnt(0)
	v_cvt_f32_ubyte0_e32 v6, v5
	s_delay_alu instid0(VALU_DEP_1)
	v_cmpx_gt_u32_e32 0x43800000, v6
	s_cbranch_execz .LBB364_11
; %bb.6:                                ;   in Loop: Header=BB364_5 Depth=1
	s_mov_b32 s18, exec_lo
                                        ; implicit-def: $vgpr3
	v_cmpx_lt_u32_e32 0x3bffffff, v6
	s_xor_b32 s18, exec_lo, s18
; %bb.7:                                ;   in Loop: Header=BB364_5 Depth=1
	v_bfe_u32 v3, v6, 20, 1
	s_delay_alu instid0(VALU_DEP_1) | instskip(NEXT) | instid1(VALU_DEP_1)
	v_add3_u32 v3, v6, v3, 0x487ffff
                                        ; implicit-def: $vgpr6
	v_lshrrev_b32_e32 v3, 20, v3
; %bb.8:                                ;   in Loop: Header=BB364_5 Depth=1
	s_and_not1_saveexec_b32 s18, s18
; %bb.9:                                ;   in Loop: Header=BB364_5 Depth=1
	v_add_f32_e32 v3, 0x46000000, v6
; %bb.10:                               ;   in Loop: Header=BB364_5 Depth=1
	s_or_b32 exec_lo, exec_lo, s18
.LBB364_11:                             ;   in Loop: Header=BB364_5 Depth=1
	s_delay_alu instid0(SALU_CYCLE_1) | instskip(SKIP_2) | instid1(VALU_DEP_1)
	s_or_b32 exec_lo, exec_lo, s2
	v_cvt_f32_ubyte1_e32 v6, v5
	s_mov_b32 s2, exec_lo
	v_cmpx_gt_u32_e32 0x43800000, v6
	s_cbranch_execz .LBB364_17
; %bb.12:                               ;   in Loop: Header=BB364_5 Depth=1
	s_mov_b32 s18, exec_lo
                                        ; implicit-def: $vgpr4
	v_cmpx_lt_u32_e32 0x3bffffff, v6
	s_xor_b32 s18, exec_lo, s18
; %bb.13:                               ;   in Loop: Header=BB364_5 Depth=1
	v_bfe_u32 v4, v6, 20, 1
	s_delay_alu instid0(VALU_DEP_1) | instskip(NEXT) | instid1(VALU_DEP_1)
	v_add3_u32 v4, v6, v4, 0x487ffff
                                        ; implicit-def: $vgpr6
	v_lshrrev_b32_e32 v4, 20, v4
; %bb.14:                               ;   in Loop: Header=BB364_5 Depth=1
	s_and_not1_saveexec_b32 s18, s18
; %bb.15:                               ;   in Loop: Header=BB364_5 Depth=1
	v_add_f32_e32 v4, 0x46000000, v6
	s_delay_alu instid0(VALU_DEP_1)
	v_and_b32_e32 v4, 0xff, v4
; %bb.16:                               ;   in Loop: Header=BB364_5 Depth=1
	s_or_b32 exec_lo, exec_lo, s18
.LBB364_17:                             ;   in Loop: Header=BB364_5 Depth=1
	s_delay_alu instid0(SALU_CYCLE_1) | instskip(SKIP_3) | instid1(VALU_DEP_2)
	s_or_b32 exec_lo, exec_lo, s2
	v_cvt_f32_ubyte2_e32 v8, v5
	v_dual_mov_b32 v6, 0x80 :: v_dual_mov_b32 v7, 0x80
	s_mov_b32 s2, exec_lo
	v_cmpx_gt_u32_e32 0x43800000, v8
	s_cbranch_execz .LBB364_23
; %bb.18:                               ;   in Loop: Header=BB364_5 Depth=1
	s_mov_b32 s18, exec_lo
                                        ; implicit-def: $vgpr7
	v_cmpx_lt_u32_e32 0x3bffffff, v8
	s_xor_b32 s18, exec_lo, s18
; %bb.19:                               ;   in Loop: Header=BB364_5 Depth=1
	v_bfe_u32 v7, v8, 20, 1
	s_delay_alu instid0(VALU_DEP_1) | instskip(NEXT) | instid1(VALU_DEP_1)
	v_add3_u32 v7, v8, v7, 0x487ffff
                                        ; implicit-def: $vgpr8
	v_lshrrev_b32_e32 v7, 20, v7
; %bb.20:                               ;   in Loop: Header=BB364_5 Depth=1
	s_and_not1_saveexec_b32 s18, s18
; %bb.21:                               ;   in Loop: Header=BB364_5 Depth=1
	v_add_f32_e32 v7, 0x46000000, v8
	s_delay_alu instid0(VALU_DEP_1)
	v_and_b32_e32 v7, 0xff, v7
; %bb.22:                               ;   in Loop: Header=BB364_5 Depth=1
	s_or_b32 exec_lo, exec_lo, s18
.LBB364_23:                             ;   in Loop: Header=BB364_5 Depth=1
	s_delay_alu instid0(SALU_CYCLE_1) | instskip(SKIP_2) | instid1(VALU_DEP_1)
	s_or_b32 exec_lo, exec_lo, s2
	v_cvt_f32_ubyte3_e32 v5, v5
	s_mov_b32 s2, exec_lo
	v_cmpx_gt_u32_e32 0x43800000, v5
	s_cbranch_execz .LBB364_4
; %bb.24:                               ;   in Loop: Header=BB364_5 Depth=1
	s_mov_b32 s18, exec_lo
                                        ; implicit-def: $vgpr6
	v_cmpx_lt_u32_e32 0x3bffffff, v5
	s_xor_b32 s18, exec_lo, s18
; %bb.25:                               ;   in Loop: Header=BB364_5 Depth=1
	v_bfe_u32 v6, v5, 20, 1
	s_delay_alu instid0(VALU_DEP_1) | instskip(NEXT) | instid1(VALU_DEP_1)
	v_add3_u32 v5, v5, v6, 0x487ffff
	v_lshrrev_b32_e32 v6, 20, v5
                                        ; implicit-def: $vgpr5
; %bb.26:                               ;   in Loop: Header=BB364_5 Depth=1
	s_and_not1_saveexec_b32 s18, s18
	s_cbranch_execz .LBB364_3
; %bb.27:                               ;   in Loop: Header=BB364_5 Depth=1
	v_add_f32_e32 v6, 0x46000000, v5
	s_branch .LBB364_3
.LBB364_28:
	s_or_b32 exec_lo, exec_lo, s15
	s_mov_b32 s2, 0
.LBB364_29:
	s_delay_alu instid0(SALU_CYCLE_1)
	s_and_not1_b32 vcc_lo, exec_lo, s2
	s_cbranch_vccnz .LBB364_81
; %bb.30:
	v_cmp_lt_i64_e64 s2, s[4:5], 1
	s_delay_alu instid0(VALU_DEP_1)
	s_and_b32 vcc_lo, exec_lo, s2
	s_cbranch_vccnz .LBB364_81
; %bb.31:
	s_load_b32 s0, s[0:1], 0xc5c
	v_add_co_u32 v1, s1, s10, v0
	s_delay_alu instid0(VALU_DEP_1) | instskip(SKIP_1) | instid1(VALU_DEP_3)
	v_add_co_ci_u32_e64 v2, null, s11, 0, s1
	v_cmp_gt_u64_e64 s1, 0x10000, s[4:5]
	v_add_co_u32 v9, vcc_lo, s6, v1
	s_delay_alu instid0(VALU_DEP_3)
	v_add_co_ci_u32_e32 v10, vcc_lo, s7, v2, vcc_lo
	v_add_co_u32 v11, vcc_lo, s8, v1
	v_add_co_ci_u32_e32 v12, vcc_lo, s9, v2, vcc_lo
                                        ; implicit-def: $vgpr31
                                        ; implicit-def: $vgpr32
                                        ; implicit-def: $vgpr33
                                        ; implicit-def: $vgpr34
	s_waitcnt lgkmcnt(0)
	s_and_b32 s0, s0, 0xffff
	s_and_b32 s1, s1, exec_lo
	s_mul_i32 s13, s0, 3
	s_cselect_b32 s3, s5, 0
	s_cselect_b32 s2, s4, 0x10000
	s_lshl_b32 s12, s0, 1
	s_lshl_b32 s1, s0, 2
	s_add_u32 s14, s10, s13
	s_addc_u32 s15, s11, 0
	v_add_co_u32 v3, s14, s14, v0
	s_delay_alu instid0(VALU_DEP_1) | instskip(SKIP_1) | instid1(VALU_DEP_2)
	v_add_co_ci_u32_e64 v4, null, s15, 0, s14
	s_add_u32 s10, s10, s12
	v_add_co_u32 v13, vcc_lo, s6, v3
	s_delay_alu instid0(VALU_DEP_2)
	v_add_co_ci_u32_e32 v14, vcc_lo, s7, v4, vcc_lo
	v_add_co_u32 v15, vcc_lo, s8, v3
	s_addc_u32 s11, s11, 0
	v_add_co_u32 v3, s10, s10, v0
	v_add_co_ci_u32_e32 v16, vcc_lo, s9, v4, vcc_lo
	v_add_co_ci_u32_e64 v4, null, s11, 0, s10
	s_delay_alu instid0(VALU_DEP_3) | instskip(SKIP_1) | instid1(VALU_DEP_3)
	v_add_co_u32 v19, vcc_lo, s6, v3
	v_add_co_u32 v17, s10, s13, v0
	v_add_co_ci_u32_e32 v20, vcc_lo, s7, v4, vcc_lo
	v_add_co_u32 v21, vcc_lo, s8, v3
	v_add_co_ci_u32_e32 v22, vcc_lo, s9, v4, vcc_lo
	v_add_co_u32 v1, vcc_lo, v1, s0
	v_add_co_ci_u32_e32 v2, vcc_lo, 0, v2, vcc_lo
	v_add_co_ci_u32_e64 v18, null, 0, 0, s10
	s_delay_alu instid0(VALU_DEP_3) | instskip(NEXT) | instid1(VALU_DEP_3)
	v_add_co_u32 v25, vcc_lo, s6, v1
	v_add_co_ci_u32_e32 v26, vcc_lo, s7, v2, vcc_lo
	v_add_co_u32 v23, s10, s12, v0
	v_add_co_u32 v27, vcc_lo, s8, v1
	v_add_co_u32 v29, s0, v0, s0
	v_add_co_ci_u32_e64 v24, null, 0, 0, s10
	v_add_co_ci_u32_e32 v28, vcc_lo, s9, v2, vcc_lo
	v_add_co_ci_u32_e64 v30, null, 0, 0, s0
	s_mov_b64 s[6:7], 0
	s_branch .LBB364_33
.LBB364_32:                             ;   in Loop: Header=BB364_33 Depth=1
	s_or_b32 exec_lo, exec_lo, s0
	s_add_u32 s6, s6, s1
	s_addc_u32 s7, s7, 0
	s_delay_alu instid0(SALU_CYCLE_1) | instskip(SKIP_1) | instid1(VALU_DEP_1)
	v_cmp_ge_i64_e64 s0, s[6:7], s[4:5]
	v_cmp_lt_u64_e64 s8, 0xffff, s[6:7]
	s_or_b32 s0, s0, s8
	s_delay_alu instid0(SALU_CYCLE_1)
	s_and_b32 vcc_lo, exec_lo, s0
	s_cbranch_vccnz .LBB364_81
.LBB364_33:                             ; =>This Inner Loop Header: Depth=1
	v_add_co_u32 v1, s0, v0, s6
	s_delay_alu instid0(VALU_DEP_1) | instskip(NEXT) | instid1(VALU_DEP_1)
	v_add_co_ci_u32_e64 v2, null, 0, s7, s0
	v_cmp_gt_i64_e32 vcc_lo, s[4:5], v[1:2]
	v_cmp_gt_u64_e64 s0, 0x10000, v[1:2]
	s_delay_alu instid0(VALU_DEP_1) | instskip(NEXT) | instid1(SALU_CYCLE_1)
	s_and_b32 s8, vcc_lo, s0
	s_and_saveexec_b32 s0, s8
	s_cbranch_execz .LBB364_35
; %bb.34:                               ;   in Loop: Header=BB364_33 Depth=1
	v_add_co_u32 v3, vcc_lo, v9, s6
	v_add_co_ci_u32_e32 v4, vcc_lo, s7, v10, vcc_lo
	global_load_u8 v31, v[3:4], off
.LBB364_35:                             ;   in Loop: Header=BB364_33 Depth=1
	s_or_b32 exec_lo, exec_lo, s0
	v_add_co_u32 v3, vcc_lo, v29, s6
	v_add_co_ci_u32_e32 v4, vcc_lo, s7, v30, vcc_lo
	s_delay_alu instid0(VALU_DEP_1) | instskip(SKIP_1) | instid1(VALU_DEP_1)
	v_cmp_gt_i64_e32 vcc_lo, s[4:5], v[3:4]
	v_cmp_gt_u64_e64 s0, 0x10000, v[3:4]
	s_and_b32 s8, vcc_lo, s0
	s_delay_alu instid0(SALU_CYCLE_1)
	s_and_saveexec_b32 s0, s8
	s_cbranch_execz .LBB364_37
; %bb.36:                               ;   in Loop: Header=BB364_33 Depth=1
	v_add_co_u32 v5, vcc_lo, v25, s6
	v_add_co_ci_u32_e32 v6, vcc_lo, s7, v26, vcc_lo
	global_load_u8 v32, v[5:6], off
.LBB364_37:                             ;   in Loop: Header=BB364_33 Depth=1
	s_or_b32 exec_lo, exec_lo, s0
	v_add_co_u32 v5, vcc_lo, v23, s6
	v_add_co_ci_u32_e32 v6, vcc_lo, s7, v24, vcc_lo
	s_delay_alu instid0(VALU_DEP_1) | instskip(SKIP_1) | instid1(VALU_DEP_1)
	v_cmp_gt_i64_e32 vcc_lo, s[4:5], v[5:6]
	v_cmp_gt_u64_e64 s0, 0x10000, v[5:6]
	s_and_b32 s8, vcc_lo, s0
	s_delay_alu instid0(SALU_CYCLE_1)
	;; [unrolled: 15-line block ×3, first 2 shown]
	s_and_saveexec_b32 s0, s8
	s_cbranch_execz .LBB364_41
; %bb.40:                               ;   in Loop: Header=BB364_33 Depth=1
	v_add_co_u32 v34, vcc_lo, v13, s6
	v_add_co_ci_u32_e32 v35, vcc_lo, s7, v14, vcc_lo
	global_load_u8 v34, v[34:35], off
.LBB364_41:                             ;   in Loop: Header=BB364_33 Depth=1
	s_or_b32 exec_lo, exec_lo, s0
	s_waitcnt vmcnt(0)
	v_cvt_f32_ubyte0_e32 v38, v31
	v_dual_mov_b32 v35, 0x80 :: v_dual_mov_b32 v36, 0x80
	s_mov_b32 s0, exec_lo
	s_delay_alu instid0(VALU_DEP_2)
	v_cmpx_gt_u32_e32 0x43800000, v38
	s_cbranch_execz .LBB364_47
; %bb.42:                               ;   in Loop: Header=BB364_33 Depth=1
	s_mov_b32 s8, 0
	s_mov_b32 s9, exec_lo
                                        ; implicit-def: $vgpr37
	v_cmpx_lt_u32_e32 0x3bffffff, v38
	s_xor_b32 s9, exec_lo, s9
	s_cbranch_execnz .LBB364_73
; %bb.43:                               ;   in Loop: Header=BB364_33 Depth=1
	s_or_saveexec_b32 s9, s9
                                        ; implicit-def: $sgpr10
	s_delay_alu instid0(SALU_CYCLE_1)
	s_xor_b32 exec_lo, exec_lo, s9
	s_cbranch_execnz .LBB364_74
.LBB364_44:                             ;   in Loop: Header=BB364_33 Depth=1
	s_or_b32 exec_lo, exec_lo, s9
	v_mov_b32_e32 v36, s10
	s_and_saveexec_b32 s9, s8
.LBB364_45:                             ;   in Loop: Header=BB364_33 Depth=1
	v_mov_b32_e32 v36, v37
.LBB364_46:                             ;   in Loop: Header=BB364_33 Depth=1
	s_or_b32 exec_lo, exec_lo, s9
.LBB364_47:                             ;   in Loop: Header=BB364_33 Depth=1
	s_delay_alu instid0(SALU_CYCLE_1) | instskip(SKIP_2) | instid1(VALU_DEP_1)
	s_or_b32 exec_lo, exec_lo, s0
	v_cvt_f32_ubyte0_e32 v38, v32
	s_mov_b32 s0, exec_lo
	v_cmpx_gt_u32_e32 0x43800000, v38
	s_cbranch_execz .LBB364_53
; %bb.48:                               ;   in Loop: Header=BB364_33 Depth=1
	s_mov_b32 s8, 0
	s_mov_b32 s9, exec_lo
                                        ; implicit-def: $vgpr37
	v_cmpx_lt_u32_e32 0x3bffffff, v38
	s_xor_b32 s9, exec_lo, s9
	s_cbranch_execnz .LBB364_75
; %bb.49:                               ;   in Loop: Header=BB364_33 Depth=1
	s_or_saveexec_b32 s9, s9
                                        ; implicit-def: $sgpr10
	s_delay_alu instid0(SALU_CYCLE_1)
	s_xor_b32 exec_lo, exec_lo, s9
	s_cbranch_execnz .LBB364_76
.LBB364_50:                             ;   in Loop: Header=BB364_33 Depth=1
	s_or_b32 exec_lo, exec_lo, s9
	v_mov_b32_e32 v35, s10
	s_and_saveexec_b32 s9, s8
.LBB364_51:                             ;   in Loop: Header=BB364_33 Depth=1
	v_mov_b32_e32 v35, v37
.LBB364_52:                             ;   in Loop: Header=BB364_33 Depth=1
	s_or_b32 exec_lo, exec_lo, s9
.LBB364_53:                             ;   in Loop: Header=BB364_33 Depth=1
	s_delay_alu instid0(SALU_CYCLE_1) | instskip(SKIP_3) | instid1(VALU_DEP_2)
	s_or_b32 exec_lo, exec_lo, s0
	v_cvt_f32_ubyte0_e32 v40, v33
	v_dual_mov_b32 v37, 0x80 :: v_dual_mov_b32 v38, 0x80
	s_mov_b32 s0, exec_lo
	v_cmpx_gt_u32_e32 0x43800000, v40
	s_cbranch_execz .LBB364_59
; %bb.54:                               ;   in Loop: Header=BB364_33 Depth=1
	s_mov_b32 s8, 0
	s_mov_b32 s9, exec_lo
                                        ; implicit-def: $vgpr39
	v_cmpx_lt_u32_e32 0x3bffffff, v40
	s_xor_b32 s9, exec_lo, s9
	s_cbranch_execnz .LBB364_77
; %bb.55:                               ;   in Loop: Header=BB364_33 Depth=1
	s_or_saveexec_b32 s9, s9
                                        ; implicit-def: $sgpr10
	s_delay_alu instid0(SALU_CYCLE_1)
	s_xor_b32 exec_lo, exec_lo, s9
	s_cbranch_execnz .LBB364_78
.LBB364_56:                             ;   in Loop: Header=BB364_33 Depth=1
	s_or_b32 exec_lo, exec_lo, s9
	v_mov_b32_e32 v38, s10
	s_and_saveexec_b32 s9, s8
.LBB364_57:                             ;   in Loop: Header=BB364_33 Depth=1
	v_mov_b32_e32 v38, v39
.LBB364_58:                             ;   in Loop: Header=BB364_33 Depth=1
	s_or_b32 exec_lo, exec_lo, s9
.LBB364_59:                             ;   in Loop: Header=BB364_33 Depth=1
	s_delay_alu instid0(SALU_CYCLE_1) | instskip(SKIP_2) | instid1(VALU_DEP_1)
	s_or_b32 exec_lo, exec_lo, s0
	v_cvt_f32_ubyte0_e32 v40, v34
	s_mov_b32 s0, exec_lo
	v_cmpx_gt_u32_e32 0x43800000, v40
	s_cbranch_execz .LBB364_65
; %bb.60:                               ;   in Loop: Header=BB364_33 Depth=1
	s_mov_b32 s8, 0
	s_mov_b32 s9, exec_lo
                                        ; implicit-def: $vgpr39
	v_cmpx_lt_u32_e32 0x3bffffff, v40
	s_xor_b32 s9, exec_lo, s9
	s_cbranch_execnz .LBB364_79
; %bb.61:                               ;   in Loop: Header=BB364_33 Depth=1
	s_or_saveexec_b32 s9, s9
                                        ; implicit-def: $sgpr10
	s_delay_alu instid0(SALU_CYCLE_1)
	s_xor_b32 exec_lo, exec_lo, s9
	s_cbranch_execnz .LBB364_80
.LBB364_62:                             ;   in Loop: Header=BB364_33 Depth=1
	s_or_b32 exec_lo, exec_lo, s9
	v_mov_b32_e32 v37, s10
	s_and_saveexec_b32 s9, s8
.LBB364_63:                             ;   in Loop: Header=BB364_33 Depth=1
	v_mov_b32_e32 v37, v39
.LBB364_64:                             ;   in Loop: Header=BB364_33 Depth=1
	s_or_b32 exec_lo, exec_lo, s9
.LBB364_65:                             ;   in Loop: Header=BB364_33 Depth=1
	s_delay_alu instid0(SALU_CYCLE_1) | instskip(NEXT) | instid1(SALU_CYCLE_1)
	s_or_b32 exec_lo, exec_lo, s0
	s_mov_b32 s0, exec_lo
	v_cmpx_gt_u64_e64 s[2:3], v[1:2]
	s_xor_b32 s0, exec_lo, s0
	s_cbranch_execnz .LBB364_69
; %bb.66:                               ;   in Loop: Header=BB364_33 Depth=1
	s_or_b32 exec_lo, exec_lo, s0
	s_delay_alu instid0(SALU_CYCLE_1)
	s_mov_b32 s0, exec_lo
	v_cmpx_gt_u64_e64 s[2:3], v[3:4]
	s_cbranch_execnz .LBB364_70
.LBB364_67:                             ;   in Loop: Header=BB364_33 Depth=1
	s_or_b32 exec_lo, exec_lo, s0
	s_delay_alu instid0(SALU_CYCLE_1)
	s_mov_b32 s0, exec_lo
	v_cmpx_gt_u64_e64 s[2:3], v[5:6]
	s_cbranch_execnz .LBB364_71
.LBB364_68:                             ;   in Loop: Header=BB364_33 Depth=1
	s_or_b32 exec_lo, exec_lo, s0
	s_delay_alu instid0(SALU_CYCLE_1)
	s_mov_b32 s0, exec_lo
	v_cmpx_gt_u64_e64 s[2:3], v[7:8]
	s_cbranch_execz .LBB364_32
	s_branch .LBB364_72
.LBB364_69:                             ;   in Loop: Header=BB364_33 Depth=1
	v_add_co_u32 v1, vcc_lo, v11, s6
	v_add_co_ci_u32_e32 v2, vcc_lo, s7, v12, vcc_lo
	global_store_b8 v[1:2], v36, off
	s_or_b32 exec_lo, exec_lo, s0
	s_delay_alu instid0(SALU_CYCLE_1)
	s_mov_b32 s0, exec_lo
	v_cmpx_gt_u64_e64 s[2:3], v[3:4]
	s_cbranch_execz .LBB364_67
.LBB364_70:                             ;   in Loop: Header=BB364_33 Depth=1
	v_add_co_u32 v1, vcc_lo, v27, s6
	v_add_co_ci_u32_e32 v2, vcc_lo, s7, v28, vcc_lo
	global_store_b8 v[1:2], v35, off
	s_or_b32 exec_lo, exec_lo, s0
	s_delay_alu instid0(SALU_CYCLE_1)
	s_mov_b32 s0, exec_lo
	v_cmpx_gt_u64_e64 s[2:3], v[5:6]
	s_cbranch_execz .LBB364_68
.LBB364_71:                             ;   in Loop: Header=BB364_33 Depth=1
	v_add_co_u32 v1, vcc_lo, v21, s6
	v_add_co_ci_u32_e32 v2, vcc_lo, s7, v22, vcc_lo
	global_store_b8 v[1:2], v38, off
	s_or_b32 exec_lo, exec_lo, s0
	s_delay_alu instid0(SALU_CYCLE_1)
	s_mov_b32 s0, exec_lo
	v_cmpx_gt_u64_e64 s[2:3], v[7:8]
	s_cbranch_execz .LBB364_32
.LBB364_72:                             ;   in Loop: Header=BB364_33 Depth=1
	v_add_co_u32 v1, vcc_lo, v15, s6
	v_add_co_ci_u32_e32 v2, vcc_lo, s7, v16, vcc_lo
	global_store_b8 v[1:2], v37, off
	s_branch .LBB364_32
.LBB364_73:                             ;   in Loop: Header=BB364_33 Depth=1
	v_bfe_u32 v36, v38, 20, 1
	s_mov_b32 s8, exec_lo
	s_delay_alu instid0(VALU_DEP_1) | instskip(NEXT) | instid1(VALU_DEP_1)
	v_add3_u32 v36, v38, v36, 0x487ffff
                                        ; implicit-def: $vgpr38
	v_lshrrev_b32_e32 v37, 20, v36
	s_or_saveexec_b32 s9, s9
                                        ; implicit-def: $sgpr10
	s_delay_alu instid0(SALU_CYCLE_1)
	s_xor_b32 exec_lo, exec_lo, s9
	s_cbranch_execz .LBB364_44
.LBB364_74:                             ;   in Loop: Header=BB364_33 Depth=1
	v_add_f32_e32 v36, 0x46000000, v38
	s_and_not1_b32 s8, s8, exec_lo
	s_mov_b32 s10, 0
	s_delay_alu instid0(VALU_DEP_1) | instskip(NEXT) | instid1(VALU_DEP_1)
	v_and_b32_e32 v37, 0xff, v36
	v_cmp_ne_u32_e32 vcc_lo, 0, v37
	s_and_b32 s11, vcc_lo, exec_lo
	s_delay_alu instid0(SALU_CYCLE_1)
	s_or_b32 s8, s8, s11
	s_or_b32 exec_lo, exec_lo, s9
	v_mov_b32_e32 v36, s10
	s_and_saveexec_b32 s9, s8
	s_cbranch_execnz .LBB364_45
	s_branch .LBB364_46
.LBB364_75:                             ;   in Loop: Header=BB364_33 Depth=1
	v_bfe_u32 v35, v38, 20, 1
	s_mov_b32 s8, exec_lo
	s_delay_alu instid0(VALU_DEP_1) | instskip(NEXT) | instid1(VALU_DEP_1)
	v_add3_u32 v35, v38, v35, 0x487ffff
                                        ; implicit-def: $vgpr38
	v_lshrrev_b32_e32 v37, 20, v35
	s_or_saveexec_b32 s9, s9
                                        ; implicit-def: $sgpr10
	s_delay_alu instid0(SALU_CYCLE_1)
	s_xor_b32 exec_lo, exec_lo, s9
	s_cbranch_execz .LBB364_50
.LBB364_76:                             ;   in Loop: Header=BB364_33 Depth=1
	v_add_f32_e32 v35, 0x46000000, v38
	s_and_not1_b32 s8, s8, exec_lo
	s_mov_b32 s10, 0
	s_delay_alu instid0(VALU_DEP_1) | instskip(NEXT) | instid1(VALU_DEP_1)
	v_and_b32_e32 v37, 0xff, v35
	v_cmp_ne_u32_e32 vcc_lo, 0, v37
	s_and_b32 s11, vcc_lo, exec_lo
	s_delay_alu instid0(SALU_CYCLE_1)
	s_or_b32 s8, s8, s11
	s_or_b32 exec_lo, exec_lo, s9
	v_mov_b32_e32 v35, s10
	s_and_saveexec_b32 s9, s8
	s_cbranch_execnz .LBB364_51
	s_branch .LBB364_52
.LBB364_77:                             ;   in Loop: Header=BB364_33 Depth=1
	v_bfe_u32 v38, v40, 20, 1
	s_mov_b32 s8, exec_lo
	s_delay_alu instid0(VALU_DEP_1) | instskip(NEXT) | instid1(VALU_DEP_1)
	v_add3_u32 v38, v40, v38, 0x487ffff
                                        ; implicit-def: $vgpr40
	v_lshrrev_b32_e32 v39, 20, v38
	s_or_saveexec_b32 s9, s9
                                        ; implicit-def: $sgpr10
	s_delay_alu instid0(SALU_CYCLE_1)
	s_xor_b32 exec_lo, exec_lo, s9
	s_cbranch_execz .LBB364_56
.LBB364_78:                             ;   in Loop: Header=BB364_33 Depth=1
	v_add_f32_e32 v38, 0x46000000, v40
	s_and_not1_b32 s8, s8, exec_lo
	s_mov_b32 s10, 0
	s_delay_alu instid0(VALU_DEP_1) | instskip(NEXT) | instid1(VALU_DEP_1)
	v_and_b32_e32 v39, 0xff, v38
	v_cmp_ne_u32_e32 vcc_lo, 0, v39
	s_and_b32 s11, vcc_lo, exec_lo
	s_delay_alu instid0(SALU_CYCLE_1)
	s_or_b32 s8, s8, s11
	s_or_b32 exec_lo, exec_lo, s9
	v_mov_b32_e32 v38, s10
	s_and_saveexec_b32 s9, s8
	s_cbranch_execnz .LBB364_57
	s_branch .LBB364_58
.LBB364_79:                             ;   in Loop: Header=BB364_33 Depth=1
	v_bfe_u32 v37, v40, 20, 1
	s_mov_b32 s8, exec_lo
	s_delay_alu instid0(VALU_DEP_1) | instskip(NEXT) | instid1(VALU_DEP_1)
	v_add3_u32 v37, v40, v37, 0x487ffff
                                        ; implicit-def: $vgpr40
	v_lshrrev_b32_e32 v39, 20, v37
	s_or_saveexec_b32 s9, s9
                                        ; implicit-def: $sgpr10
	s_delay_alu instid0(SALU_CYCLE_1)
	s_xor_b32 exec_lo, exec_lo, s9
	s_cbranch_execz .LBB364_62
.LBB364_80:                             ;   in Loop: Header=BB364_33 Depth=1
	v_add_f32_e32 v37, 0x46000000, v40
	s_and_not1_b32 s8, s8, exec_lo
	s_mov_b32 s10, 0
	s_delay_alu instid0(VALU_DEP_1) | instskip(NEXT) | instid1(VALU_DEP_1)
	v_and_b32_e32 v39, 0xff, v37
	v_cmp_ne_u32_e32 vcc_lo, 0, v39
	s_and_b32 s11, vcc_lo, exec_lo
	s_delay_alu instid0(SALU_CYCLE_1)
	s_or_b32 s8, s8, s11
	s_or_b32 exec_lo, exec_lo, s9
	v_mov_b32_e32 v37, s10
	s_and_saveexec_b32 s9, s8
	s_cbranch_execnz .LBB364_63
	s_branch .LBB364_64
.LBB364_81:
	s_nop 0
	s_sendmsg sendmsg(MSG_DEALLOC_VGPRS)
	s_endpgm
	.section	.rodata,"a",@progbits
	.p2align	6, 0x0
	.amdhsa_kernel _ZN2at6native12_GLOBAL__N_125multi_tensor_apply_kernelINS1_18TensorListMetadataILi2EEENS1_11CopyFunctorIN3c1015Float8_e4m3fnuzEhLi2ELi1ELi1EEEJNS0_4CopyIS7_hEEEEEvT_T0_DpT1_
		.amdhsa_group_segment_fixed_size 0
		.amdhsa_private_segment_fixed_size 0
		.amdhsa_kernarg_size 3408
		.amdhsa_user_sgpr_count 15
		.amdhsa_user_sgpr_dispatch_ptr 0
		.amdhsa_user_sgpr_queue_ptr 0
		.amdhsa_user_sgpr_kernarg_segment_ptr 1
		.amdhsa_user_sgpr_dispatch_id 0
		.amdhsa_user_sgpr_private_segment_size 0
		.amdhsa_wavefront_size32 1
		.amdhsa_uses_dynamic_stack 0
		.amdhsa_enable_private_segment 0
		.amdhsa_system_sgpr_workgroup_id_x 1
		.amdhsa_system_sgpr_workgroup_id_y 0
		.amdhsa_system_sgpr_workgroup_id_z 0
		.amdhsa_system_sgpr_workgroup_info 0
		.amdhsa_system_vgpr_workitem_id 0
		.amdhsa_next_free_vgpr 41
		.amdhsa_next_free_sgpr 19
		.amdhsa_reserve_vcc 1
		.amdhsa_float_round_mode_32 0
		.amdhsa_float_round_mode_16_64 0
		.amdhsa_float_denorm_mode_32 3
		.amdhsa_float_denorm_mode_16_64 3
		.amdhsa_dx10_clamp 1
		.amdhsa_ieee_mode 1
		.amdhsa_fp16_overflow 0
		.amdhsa_workgroup_processor_mode 1
		.amdhsa_memory_ordered 1
		.amdhsa_forward_progress 0
		.amdhsa_shared_vgpr_count 0
		.amdhsa_exception_fp_ieee_invalid_op 0
		.amdhsa_exception_fp_denorm_src 0
		.amdhsa_exception_fp_ieee_div_zero 0
		.amdhsa_exception_fp_ieee_overflow 0
		.amdhsa_exception_fp_ieee_underflow 0
		.amdhsa_exception_fp_ieee_inexact 0
		.amdhsa_exception_int_div_zero 0
	.end_amdhsa_kernel
	.section	.text._ZN2at6native12_GLOBAL__N_125multi_tensor_apply_kernelINS1_18TensorListMetadataILi2EEENS1_11CopyFunctorIN3c1015Float8_e4m3fnuzEhLi2ELi1ELi1EEEJNS0_4CopyIS7_hEEEEEvT_T0_DpT1_,"axG",@progbits,_ZN2at6native12_GLOBAL__N_125multi_tensor_apply_kernelINS1_18TensorListMetadataILi2EEENS1_11CopyFunctorIN3c1015Float8_e4m3fnuzEhLi2ELi1ELi1EEEJNS0_4CopyIS7_hEEEEEvT_T0_DpT1_,comdat
.Lfunc_end364:
	.size	_ZN2at6native12_GLOBAL__N_125multi_tensor_apply_kernelINS1_18TensorListMetadataILi2EEENS1_11CopyFunctorIN3c1015Float8_e4m3fnuzEhLi2ELi1ELi1EEEJNS0_4CopyIS7_hEEEEEvT_T0_DpT1_, .Lfunc_end364-_ZN2at6native12_GLOBAL__N_125multi_tensor_apply_kernelINS1_18TensorListMetadataILi2EEENS1_11CopyFunctorIN3c1015Float8_e4m3fnuzEhLi2ELi1ELi1EEEJNS0_4CopyIS7_hEEEEEvT_T0_DpT1_
                                        ; -- End function
	.section	.AMDGPU.csdata,"",@progbits
; Kernel info:
; codeLenInByte = 2572
; NumSgprs: 21
; NumVgprs: 41
; ScratchSize: 0
; MemoryBound: 0
; FloatMode: 240
; IeeeMode: 1
; LDSByteSize: 0 bytes/workgroup (compile time only)
; SGPRBlocks: 2
; VGPRBlocks: 5
; NumSGPRsForWavesPerEU: 21
; NumVGPRsForWavesPerEU: 41
; Occupancy: 16
; WaveLimiterHint : 0
; COMPUTE_PGM_RSRC2:SCRATCH_EN: 0
; COMPUTE_PGM_RSRC2:USER_SGPR: 15
; COMPUTE_PGM_RSRC2:TRAP_HANDLER: 0
; COMPUTE_PGM_RSRC2:TGID_X_EN: 1
; COMPUTE_PGM_RSRC2:TGID_Y_EN: 0
; COMPUTE_PGM_RSRC2:TGID_Z_EN: 0
; COMPUTE_PGM_RSRC2:TIDIG_COMP_CNT: 0
	.section	.text._ZN2at6native12_GLOBAL__N_125multi_tensor_apply_kernelINS1_18TensorListMetadataILi2EEENS1_11CopyFunctorIN3c1015Float8_e4m3fnuzEaLi2ELi1ELi1EEEJNS0_4CopyIS7_aEEEEEvT_T0_DpT1_,"axG",@progbits,_ZN2at6native12_GLOBAL__N_125multi_tensor_apply_kernelINS1_18TensorListMetadataILi2EEENS1_11CopyFunctorIN3c1015Float8_e4m3fnuzEaLi2ELi1ELi1EEEJNS0_4CopyIS7_aEEEEEvT_T0_DpT1_,comdat
	.globl	_ZN2at6native12_GLOBAL__N_125multi_tensor_apply_kernelINS1_18TensorListMetadataILi2EEENS1_11CopyFunctorIN3c1015Float8_e4m3fnuzEaLi2ELi1ELi1EEEJNS0_4CopyIS7_aEEEEEvT_T0_DpT1_ ; -- Begin function _ZN2at6native12_GLOBAL__N_125multi_tensor_apply_kernelINS1_18TensorListMetadataILi2EEENS1_11CopyFunctorIN3c1015Float8_e4m3fnuzEaLi2ELi1ELi1EEEJNS0_4CopyIS7_aEEEEEvT_T0_DpT1_
	.p2align	8
	.type	_ZN2at6native12_GLOBAL__N_125multi_tensor_apply_kernelINS1_18TensorListMetadataILi2EEENS1_11CopyFunctorIN3c1015Float8_e4m3fnuzEaLi2ELi1ELi1EEEJNS0_4CopyIS7_aEEEEEvT_T0_DpT1_,@function
_ZN2at6native12_GLOBAL__N_125multi_tensor_apply_kernelINS1_18TensorListMetadataILi2EEENS1_11CopyFunctorIN3c1015Float8_e4m3fnuzEaLi2ELi1ELi1EEEJNS0_4CopyIS7_aEEEEEvT_T0_DpT1_: ; @_ZN2at6native12_GLOBAL__N_125multi_tensor_apply_kernelINS1_18TensorListMetadataILi2EEENS1_11CopyFunctorIN3c1015Float8_e4m3fnuzEaLi2ELi1ELi1EEEJNS0_4CopyIS7_aEEEEEvT_T0_DpT1_
; %bb.0:
	v_mov_b32_e32 v1, s15
	s_add_u32 s2, s0, s15
	s_mul_i32 s4, s15, 3
	s_addc_u32 s3, s1, 0
	s_mul_hi_u32 s5, s15, 3
	global_load_u8 v1, v1, s[0:1] offset:1536
	s_add_u32 s2, s2, s4
	s_addc_u32 s3, s3, s5
	s_load_b32 s2, s[2:3], 0x740
	s_waitcnt vmcnt(0)
	v_readfirstlane_b32 s4, v1
	s_delay_alu instid0(VALU_DEP_1)
	s_lshl_b32 s3, s4, 3
	s_clause 0x2
	s_load_b64 s[6:7], s[0:1], s3 offset:0x0
	s_load_b64 s[8:9], s[0:1], s3 offset:0x200
	;; [unrolled: 1-line block ×3, first 2 shown]
	s_waitcnt lgkmcnt(0)
	s_ashr_i32 s3, s2, 31
	s_delay_alu instid0(SALU_CYCLE_1) | instskip(NEXT) | instid1(SALU_CYCLE_1)
	s_lshl_b64 s[10:11], s[2:3], 16
	s_add_u32 s3, s6, s10
	s_addc_u32 s14, s7, s11
	s_add_u32 s12, s8, s10
	s_addc_u32 s13, s9, s11
	s_delay_alu instid0(SALU_CYCLE_1) | instskip(NEXT) | instid1(SALU_CYCLE_1)
	s_or_b64 s[16:17], s[4:5], s[12:13]
	s_or_b32 s2, s3, s16
	s_delay_alu instid0(SALU_CYCLE_1)
	s_and_b32 s2, s2, 3
	s_sub_u32 s4, s4, s10
	s_subb_u32 s5, s5, s11
	s_cmp_eq_u32 s2, 0
	s_mov_b32 s2, -1
	s_cbranch_scc0 .LBB365_37
; %bb.1:
	v_dual_mov_b32 v2, 0 :: v_dual_lshlrev_b32 v1, 2, v0
	s_mov_b32 s15, exec_lo
	s_delay_alu instid0(VALU_DEP_1)
	v_cmpx_gt_i64_e64 s[4:5], v[1:2]
	s_cbranch_execz .LBB365_36
; %bb.2:
	s_load_b32 s2, s[0:1], 0xc5c
	s_mov_b32 s17, 0
	s_waitcnt lgkmcnt(0)
	s_and_b32 s2, s2, 0xffff
	s_delay_alu instid0(SALU_CYCLE_1)
	s_lshl_b32 s16, s2, 2
	s_branch .LBB365_5
.LBB365_3:                              ;   in Loop: Header=BB365_5 Depth=1
	s_or_b32 exec_lo, exec_lo, s19
.LBB365_4:                              ;   in Loop: Header=BB365_5 Depth=1
	s_delay_alu instid0(SALU_CYCLE_1)
	s_or_b32 exec_lo, exec_lo, s2
	v_add_co_u32 v8, vcc_lo, s12, v1
	v_add_co_ci_u32_e32 v9, vcc_lo, s13, v2, vcc_lo
	v_add_co_u32 v1, vcc_lo, s16, v1
	v_add_co_ci_u32_e32 v2, vcc_lo, 0, v2, vcc_lo
	v_lshlrev_b32_e32 v5, 16, v7
	v_lshlrev_b32_e32 v4, 8, v4
	v_and_b32_e32 v3, 0xff, v3
	s_delay_alu instid0(VALU_DEP_4) | instskip(SKIP_3) | instid1(VALU_DEP_3)
	v_cmp_le_i64_e32 vcc_lo, s[4:5], v[1:2]
	v_cmp_lt_u64_e64 s2, 0xffff, v[1:2]
	v_perm_b32 v5, v6, v5, 0x4020c0c
	v_and_b32_e32 v4, 0xff00, v4
	s_or_b32 s2, vcc_lo, s2
	s_delay_alu instid0(VALU_DEP_1) | instskip(SKIP_1) | instid1(SALU_CYCLE_1)
	v_or3_b32 v3, v5, v4, v3
	s_and_b32 s2, exec_lo, s2
	s_or_b32 s17, s2, s17
	global_store_b32 v[8:9], v3, off
	s_and_not1_b32 exec_lo, exec_lo, s17
	s_cbranch_execz .LBB365_36
.LBB365_5:                              ; =>This Inner Loop Header: Depth=1
	v_add_co_u32 v3, vcc_lo, s3, v1
	v_add_co_ci_u32_e32 v4, vcc_lo, s14, v2, vcc_lo
	s_mov_b32 s2, exec_lo
	global_load_b32 v5, v[3:4], off
	v_mov_b32_e32 v4, 0x80
	s_waitcnt vmcnt(0)
	v_bfe_i32 v3, v5, 0, 8
	s_delay_alu instid0(VALU_DEP_1) | instskip(NEXT) | instid1(VALU_DEP_1)
	v_bfe_i32 v3, v3, 0, 16
	v_cvt_f32_i32_e32 v6, v3
	v_mov_b32_e32 v3, 0x80
	s_delay_alu instid0(VALU_DEP_2) | instskip(NEXT) | instid1(VALU_DEP_1)
	v_and_b32_e32 v7, 0x7fffffff, v6
	v_cmpx_gt_u32_e32 0x43800000, v7
	s_cbranch_execz .LBB365_11
; %bb.6:                                ;   in Loop: Header=BB365_5 Depth=1
	v_cmp_lt_u32_e32 vcc_lo, 0x3bffffff, v7
	s_mov_b32 s18, 0
                                        ; implicit-def: $vgpr7
	s_and_saveexec_b32 s19, vcc_lo
	s_delay_alu instid0(SALU_CYCLE_1)
	s_xor_b32 s19, exec_lo, s19
	s_cbranch_execnz .LBB365_27
; %bb.7:                                ;   in Loop: Header=BB365_5 Depth=1
	s_or_saveexec_b32 s19, s19
                                        ; implicit-def: $sgpr20
	s_delay_alu instid0(SALU_CYCLE_1)
	s_xor_b32 exec_lo, exec_lo, s19
	s_cbranch_execnz .LBB365_28
.LBB365_8:                              ;   in Loop: Header=BB365_5 Depth=1
	s_or_b32 exec_lo, exec_lo, s19
	v_mov_b32_e32 v3, s20
	s_and_saveexec_b32 s19, s18
.LBB365_9:                              ;   in Loop: Header=BB365_5 Depth=1
	v_lshrrev_b32_e32 v3, 24, v6
	s_delay_alu instid0(VALU_DEP_1)
	v_and_or_b32 v3, 0x80, v3, v7
.LBB365_10:                             ;   in Loop: Header=BB365_5 Depth=1
	s_or_b32 exec_lo, exec_lo, s19
.LBB365_11:                             ;   in Loop: Header=BB365_5 Depth=1
	s_delay_alu instid0(SALU_CYCLE_1) | instskip(SKIP_2) | instid1(VALU_DEP_1)
	s_or_b32 exec_lo, exec_lo, s2
	v_lshrrev_b32_e32 v6, 8, v5
	s_mov_b32 s2, exec_lo
	v_bfe_i32 v6, v6, 0, 8
	s_delay_alu instid0(VALU_DEP_1) | instskip(NEXT) | instid1(VALU_DEP_1)
	v_bfe_i32 v6, v6, 0, 16
	v_cvt_f32_i32_e32 v6, v6
	s_delay_alu instid0(VALU_DEP_1) | instskip(NEXT) | instid1(VALU_DEP_1)
	v_and_b32_e32 v7, 0x7fffffff, v6
	v_cmpx_gt_u32_e32 0x43800000, v7
	s_cbranch_execz .LBB365_17
; %bb.12:                               ;   in Loop: Header=BB365_5 Depth=1
	v_cmp_lt_u32_e32 vcc_lo, 0x3bffffff, v7
	s_mov_b32 s18, 0
                                        ; implicit-def: $vgpr7
	s_and_saveexec_b32 s19, vcc_lo
	s_delay_alu instid0(SALU_CYCLE_1)
	s_xor_b32 s19, exec_lo, s19
	s_cbranch_execnz .LBB365_29
; %bb.13:                               ;   in Loop: Header=BB365_5 Depth=1
	s_or_saveexec_b32 s19, s19
                                        ; implicit-def: $sgpr20
	s_delay_alu instid0(SALU_CYCLE_1)
	s_xor_b32 exec_lo, exec_lo, s19
	s_cbranch_execnz .LBB365_30
.LBB365_14:                             ;   in Loop: Header=BB365_5 Depth=1
	s_or_b32 exec_lo, exec_lo, s19
	v_mov_b32_e32 v4, s20
	s_and_saveexec_b32 s19, s18
.LBB365_15:                             ;   in Loop: Header=BB365_5 Depth=1
	v_lshrrev_b32_e32 v4, 24, v6
	s_delay_alu instid0(VALU_DEP_1)
	v_and_or_b32 v4, 0x80, v4, v7
.LBB365_16:                             ;   in Loop: Header=BB365_5 Depth=1
	s_or_b32 exec_lo, exec_lo, s19
.LBB365_17:                             ;   in Loop: Header=BB365_5 Depth=1
	s_delay_alu instid0(SALU_CYCLE_1) | instskip(SKIP_3) | instid1(VALU_DEP_2)
	s_or_b32 exec_lo, exec_lo, s2
	v_lshrrev_b32_e32 v6, 16, v5
	s_mov_b32 s2, exec_lo
	v_mov_b32_e32 v7, 0x80
	v_bfe_i32 v6, v6, 0, 8
	s_delay_alu instid0(VALU_DEP_1) | instskip(NEXT) | instid1(VALU_DEP_1)
	v_bfe_i32 v6, v6, 0, 16
	v_cvt_f32_i32_e32 v8, v6
	v_mov_b32_e32 v6, 0x80
	s_delay_alu instid0(VALU_DEP_2) | instskip(NEXT) | instid1(VALU_DEP_1)
	v_and_b32_e32 v9, 0x7fffffff, v8
	v_cmpx_gt_u32_e32 0x43800000, v9
	s_cbranch_execz .LBB365_23
; %bb.18:                               ;   in Loop: Header=BB365_5 Depth=1
	v_cmp_lt_u32_e32 vcc_lo, 0x3bffffff, v9
	s_mov_b32 s18, 0
                                        ; implicit-def: $vgpr9
	s_and_saveexec_b32 s19, vcc_lo
	s_delay_alu instid0(SALU_CYCLE_1)
	s_xor_b32 s19, exec_lo, s19
	s_cbranch_execnz .LBB365_31
; %bb.19:                               ;   in Loop: Header=BB365_5 Depth=1
	s_or_saveexec_b32 s19, s19
                                        ; implicit-def: $sgpr20
	s_delay_alu instid0(SALU_CYCLE_1)
	s_xor_b32 exec_lo, exec_lo, s19
	s_cbranch_execnz .LBB365_32
.LBB365_20:                             ;   in Loop: Header=BB365_5 Depth=1
	s_or_b32 exec_lo, exec_lo, s19
	v_mov_b32_e32 v7, s20
	s_and_saveexec_b32 s19, s18
.LBB365_21:                             ;   in Loop: Header=BB365_5 Depth=1
	v_lshrrev_b32_e32 v7, 24, v8
	s_delay_alu instid0(VALU_DEP_1)
	v_and_or_b32 v7, 0x80, v7, v9
.LBB365_22:                             ;   in Loop: Header=BB365_5 Depth=1
	s_or_b32 exec_lo, exec_lo, s19
.LBB365_23:                             ;   in Loop: Header=BB365_5 Depth=1
	s_delay_alu instid0(SALU_CYCLE_1) | instskip(SKIP_2) | instid1(VALU_DEP_1)
	s_or_b32 exec_lo, exec_lo, s2
	v_lshrrev_b32_e32 v5, 24, v5
	s_mov_b32 s2, exec_lo
	v_bfe_i32 v5, v5, 0, 8
	s_delay_alu instid0(VALU_DEP_1) | instskip(NEXT) | instid1(VALU_DEP_1)
	v_bfe_i32 v5, v5, 0, 16
	v_cvt_f32_i32_e32 v5, v5
	s_delay_alu instid0(VALU_DEP_1) | instskip(NEXT) | instid1(VALU_DEP_1)
	v_and_b32_e32 v8, 0x7fffffff, v5
	v_cmpx_gt_u32_e32 0x43800000, v8
	s_cbranch_execz .LBB365_4
; %bb.24:                               ;   in Loop: Header=BB365_5 Depth=1
	v_cmp_lt_u32_e32 vcc_lo, 0x3bffffff, v8
	s_mov_b32 s18, 0
                                        ; implicit-def: $vgpr8
	s_and_saveexec_b32 s19, vcc_lo
	s_delay_alu instid0(SALU_CYCLE_1)
	s_xor_b32 s19, exec_lo, s19
	s_cbranch_execnz .LBB365_33
; %bb.25:                               ;   in Loop: Header=BB365_5 Depth=1
	s_or_saveexec_b32 s19, s19
                                        ; implicit-def: $sgpr20
	s_delay_alu instid0(SALU_CYCLE_1)
	s_xor_b32 exec_lo, exec_lo, s19
	s_cbranch_execnz .LBB365_34
.LBB365_26:                             ;   in Loop: Header=BB365_5 Depth=1
	s_or_b32 exec_lo, exec_lo, s19
	v_mov_b32_e32 v6, s20
	s_and_saveexec_b32 s19, s18
	s_cbranch_execz .LBB365_3
	s_branch .LBB365_35
.LBB365_27:                             ;   in Loop: Header=BB365_5 Depth=1
	v_bfe_u32 v3, v6, 20, 1
	s_mov_b32 s18, exec_lo
	s_delay_alu instid0(VALU_DEP_1) | instskip(NEXT) | instid1(VALU_DEP_1)
	v_add3_u32 v3, v6, v3, 0x487ffff
	v_lshrrev_b32_e32 v7, 20, v3
	s_or_saveexec_b32 s19, s19
                                        ; implicit-def: $sgpr20
	s_delay_alu instid0(SALU_CYCLE_1)
	s_xor_b32 exec_lo, exec_lo, s19
	s_cbranch_execz .LBB365_8
.LBB365_28:                             ;   in Loop: Header=BB365_5 Depth=1
	v_add_f32_e64 v3, 0x46000000, |v6|
	s_and_not1_b32 s18, s18, exec_lo
	s_mov_b32 s20, 0
	s_delay_alu instid0(VALU_DEP_1) | instskip(NEXT) | instid1(VALU_DEP_1)
	v_and_b32_e32 v7, 0xff, v3
	v_cmp_ne_u32_e32 vcc_lo, 0, v7
	s_and_b32 s21, vcc_lo, exec_lo
	s_delay_alu instid0(SALU_CYCLE_1)
	s_or_b32 s18, s18, s21
	s_or_b32 exec_lo, exec_lo, s19
	v_mov_b32_e32 v3, s20
	s_and_saveexec_b32 s19, s18
	s_cbranch_execnz .LBB365_9
	s_branch .LBB365_10
.LBB365_29:                             ;   in Loop: Header=BB365_5 Depth=1
	v_bfe_u32 v4, v6, 20, 1
	s_mov_b32 s18, exec_lo
	s_delay_alu instid0(VALU_DEP_1) | instskip(NEXT) | instid1(VALU_DEP_1)
	v_add3_u32 v4, v6, v4, 0x487ffff
	v_lshrrev_b32_e32 v7, 20, v4
	s_or_saveexec_b32 s19, s19
                                        ; implicit-def: $sgpr20
	s_delay_alu instid0(SALU_CYCLE_1)
	s_xor_b32 exec_lo, exec_lo, s19
	s_cbranch_execz .LBB365_14
.LBB365_30:                             ;   in Loop: Header=BB365_5 Depth=1
	v_add_f32_e64 v4, 0x46000000, |v6|
	s_and_not1_b32 s18, s18, exec_lo
	s_mov_b32 s20, 0
	s_delay_alu instid0(VALU_DEP_1) | instskip(NEXT) | instid1(VALU_DEP_1)
	v_and_b32_e32 v7, 0xff, v4
	v_cmp_ne_u32_e32 vcc_lo, 0, v7
	s_and_b32 s21, vcc_lo, exec_lo
	s_delay_alu instid0(SALU_CYCLE_1)
	s_or_b32 s18, s18, s21
	s_or_b32 exec_lo, exec_lo, s19
	v_mov_b32_e32 v4, s20
	s_and_saveexec_b32 s19, s18
	s_cbranch_execnz .LBB365_15
	s_branch .LBB365_16
.LBB365_31:                             ;   in Loop: Header=BB365_5 Depth=1
	v_bfe_u32 v7, v8, 20, 1
	s_mov_b32 s18, exec_lo
	s_delay_alu instid0(VALU_DEP_1) | instskip(NEXT) | instid1(VALU_DEP_1)
	v_add3_u32 v7, v8, v7, 0x487ffff
	v_lshrrev_b32_e32 v9, 20, v7
	s_or_saveexec_b32 s19, s19
                                        ; implicit-def: $sgpr20
	s_delay_alu instid0(SALU_CYCLE_1)
	s_xor_b32 exec_lo, exec_lo, s19
	s_cbranch_execz .LBB365_20
.LBB365_32:                             ;   in Loop: Header=BB365_5 Depth=1
	v_add_f32_e64 v7, 0x46000000, |v8|
	s_and_not1_b32 s18, s18, exec_lo
	s_mov_b32 s20, 0
	s_delay_alu instid0(VALU_DEP_1) | instskip(NEXT) | instid1(VALU_DEP_1)
	v_and_b32_e32 v9, 0xff, v7
	v_cmp_ne_u32_e32 vcc_lo, 0, v9
	s_and_b32 s21, vcc_lo, exec_lo
	s_delay_alu instid0(SALU_CYCLE_1)
	s_or_b32 s18, s18, s21
	s_or_b32 exec_lo, exec_lo, s19
	v_mov_b32_e32 v7, s20
	s_and_saveexec_b32 s19, s18
	s_cbranch_execnz .LBB365_21
	s_branch .LBB365_22
.LBB365_33:                             ;   in Loop: Header=BB365_5 Depth=1
	v_bfe_u32 v6, v5, 20, 1
	s_mov_b32 s18, exec_lo
	s_delay_alu instid0(VALU_DEP_1) | instskip(NEXT) | instid1(VALU_DEP_1)
	v_add3_u32 v6, v5, v6, 0x487ffff
	v_lshrrev_b32_e32 v8, 20, v6
	s_or_saveexec_b32 s19, s19
                                        ; implicit-def: $sgpr20
	s_delay_alu instid0(SALU_CYCLE_1)
	s_xor_b32 exec_lo, exec_lo, s19
	s_cbranch_execz .LBB365_26
.LBB365_34:                             ;   in Loop: Header=BB365_5 Depth=1
	v_add_f32_e64 v6, 0x46000000, |v5|
	s_and_not1_b32 s18, s18, exec_lo
	s_mov_b32 s20, 0
	s_delay_alu instid0(VALU_DEP_1) | instskip(NEXT) | instid1(VALU_DEP_1)
	v_and_b32_e32 v8, 0xff, v6
	v_cmp_ne_u32_e32 vcc_lo, 0, v8
	s_and_b32 s21, vcc_lo, exec_lo
	s_delay_alu instid0(SALU_CYCLE_1)
	s_or_b32 s18, s18, s21
	s_or_b32 exec_lo, exec_lo, s19
	v_mov_b32_e32 v6, s20
	s_and_saveexec_b32 s19, s18
	s_cbranch_execz .LBB365_3
.LBB365_35:                             ;   in Loop: Header=BB365_5 Depth=1
	v_lshrrev_b32_e32 v5, 24, v5
	s_delay_alu instid0(VALU_DEP_1)
	v_and_or_b32 v6, 0x80, v5, v8
	s_branch .LBB365_3
.LBB365_36:
	s_or_b32 exec_lo, exec_lo, s15
	s_mov_b32 s2, 0
.LBB365_37:
	s_delay_alu instid0(SALU_CYCLE_1)
	s_and_not1_b32 vcc_lo, exec_lo, s2
	s_cbranch_vccnz .LBB365_89
; %bb.38:
	v_cmp_lt_i64_e64 s2, s[4:5], 1
	s_delay_alu instid0(VALU_DEP_1)
	s_and_b32 vcc_lo, exec_lo, s2
	s_cbranch_vccnz .LBB365_89
; %bb.39:
	s_load_b32 s0, s[0:1], 0xc5c
	v_add_co_u32 v1, s1, s10, v0
	s_delay_alu instid0(VALU_DEP_1) | instskip(SKIP_1) | instid1(VALU_DEP_3)
	v_add_co_ci_u32_e64 v2, null, s11, 0, s1
	v_cmp_gt_u64_e64 s1, 0x10000, s[4:5]
	v_add_co_u32 v9, vcc_lo, s6, v1
	s_delay_alu instid0(VALU_DEP_3)
	v_add_co_ci_u32_e32 v10, vcc_lo, s7, v2, vcc_lo
	v_add_co_u32 v11, vcc_lo, s8, v1
	v_add_co_ci_u32_e32 v12, vcc_lo, s9, v2, vcc_lo
                                        ; implicit-def: $vgpr31
                                        ; implicit-def: $vgpr32
                                        ; implicit-def: $vgpr33
                                        ; implicit-def: $vgpr34
	s_waitcnt lgkmcnt(0)
	s_and_b32 s0, s0, 0xffff
	s_and_b32 s1, s1, exec_lo
	s_mul_i32 s13, s0, 3
	s_cselect_b32 s3, s5, 0
	s_cselect_b32 s2, s4, 0x10000
	s_lshl_b32 s12, s0, 1
	s_lshl_b32 s1, s0, 2
	s_add_u32 s14, s10, s13
	s_addc_u32 s15, s11, 0
	v_add_co_u32 v3, s14, s14, v0
	s_delay_alu instid0(VALU_DEP_1) | instskip(SKIP_1) | instid1(VALU_DEP_2)
	v_add_co_ci_u32_e64 v4, null, s15, 0, s14
	s_add_u32 s10, s10, s12
	v_add_co_u32 v13, vcc_lo, s6, v3
	s_delay_alu instid0(VALU_DEP_2)
	v_add_co_ci_u32_e32 v14, vcc_lo, s7, v4, vcc_lo
	v_add_co_u32 v15, vcc_lo, s8, v3
	s_addc_u32 s11, s11, 0
	v_add_co_u32 v3, s10, s10, v0
	v_add_co_ci_u32_e32 v16, vcc_lo, s9, v4, vcc_lo
	v_add_co_ci_u32_e64 v4, null, s11, 0, s10
	s_delay_alu instid0(VALU_DEP_3) | instskip(SKIP_1) | instid1(VALU_DEP_3)
	v_add_co_u32 v19, vcc_lo, s6, v3
	v_add_co_u32 v17, s10, s13, v0
	v_add_co_ci_u32_e32 v20, vcc_lo, s7, v4, vcc_lo
	v_add_co_u32 v21, vcc_lo, s8, v3
	v_add_co_ci_u32_e32 v22, vcc_lo, s9, v4, vcc_lo
	v_add_co_u32 v1, vcc_lo, v1, s0
	v_add_co_ci_u32_e32 v2, vcc_lo, 0, v2, vcc_lo
	v_add_co_ci_u32_e64 v18, null, 0, 0, s10
	s_delay_alu instid0(VALU_DEP_3) | instskip(NEXT) | instid1(VALU_DEP_3)
	v_add_co_u32 v25, vcc_lo, s6, v1
	v_add_co_ci_u32_e32 v26, vcc_lo, s7, v2, vcc_lo
	v_add_co_u32 v23, s10, s12, v0
	v_add_co_u32 v27, vcc_lo, s8, v1
	v_add_co_u32 v29, s0, v0, s0
	v_add_co_ci_u32_e64 v24, null, 0, 0, s10
	v_add_co_ci_u32_e32 v28, vcc_lo, s9, v2, vcc_lo
	v_add_co_ci_u32_e64 v30, null, 0, 0, s0
	s_mov_b64 s[6:7], 0
	s_branch .LBB365_41
.LBB365_40:                             ;   in Loop: Header=BB365_41 Depth=1
	s_or_b32 exec_lo, exec_lo, s0
	s_add_u32 s6, s6, s1
	s_addc_u32 s7, s7, 0
	s_delay_alu instid0(SALU_CYCLE_1) | instskip(SKIP_1) | instid1(VALU_DEP_1)
	v_cmp_ge_i64_e64 s0, s[6:7], s[4:5]
	v_cmp_lt_u64_e64 s8, 0xffff, s[6:7]
	s_or_b32 s0, s0, s8
	s_delay_alu instid0(SALU_CYCLE_1)
	s_and_b32 vcc_lo, exec_lo, s0
	s_cbranch_vccnz .LBB365_89
.LBB365_41:                             ; =>This Inner Loop Header: Depth=1
	v_add_co_u32 v1, s0, v0, s6
	s_delay_alu instid0(VALU_DEP_1) | instskip(NEXT) | instid1(VALU_DEP_1)
	v_add_co_ci_u32_e64 v2, null, 0, s7, s0
	v_cmp_gt_i64_e32 vcc_lo, s[4:5], v[1:2]
	v_cmp_gt_u64_e64 s0, 0x10000, v[1:2]
	s_delay_alu instid0(VALU_DEP_1) | instskip(NEXT) | instid1(SALU_CYCLE_1)
	s_and_b32 s8, vcc_lo, s0
	s_and_saveexec_b32 s0, s8
	s_cbranch_execz .LBB365_43
; %bb.42:                               ;   in Loop: Header=BB365_41 Depth=1
	v_add_co_u32 v3, vcc_lo, v9, s6
	v_add_co_ci_u32_e32 v4, vcc_lo, s7, v10, vcc_lo
	global_load_u8 v31, v[3:4], off
.LBB365_43:                             ;   in Loop: Header=BB365_41 Depth=1
	s_or_b32 exec_lo, exec_lo, s0
	v_add_co_u32 v3, vcc_lo, v29, s6
	v_add_co_ci_u32_e32 v4, vcc_lo, s7, v30, vcc_lo
	s_delay_alu instid0(VALU_DEP_1) | instskip(SKIP_1) | instid1(VALU_DEP_1)
	v_cmp_gt_i64_e32 vcc_lo, s[4:5], v[3:4]
	v_cmp_gt_u64_e64 s0, 0x10000, v[3:4]
	s_and_b32 s8, vcc_lo, s0
	s_delay_alu instid0(SALU_CYCLE_1)
	s_and_saveexec_b32 s0, s8
	s_cbranch_execz .LBB365_45
; %bb.44:                               ;   in Loop: Header=BB365_41 Depth=1
	v_add_co_u32 v5, vcc_lo, v25, s6
	v_add_co_ci_u32_e32 v6, vcc_lo, s7, v26, vcc_lo
	global_load_u8 v32, v[5:6], off
.LBB365_45:                             ;   in Loop: Header=BB365_41 Depth=1
	s_or_b32 exec_lo, exec_lo, s0
	v_add_co_u32 v5, vcc_lo, v23, s6
	v_add_co_ci_u32_e32 v6, vcc_lo, s7, v24, vcc_lo
	s_delay_alu instid0(VALU_DEP_1) | instskip(SKIP_1) | instid1(VALU_DEP_1)
	v_cmp_gt_i64_e32 vcc_lo, s[4:5], v[5:6]
	v_cmp_gt_u64_e64 s0, 0x10000, v[5:6]
	s_and_b32 s8, vcc_lo, s0
	s_delay_alu instid0(SALU_CYCLE_1)
	;; [unrolled: 15-line block ×3, first 2 shown]
	s_and_saveexec_b32 s0, s8
	s_cbranch_execz .LBB365_49
; %bb.48:                               ;   in Loop: Header=BB365_41 Depth=1
	v_add_co_u32 v34, vcc_lo, v13, s6
	v_add_co_ci_u32_e32 v35, vcc_lo, s7, v14, vcc_lo
	global_load_u8 v34, v[34:35], off
.LBB365_49:                             ;   in Loop: Header=BB365_41 Depth=1
	s_or_b32 exec_lo, exec_lo, s0
	s_waitcnt vmcnt(0)
	v_bfe_i32 v35, v31, 0, 8
	s_mov_b32 s0, exec_lo
	v_mov_b32_e32 v36, 0x80
	s_delay_alu instid0(VALU_DEP_2) | instskip(NEXT) | instid1(VALU_DEP_1)
	v_bfe_i32 v35, v35, 0, 16
	v_cvt_f32_i32_e32 v37, v35
	v_mov_b32_e32 v35, 0x80
	s_delay_alu instid0(VALU_DEP_2) | instskip(NEXT) | instid1(VALU_DEP_1)
	v_and_b32_e32 v38, 0x7fffffff, v37
	v_cmpx_gt_u32_e32 0x43800000, v38
	s_cbranch_execz .LBB365_55
; %bb.50:                               ;   in Loop: Header=BB365_41 Depth=1
	v_cmp_lt_u32_e32 vcc_lo, 0x3bffffff, v38
	s_mov_b32 s8, 0
                                        ; implicit-def: $vgpr38
	s_and_saveexec_b32 s9, vcc_lo
	s_delay_alu instid0(SALU_CYCLE_1)
	s_xor_b32 s9, exec_lo, s9
	s_cbranch_execnz .LBB365_81
; %bb.51:                               ;   in Loop: Header=BB365_41 Depth=1
	s_or_saveexec_b32 s9, s9
                                        ; implicit-def: $sgpr10
	s_delay_alu instid0(SALU_CYCLE_1)
	s_xor_b32 exec_lo, exec_lo, s9
	s_cbranch_execnz .LBB365_82
.LBB365_52:                             ;   in Loop: Header=BB365_41 Depth=1
	s_or_b32 exec_lo, exec_lo, s9
	v_mov_b32_e32 v36, s10
	s_and_saveexec_b32 s9, s8
.LBB365_53:                             ;   in Loop: Header=BB365_41 Depth=1
	v_lshrrev_b32_e32 v36, 24, v37
	s_delay_alu instid0(VALU_DEP_1)
	v_and_or_b32 v36, 0x80, v36, v38
.LBB365_54:                             ;   in Loop: Header=BB365_41 Depth=1
	s_or_b32 exec_lo, exec_lo, s9
.LBB365_55:                             ;   in Loop: Header=BB365_41 Depth=1
	s_delay_alu instid0(SALU_CYCLE_1) | instskip(SKIP_2) | instid1(VALU_DEP_1)
	s_or_b32 exec_lo, exec_lo, s0
	v_bfe_i32 v37, v32, 0, 8
	s_mov_b32 s0, exec_lo
	v_bfe_i32 v37, v37, 0, 16
	s_delay_alu instid0(VALU_DEP_1) | instskip(NEXT) | instid1(VALU_DEP_1)
	v_cvt_f32_i32_e32 v37, v37
	v_and_b32_e32 v38, 0x7fffffff, v37
	s_delay_alu instid0(VALU_DEP_1)
	v_cmpx_gt_u32_e32 0x43800000, v38
	s_cbranch_execz .LBB365_61
; %bb.56:                               ;   in Loop: Header=BB365_41 Depth=1
	v_cmp_lt_u32_e32 vcc_lo, 0x3bffffff, v38
	s_mov_b32 s8, 0
                                        ; implicit-def: $vgpr38
	s_and_saveexec_b32 s9, vcc_lo
	s_delay_alu instid0(SALU_CYCLE_1)
	s_xor_b32 s9, exec_lo, s9
	s_cbranch_execnz .LBB365_83
; %bb.57:                               ;   in Loop: Header=BB365_41 Depth=1
	s_or_saveexec_b32 s9, s9
                                        ; implicit-def: $sgpr10
	s_delay_alu instid0(SALU_CYCLE_1)
	s_xor_b32 exec_lo, exec_lo, s9
	s_cbranch_execnz .LBB365_84
.LBB365_58:                             ;   in Loop: Header=BB365_41 Depth=1
	s_or_b32 exec_lo, exec_lo, s9
	v_mov_b32_e32 v35, s10
	s_and_saveexec_b32 s9, s8
.LBB365_59:                             ;   in Loop: Header=BB365_41 Depth=1
	v_lshrrev_b32_e32 v35, 24, v37
	s_delay_alu instid0(VALU_DEP_1)
	v_and_or_b32 v35, 0x80, v35, v38
.LBB365_60:                             ;   in Loop: Header=BB365_41 Depth=1
	s_or_b32 exec_lo, exec_lo, s9
.LBB365_61:                             ;   in Loop: Header=BB365_41 Depth=1
	s_delay_alu instid0(SALU_CYCLE_1) | instskip(SKIP_3) | instid1(VALU_DEP_2)
	s_or_b32 exec_lo, exec_lo, s0
	v_bfe_i32 v37, v33, 0, 8
	s_mov_b32 s0, exec_lo
	v_mov_b32_e32 v38, 0x80
	v_bfe_i32 v37, v37, 0, 16
	s_delay_alu instid0(VALU_DEP_1) | instskip(SKIP_1) | instid1(VALU_DEP_2)
	v_cvt_f32_i32_e32 v39, v37
	v_mov_b32_e32 v37, 0x80
	v_and_b32_e32 v40, 0x7fffffff, v39
	s_delay_alu instid0(VALU_DEP_1)
	v_cmpx_gt_u32_e32 0x43800000, v40
	s_cbranch_execz .LBB365_67
; %bb.62:                               ;   in Loop: Header=BB365_41 Depth=1
	v_cmp_lt_u32_e32 vcc_lo, 0x3bffffff, v40
	s_mov_b32 s8, 0
                                        ; implicit-def: $vgpr40
	s_and_saveexec_b32 s9, vcc_lo
	s_delay_alu instid0(SALU_CYCLE_1)
	s_xor_b32 s9, exec_lo, s9
	s_cbranch_execnz .LBB365_85
; %bb.63:                               ;   in Loop: Header=BB365_41 Depth=1
	s_or_saveexec_b32 s9, s9
                                        ; implicit-def: $sgpr10
	s_delay_alu instid0(SALU_CYCLE_1)
	s_xor_b32 exec_lo, exec_lo, s9
	s_cbranch_execnz .LBB365_86
.LBB365_64:                             ;   in Loop: Header=BB365_41 Depth=1
	s_or_b32 exec_lo, exec_lo, s9
	v_mov_b32_e32 v38, s10
	s_and_saveexec_b32 s9, s8
.LBB365_65:                             ;   in Loop: Header=BB365_41 Depth=1
	v_lshrrev_b32_e32 v38, 24, v39
	s_delay_alu instid0(VALU_DEP_1)
	v_and_or_b32 v38, 0x80, v38, v40
.LBB365_66:                             ;   in Loop: Header=BB365_41 Depth=1
	s_or_b32 exec_lo, exec_lo, s9
.LBB365_67:                             ;   in Loop: Header=BB365_41 Depth=1
	s_delay_alu instid0(SALU_CYCLE_1) | instskip(SKIP_2) | instid1(VALU_DEP_1)
	s_or_b32 exec_lo, exec_lo, s0
	v_bfe_i32 v39, v34, 0, 8
	s_mov_b32 s0, exec_lo
	v_bfe_i32 v39, v39, 0, 16
	s_delay_alu instid0(VALU_DEP_1) | instskip(NEXT) | instid1(VALU_DEP_1)
	v_cvt_f32_i32_e32 v39, v39
	v_and_b32_e32 v40, 0x7fffffff, v39
	s_delay_alu instid0(VALU_DEP_1)
	v_cmpx_gt_u32_e32 0x43800000, v40
	s_cbranch_execz .LBB365_73
; %bb.68:                               ;   in Loop: Header=BB365_41 Depth=1
	v_cmp_lt_u32_e32 vcc_lo, 0x3bffffff, v40
	s_mov_b32 s8, 0
                                        ; implicit-def: $vgpr40
	s_and_saveexec_b32 s9, vcc_lo
	s_delay_alu instid0(SALU_CYCLE_1)
	s_xor_b32 s9, exec_lo, s9
	s_cbranch_execnz .LBB365_87
; %bb.69:                               ;   in Loop: Header=BB365_41 Depth=1
	s_or_saveexec_b32 s9, s9
                                        ; implicit-def: $sgpr10
	s_delay_alu instid0(SALU_CYCLE_1)
	s_xor_b32 exec_lo, exec_lo, s9
	s_cbranch_execnz .LBB365_88
.LBB365_70:                             ;   in Loop: Header=BB365_41 Depth=1
	s_or_b32 exec_lo, exec_lo, s9
	v_mov_b32_e32 v37, s10
	s_and_saveexec_b32 s9, s8
.LBB365_71:                             ;   in Loop: Header=BB365_41 Depth=1
	v_lshrrev_b32_e32 v37, 24, v39
	s_delay_alu instid0(VALU_DEP_1)
	v_and_or_b32 v37, 0x80, v37, v40
.LBB365_72:                             ;   in Loop: Header=BB365_41 Depth=1
	s_or_b32 exec_lo, exec_lo, s9
.LBB365_73:                             ;   in Loop: Header=BB365_41 Depth=1
	s_delay_alu instid0(SALU_CYCLE_1) | instskip(NEXT) | instid1(SALU_CYCLE_1)
	s_or_b32 exec_lo, exec_lo, s0
	s_mov_b32 s0, exec_lo
	v_cmpx_gt_u64_e64 s[2:3], v[1:2]
	s_xor_b32 s0, exec_lo, s0
	s_cbranch_execnz .LBB365_77
; %bb.74:                               ;   in Loop: Header=BB365_41 Depth=1
	s_or_b32 exec_lo, exec_lo, s0
	s_delay_alu instid0(SALU_CYCLE_1)
	s_mov_b32 s0, exec_lo
	v_cmpx_gt_u64_e64 s[2:3], v[3:4]
	s_cbranch_execnz .LBB365_78
.LBB365_75:                             ;   in Loop: Header=BB365_41 Depth=1
	s_or_b32 exec_lo, exec_lo, s0
	s_delay_alu instid0(SALU_CYCLE_1)
	s_mov_b32 s0, exec_lo
	v_cmpx_gt_u64_e64 s[2:3], v[5:6]
	s_cbranch_execnz .LBB365_79
.LBB365_76:                             ;   in Loop: Header=BB365_41 Depth=1
	s_or_b32 exec_lo, exec_lo, s0
	s_delay_alu instid0(SALU_CYCLE_1)
	s_mov_b32 s0, exec_lo
	v_cmpx_gt_u64_e64 s[2:3], v[7:8]
	s_cbranch_execz .LBB365_40
	s_branch .LBB365_80
.LBB365_77:                             ;   in Loop: Header=BB365_41 Depth=1
	v_add_co_u32 v1, vcc_lo, v11, s6
	v_add_co_ci_u32_e32 v2, vcc_lo, s7, v12, vcc_lo
	global_store_b8 v[1:2], v36, off
	s_or_b32 exec_lo, exec_lo, s0
	s_delay_alu instid0(SALU_CYCLE_1)
	s_mov_b32 s0, exec_lo
	v_cmpx_gt_u64_e64 s[2:3], v[3:4]
	s_cbranch_execz .LBB365_75
.LBB365_78:                             ;   in Loop: Header=BB365_41 Depth=1
	v_add_co_u32 v1, vcc_lo, v27, s6
	v_add_co_ci_u32_e32 v2, vcc_lo, s7, v28, vcc_lo
	global_store_b8 v[1:2], v35, off
	s_or_b32 exec_lo, exec_lo, s0
	s_delay_alu instid0(SALU_CYCLE_1)
	s_mov_b32 s0, exec_lo
	v_cmpx_gt_u64_e64 s[2:3], v[5:6]
	s_cbranch_execz .LBB365_76
.LBB365_79:                             ;   in Loop: Header=BB365_41 Depth=1
	v_add_co_u32 v1, vcc_lo, v21, s6
	v_add_co_ci_u32_e32 v2, vcc_lo, s7, v22, vcc_lo
	global_store_b8 v[1:2], v38, off
	s_or_b32 exec_lo, exec_lo, s0
	s_delay_alu instid0(SALU_CYCLE_1)
	s_mov_b32 s0, exec_lo
	v_cmpx_gt_u64_e64 s[2:3], v[7:8]
	s_cbranch_execz .LBB365_40
.LBB365_80:                             ;   in Loop: Header=BB365_41 Depth=1
	v_add_co_u32 v1, vcc_lo, v15, s6
	v_add_co_ci_u32_e32 v2, vcc_lo, s7, v16, vcc_lo
	global_store_b8 v[1:2], v37, off
	s_branch .LBB365_40
.LBB365_81:                             ;   in Loop: Header=BB365_41 Depth=1
	v_bfe_u32 v36, v37, 20, 1
	s_mov_b32 s8, exec_lo
	s_delay_alu instid0(VALU_DEP_1) | instskip(NEXT) | instid1(VALU_DEP_1)
	v_add3_u32 v36, v37, v36, 0x487ffff
	v_lshrrev_b32_e32 v38, 20, v36
	s_or_saveexec_b32 s9, s9
                                        ; implicit-def: $sgpr10
	s_delay_alu instid0(SALU_CYCLE_1)
	s_xor_b32 exec_lo, exec_lo, s9
	s_cbranch_execz .LBB365_52
.LBB365_82:                             ;   in Loop: Header=BB365_41 Depth=1
	v_add_f32_e64 v36, 0x46000000, |v37|
	s_and_not1_b32 s8, s8, exec_lo
	s_mov_b32 s10, 0
	s_delay_alu instid0(VALU_DEP_1) | instskip(NEXT) | instid1(VALU_DEP_1)
	v_and_b32_e32 v38, 0xff, v36
	v_cmp_ne_u32_e32 vcc_lo, 0, v38
	s_and_b32 s11, vcc_lo, exec_lo
	s_delay_alu instid0(SALU_CYCLE_1)
	s_or_b32 s8, s8, s11
	s_or_b32 exec_lo, exec_lo, s9
	v_mov_b32_e32 v36, s10
	s_and_saveexec_b32 s9, s8
	s_cbranch_execnz .LBB365_53
	s_branch .LBB365_54
.LBB365_83:                             ;   in Loop: Header=BB365_41 Depth=1
	v_bfe_u32 v35, v37, 20, 1
	s_mov_b32 s8, exec_lo
	s_delay_alu instid0(VALU_DEP_1) | instskip(NEXT) | instid1(VALU_DEP_1)
	v_add3_u32 v35, v37, v35, 0x487ffff
	v_lshrrev_b32_e32 v38, 20, v35
	s_or_saveexec_b32 s9, s9
                                        ; implicit-def: $sgpr10
	s_delay_alu instid0(SALU_CYCLE_1)
	s_xor_b32 exec_lo, exec_lo, s9
	s_cbranch_execz .LBB365_58
.LBB365_84:                             ;   in Loop: Header=BB365_41 Depth=1
	v_add_f32_e64 v35, 0x46000000, |v37|
	s_and_not1_b32 s8, s8, exec_lo
	s_mov_b32 s10, 0
	s_delay_alu instid0(VALU_DEP_1) | instskip(NEXT) | instid1(VALU_DEP_1)
	v_and_b32_e32 v38, 0xff, v35
	v_cmp_ne_u32_e32 vcc_lo, 0, v38
	s_and_b32 s11, vcc_lo, exec_lo
	s_delay_alu instid0(SALU_CYCLE_1)
	s_or_b32 s8, s8, s11
	s_or_b32 exec_lo, exec_lo, s9
	v_mov_b32_e32 v35, s10
	s_and_saveexec_b32 s9, s8
	s_cbranch_execnz .LBB365_59
	s_branch .LBB365_60
.LBB365_85:                             ;   in Loop: Header=BB365_41 Depth=1
	v_bfe_u32 v38, v39, 20, 1
	s_mov_b32 s8, exec_lo
	s_delay_alu instid0(VALU_DEP_1) | instskip(NEXT) | instid1(VALU_DEP_1)
	v_add3_u32 v38, v39, v38, 0x487ffff
	v_lshrrev_b32_e32 v40, 20, v38
	s_or_saveexec_b32 s9, s9
                                        ; implicit-def: $sgpr10
	s_delay_alu instid0(SALU_CYCLE_1)
	s_xor_b32 exec_lo, exec_lo, s9
	s_cbranch_execz .LBB365_64
.LBB365_86:                             ;   in Loop: Header=BB365_41 Depth=1
	v_add_f32_e64 v38, 0x46000000, |v39|
	s_and_not1_b32 s8, s8, exec_lo
	s_mov_b32 s10, 0
	s_delay_alu instid0(VALU_DEP_1) | instskip(NEXT) | instid1(VALU_DEP_1)
	v_and_b32_e32 v40, 0xff, v38
	v_cmp_ne_u32_e32 vcc_lo, 0, v40
	s_and_b32 s11, vcc_lo, exec_lo
	s_delay_alu instid0(SALU_CYCLE_1)
	s_or_b32 s8, s8, s11
	s_or_b32 exec_lo, exec_lo, s9
	v_mov_b32_e32 v38, s10
	s_and_saveexec_b32 s9, s8
	s_cbranch_execnz .LBB365_65
	s_branch .LBB365_66
.LBB365_87:                             ;   in Loop: Header=BB365_41 Depth=1
	v_bfe_u32 v37, v39, 20, 1
	s_mov_b32 s8, exec_lo
	s_delay_alu instid0(VALU_DEP_1) | instskip(NEXT) | instid1(VALU_DEP_1)
	v_add3_u32 v37, v39, v37, 0x487ffff
	v_lshrrev_b32_e32 v40, 20, v37
	s_or_saveexec_b32 s9, s9
                                        ; implicit-def: $sgpr10
	s_delay_alu instid0(SALU_CYCLE_1)
	s_xor_b32 exec_lo, exec_lo, s9
	s_cbranch_execz .LBB365_70
.LBB365_88:                             ;   in Loop: Header=BB365_41 Depth=1
	v_add_f32_e64 v37, 0x46000000, |v39|
	s_and_not1_b32 s8, s8, exec_lo
	s_mov_b32 s10, 0
	s_delay_alu instid0(VALU_DEP_1) | instskip(NEXT) | instid1(VALU_DEP_1)
	v_and_b32_e32 v40, 0xff, v37
	v_cmp_ne_u32_e32 vcc_lo, 0, v40
	s_and_b32 s11, vcc_lo, exec_lo
	s_delay_alu instid0(SALU_CYCLE_1)
	s_or_b32 s8, s8, s11
	s_or_b32 exec_lo, exec_lo, s9
	v_mov_b32_e32 v37, s10
	s_and_saveexec_b32 s9, s8
	s_cbranch_execnz .LBB365_71
	s_branch .LBB365_72
.LBB365_89:
	s_nop 0
	s_sendmsg sendmsg(MSG_DEALLOC_VGPRS)
	s_endpgm
	.section	.rodata,"a",@progbits
	.p2align	6, 0x0
	.amdhsa_kernel _ZN2at6native12_GLOBAL__N_125multi_tensor_apply_kernelINS1_18TensorListMetadataILi2EEENS1_11CopyFunctorIN3c1015Float8_e4m3fnuzEaLi2ELi1ELi1EEEJNS0_4CopyIS7_aEEEEEvT_T0_DpT1_
		.amdhsa_group_segment_fixed_size 0
		.amdhsa_private_segment_fixed_size 0
		.amdhsa_kernarg_size 3408
		.amdhsa_user_sgpr_count 15
		.amdhsa_user_sgpr_dispatch_ptr 0
		.amdhsa_user_sgpr_queue_ptr 0
		.amdhsa_user_sgpr_kernarg_segment_ptr 1
		.amdhsa_user_sgpr_dispatch_id 0
		.amdhsa_user_sgpr_private_segment_size 0
		.amdhsa_wavefront_size32 1
		.amdhsa_uses_dynamic_stack 0
		.amdhsa_enable_private_segment 0
		.amdhsa_system_sgpr_workgroup_id_x 1
		.amdhsa_system_sgpr_workgroup_id_y 0
		.amdhsa_system_sgpr_workgroup_id_z 0
		.amdhsa_system_sgpr_workgroup_info 0
		.amdhsa_system_vgpr_workitem_id 0
		.amdhsa_next_free_vgpr 41
		.amdhsa_next_free_sgpr 22
		.amdhsa_reserve_vcc 1
		.amdhsa_float_round_mode_32 0
		.amdhsa_float_round_mode_16_64 0
		.amdhsa_float_denorm_mode_32 3
		.amdhsa_float_denorm_mode_16_64 3
		.amdhsa_dx10_clamp 1
		.amdhsa_ieee_mode 1
		.amdhsa_fp16_overflow 0
		.amdhsa_workgroup_processor_mode 1
		.amdhsa_memory_ordered 1
		.amdhsa_forward_progress 0
		.amdhsa_shared_vgpr_count 0
		.amdhsa_exception_fp_ieee_invalid_op 0
		.amdhsa_exception_fp_denorm_src 0
		.amdhsa_exception_fp_ieee_div_zero 0
		.amdhsa_exception_fp_ieee_overflow 0
		.amdhsa_exception_fp_ieee_underflow 0
		.amdhsa_exception_fp_ieee_inexact 0
		.amdhsa_exception_int_div_zero 0
	.end_amdhsa_kernel
	.section	.text._ZN2at6native12_GLOBAL__N_125multi_tensor_apply_kernelINS1_18TensorListMetadataILi2EEENS1_11CopyFunctorIN3c1015Float8_e4m3fnuzEaLi2ELi1ELi1EEEJNS0_4CopyIS7_aEEEEEvT_T0_DpT1_,"axG",@progbits,_ZN2at6native12_GLOBAL__N_125multi_tensor_apply_kernelINS1_18TensorListMetadataILi2EEENS1_11CopyFunctorIN3c1015Float8_e4m3fnuzEaLi2ELi1ELi1EEEJNS0_4CopyIS7_aEEEEEvT_T0_DpT1_,comdat
.Lfunc_end365:
	.size	_ZN2at6native12_GLOBAL__N_125multi_tensor_apply_kernelINS1_18TensorListMetadataILi2EEENS1_11CopyFunctorIN3c1015Float8_e4m3fnuzEaLi2ELi1ELi1EEEJNS0_4CopyIS7_aEEEEEvT_T0_DpT1_, .Lfunc_end365-_ZN2at6native12_GLOBAL__N_125multi_tensor_apply_kernelINS1_18TensorListMetadataILi2EEENS1_11CopyFunctorIN3c1015Float8_e4m3fnuzEaLi2ELi1ELi1EEEJNS0_4CopyIS7_aEEEEEvT_T0_DpT1_
                                        ; -- End function
	.section	.AMDGPU.csdata,"",@progbits
; Kernel info:
; codeLenInByte = 3464
; NumSgprs: 24
; NumVgprs: 41
; ScratchSize: 0
; MemoryBound: 0
; FloatMode: 240
; IeeeMode: 1
; LDSByteSize: 0 bytes/workgroup (compile time only)
; SGPRBlocks: 2
; VGPRBlocks: 5
; NumSGPRsForWavesPerEU: 24
; NumVGPRsForWavesPerEU: 41
; Occupancy: 16
; WaveLimiterHint : 0
; COMPUTE_PGM_RSRC2:SCRATCH_EN: 0
; COMPUTE_PGM_RSRC2:USER_SGPR: 15
; COMPUTE_PGM_RSRC2:TRAP_HANDLER: 0
; COMPUTE_PGM_RSRC2:TGID_X_EN: 1
; COMPUTE_PGM_RSRC2:TGID_Y_EN: 0
; COMPUTE_PGM_RSRC2:TGID_Z_EN: 0
; COMPUTE_PGM_RSRC2:TIDIG_COMP_CNT: 0
	.section	.text._ZN2at6native12_GLOBAL__N_125multi_tensor_apply_kernelINS1_18TensorListMetadataILi2EEENS1_11CopyFunctorIN3c1015Float8_e4m3fnuzElLi2ELi1ELi1EEEJNS0_4CopyIS7_lEEEEEvT_T0_DpT1_,"axG",@progbits,_ZN2at6native12_GLOBAL__N_125multi_tensor_apply_kernelINS1_18TensorListMetadataILi2EEENS1_11CopyFunctorIN3c1015Float8_e4m3fnuzElLi2ELi1ELi1EEEJNS0_4CopyIS7_lEEEEEvT_T0_DpT1_,comdat
	.globl	_ZN2at6native12_GLOBAL__N_125multi_tensor_apply_kernelINS1_18TensorListMetadataILi2EEENS1_11CopyFunctorIN3c1015Float8_e4m3fnuzElLi2ELi1ELi1EEEJNS0_4CopyIS7_lEEEEEvT_T0_DpT1_ ; -- Begin function _ZN2at6native12_GLOBAL__N_125multi_tensor_apply_kernelINS1_18TensorListMetadataILi2EEENS1_11CopyFunctorIN3c1015Float8_e4m3fnuzElLi2ELi1ELi1EEEJNS0_4CopyIS7_lEEEEEvT_T0_DpT1_
	.p2align	8
	.type	_ZN2at6native12_GLOBAL__N_125multi_tensor_apply_kernelINS1_18TensorListMetadataILi2EEENS1_11CopyFunctorIN3c1015Float8_e4m3fnuzElLi2ELi1ELi1EEEJNS0_4CopyIS7_lEEEEEvT_T0_DpT1_,@function
_ZN2at6native12_GLOBAL__N_125multi_tensor_apply_kernelINS1_18TensorListMetadataILi2EEENS1_11CopyFunctorIN3c1015Float8_e4m3fnuzElLi2ELi1ELi1EEEJNS0_4CopyIS7_lEEEEEvT_T0_DpT1_: ; @_ZN2at6native12_GLOBAL__N_125multi_tensor_apply_kernelINS1_18TensorListMetadataILi2EEENS1_11CopyFunctorIN3c1015Float8_e4m3fnuzElLi2ELi1ELi1EEEJNS0_4CopyIS7_lEEEEEvT_T0_DpT1_
; %bb.0:
	v_mov_b32_e32 v1, s15
	s_add_u32 s2, s0, s15
	s_mul_i32 s4, s15, 3
	s_addc_u32 s3, s1, 0
	s_mul_hi_u32 s5, s15, 3
	global_load_u8 v1, v1, s[0:1] offset:1536
	s_add_u32 s2, s2, s4
	s_addc_u32 s3, s3, s5
	s_mov_b32 s17, 0
	s_load_b32 s10, s[2:3], 0x740
	s_waitcnt lgkmcnt(0)
	s_ashr_i32 s11, s10, 31
	s_delay_alu instid0(SALU_CYCLE_1) | instskip(SKIP_2) | instid1(VALU_DEP_1)
	s_lshl_b64 s[8:9], s[10:11], 16
	s_waitcnt vmcnt(0)
	v_readfirstlane_b32 s4, v1
	s_lshl_b32 s4, s4, 3
	s_clause 0x2
	s_load_b64 s[6:7], s[0:1], s4 offset:0x200
	s_load_b64 s[2:3], s[0:1], s4 offset:0x400
	;; [unrolled: 1-line block ×3, first 2 shown]
	s_waitcnt lgkmcnt(0)
	s_add_u32 s14, s6, s8
	s_addc_u32 s15, s7, s9
	s_delay_alu instid0(SALU_CYCLE_1) | instskip(SKIP_2) | instid1(SALU_CYCLE_1)
	s_or_b64 s[4:5], s[2:3], s[14:15]
	s_and_b32 s5, s12, 31
	s_and_b32 s4, s4, 3
	s_or_b32 s16, s4, s5
	s_sub_u32 s4, s2, s8
	s_subb_u32 s5, s3, s9
	s_cmp_eq_u64 s[16:17], 0
	s_mov_b32 s2, -1
	s_cbranch_scc0 .LBB366_37
; %bb.1:
	v_dual_mov_b32 v10, 0 :: v_dual_lshlrev_b32 v9, 2, v0
	s_mov_b32 s3, exec_lo
	s_delay_alu instid0(VALU_DEP_1)
	v_cmpx_gt_i64_e64 s[4:5], v[9:10]
	s_cbranch_execz .LBB366_36
; %bb.2:
	s_load_b32 s2, s[0:1], 0xc5c
	v_lshlrev_b32_e32 v1, 5, v0
	s_lshl_b64 s[18:19], s[10:11], 19
	s_waitcnt lgkmcnt(0)
	s_and_b32 s2, s2, 0xffff
	s_delay_alu instid0(SALU_CYCLE_1) | instskip(SKIP_3) | instid1(VALU_DEP_1)
	s_lshl_b32 s16, s2, 2
	s_add_u32 s17, s12, s18
	s_addc_u32 s18, s13, s19
	v_add_co_u32 v11, s17, s17, v1
	v_add_co_ci_u32_e64 v12, null, s18, 0, s17
	s_mov_b32 s17, 0
	s_lshl_b32 s18, s2, 5
	s_branch .LBB366_5
.LBB366_3:                              ;   in Loop: Header=BB366_5 Depth=1
	s_or_b32 exec_lo, exec_lo, s20
.LBB366_4:                              ;   in Loop: Header=BB366_5 Depth=1
	s_delay_alu instid0(SALU_CYCLE_1)
	s_or_b32 exec_lo, exec_lo, s2
	v_add_co_u32 v3, vcc_lo, s14, v9
	v_add_co_ci_u32_e32 v4, vcc_lo, s15, v10, vcc_lo
	v_add_co_u32 v9, vcc_lo, s16, v9
	v_add_co_ci_u32_e32 v10, vcc_lo, 0, v10, vcc_lo
	v_lshlrev_b32_e32 v2, 16, v2
	v_lshlrev_b32_e32 v6, 8, v6
	v_and_b32_e32 v5, 0xff, v5
	s_delay_alu instid0(VALU_DEP_4) | instskip(SKIP_3) | instid1(VALU_DEP_3)
	v_cmp_le_i64_e32 vcc_lo, s[4:5], v[9:10]
	v_cmp_lt_u64_e64 s2, 0xffff, v[9:10]
	v_perm_b32 v1, v1, v2, 0x4020c0c
	v_and_b32_e32 v2, 0xff00, v6
	s_or_b32 s2, vcc_lo, s2
	v_add_co_u32 v11, vcc_lo, v11, s18
	s_delay_alu instid0(VALU_DEP_2) | instskip(SKIP_2) | instid1(SALU_CYCLE_1)
	v_or3_b32 v1, v1, v2, v5
	v_add_co_ci_u32_e32 v12, vcc_lo, 0, v12, vcc_lo
	s_and_b32 s2, exec_lo, s2
	s_or_b32 s17, s2, s17
	global_store_b32 v[3:4], v1, off
	s_and_not1_b32 exec_lo, exec_lo, s17
	s_cbranch_execz .LBB366_36
.LBB366_5:                              ; =>This Inner Loop Header: Depth=1
	s_clause 0x1
	global_load_b128 v[5:8], v[11:12], off
	global_load_b128 v[1:4], v[11:12], off offset:16
	s_mov_b32 s2, exec_lo
	s_waitcnt vmcnt(1)
	v_xor_b32_e32 v13, v5, v6
	v_cls_i32_e32 v14, v6
	s_delay_alu instid0(VALU_DEP_2) | instskip(NEXT) | instid1(VALU_DEP_2)
	v_ashrrev_i32_e32 v13, 31, v13
	v_add_nc_u32_e32 v14, -1, v14
	s_delay_alu instid0(VALU_DEP_2) | instskip(NEXT) | instid1(VALU_DEP_1)
	v_add_nc_u32_e32 v13, 32, v13
	v_min_u32_e32 v13, v14, v13
	s_delay_alu instid0(VALU_DEP_1) | instskip(NEXT) | instid1(VALU_DEP_1)
	v_lshlrev_b64 v[5:6], v13, v[5:6]
	v_min_u32_e32 v5, 1, v5
	s_delay_alu instid0(VALU_DEP_1) | instskip(SKIP_1) | instid1(VALU_DEP_2)
	v_or_b32_e32 v5, v6, v5
	v_sub_nc_u32_e32 v6, 32, v13
	v_cvt_f32_i32_e32 v5, v5
	s_delay_alu instid0(VALU_DEP_1) | instskip(SKIP_1) | instid1(VALU_DEP_2)
	v_ldexp_f32 v13, v5, v6
	v_dual_mov_b32 v6, 0x80 :: v_dual_mov_b32 v5, 0x80
	v_and_b32_e32 v14, 0x7fffffff, v13
	s_delay_alu instid0(VALU_DEP_1)
	v_cmpx_gt_u32_e32 0x43800000, v14
	s_cbranch_execz .LBB366_11
; %bb.6:                                ;   in Loop: Header=BB366_5 Depth=1
	v_cmp_lt_u32_e32 vcc_lo, 0x3bffffff, v14
	s_mov_b32 s19, 0
                                        ; implicit-def: $vgpr14
	s_and_saveexec_b32 s20, vcc_lo
	s_delay_alu instid0(SALU_CYCLE_1)
	s_xor_b32 s20, exec_lo, s20
	s_cbranch_execnz .LBB366_27
; %bb.7:                                ;   in Loop: Header=BB366_5 Depth=1
	s_or_saveexec_b32 s20, s20
                                        ; implicit-def: $sgpr21
	s_delay_alu instid0(SALU_CYCLE_1)
	s_xor_b32 exec_lo, exec_lo, s20
	s_cbranch_execnz .LBB366_28
.LBB366_8:                              ;   in Loop: Header=BB366_5 Depth=1
	s_or_b32 exec_lo, exec_lo, s20
	v_mov_b32_e32 v5, s21
	s_and_saveexec_b32 s20, s19
.LBB366_9:                              ;   in Loop: Header=BB366_5 Depth=1
	v_lshrrev_b32_e32 v5, 24, v13
	s_delay_alu instid0(VALU_DEP_1)
	v_and_or_b32 v5, 0x80, v5, v14
.LBB366_10:                             ;   in Loop: Header=BB366_5 Depth=1
	s_or_b32 exec_lo, exec_lo, s20
.LBB366_11:                             ;   in Loop: Header=BB366_5 Depth=1
	s_delay_alu instid0(SALU_CYCLE_1) | instskip(SKIP_3) | instid1(VALU_DEP_2)
	s_or_b32 exec_lo, exec_lo, s2
	v_xor_b32_e32 v13, v7, v8
	v_cls_i32_e32 v14, v8
	s_mov_b32 s2, exec_lo
	v_ashrrev_i32_e32 v13, 31, v13
	s_delay_alu instid0(VALU_DEP_2) | instskip(NEXT) | instid1(VALU_DEP_2)
	v_add_nc_u32_e32 v14, -1, v14
	v_add_nc_u32_e32 v13, 32, v13
	s_delay_alu instid0(VALU_DEP_1) | instskip(NEXT) | instid1(VALU_DEP_1)
	v_min_u32_e32 v13, v14, v13
	v_lshlrev_b64 v[7:8], v13, v[7:8]
	s_delay_alu instid0(VALU_DEP_1) | instskip(NEXT) | instid1(VALU_DEP_1)
	v_min_u32_e32 v7, 1, v7
	v_or_b32_e32 v7, v8, v7
	v_sub_nc_u32_e32 v8, 32, v13
	s_delay_alu instid0(VALU_DEP_2) | instskip(NEXT) | instid1(VALU_DEP_1)
	v_cvt_f32_i32_e32 v7, v7
	v_ldexp_f32 v7, v7, v8
	s_delay_alu instid0(VALU_DEP_1) | instskip(NEXT) | instid1(VALU_DEP_1)
	v_and_b32_e32 v8, 0x7fffffff, v7
	v_cmpx_gt_u32_e32 0x43800000, v8
	s_cbranch_execz .LBB366_17
; %bb.12:                               ;   in Loop: Header=BB366_5 Depth=1
	v_cmp_lt_u32_e32 vcc_lo, 0x3bffffff, v8
	s_mov_b32 s19, 0
                                        ; implicit-def: $vgpr8
	s_and_saveexec_b32 s20, vcc_lo
	s_delay_alu instid0(SALU_CYCLE_1)
	s_xor_b32 s20, exec_lo, s20
	s_cbranch_execnz .LBB366_29
; %bb.13:                               ;   in Loop: Header=BB366_5 Depth=1
	s_or_saveexec_b32 s20, s20
                                        ; implicit-def: $sgpr21
	s_delay_alu instid0(SALU_CYCLE_1)
	s_xor_b32 exec_lo, exec_lo, s20
	s_cbranch_execnz .LBB366_30
.LBB366_14:                             ;   in Loop: Header=BB366_5 Depth=1
	s_or_b32 exec_lo, exec_lo, s20
	v_mov_b32_e32 v6, s21
	s_and_saveexec_b32 s20, s19
.LBB366_15:                             ;   in Loop: Header=BB366_5 Depth=1
	v_lshrrev_b32_e32 v6, 24, v7
	s_delay_alu instid0(VALU_DEP_1)
	v_and_or_b32 v6, 0x80, v6, v8
.LBB366_16:                             ;   in Loop: Header=BB366_5 Depth=1
	s_or_b32 exec_lo, exec_lo, s20
.LBB366_17:                             ;   in Loop: Header=BB366_5 Depth=1
	s_delay_alu instid0(SALU_CYCLE_1) | instskip(SKIP_4) | instid1(VALU_DEP_2)
	s_or_b32 exec_lo, exec_lo, s2
	s_waitcnt vmcnt(0)
	v_xor_b32_e32 v7, v1, v2
	v_cls_i32_e32 v8, v2
	s_mov_b32 s2, exec_lo
	v_ashrrev_i32_e32 v7, 31, v7
	s_delay_alu instid0(VALU_DEP_2) | instskip(NEXT) | instid1(VALU_DEP_2)
	v_add_nc_u32_e32 v8, -1, v8
	v_add_nc_u32_e32 v7, 32, v7
	s_delay_alu instid0(VALU_DEP_1) | instskip(NEXT) | instid1(VALU_DEP_1)
	v_min_u32_e32 v7, v8, v7
	v_lshlrev_b64 v[1:2], v7, v[1:2]
	s_delay_alu instid0(VALU_DEP_1) | instskip(NEXT) | instid1(VALU_DEP_1)
	v_min_u32_e32 v1, 1, v1
	v_or_b32_e32 v1, v2, v1
	v_sub_nc_u32_e32 v2, 32, v7
	s_delay_alu instid0(VALU_DEP_2) | instskip(NEXT) | instid1(VALU_DEP_1)
	v_cvt_f32_i32_e32 v1, v1
	v_ldexp_f32 v7, v1, v2
	v_dual_mov_b32 v2, 0x80 :: v_dual_mov_b32 v1, 0x80
	s_delay_alu instid0(VALU_DEP_2) | instskip(NEXT) | instid1(VALU_DEP_1)
	v_and_b32_e32 v8, 0x7fffffff, v7
	v_cmpx_gt_u32_e32 0x43800000, v8
	s_cbranch_execz .LBB366_23
; %bb.18:                               ;   in Loop: Header=BB366_5 Depth=1
	v_cmp_lt_u32_e32 vcc_lo, 0x3bffffff, v8
	s_mov_b32 s19, 0
                                        ; implicit-def: $vgpr8
	s_and_saveexec_b32 s20, vcc_lo
	s_delay_alu instid0(SALU_CYCLE_1)
	s_xor_b32 s20, exec_lo, s20
	s_cbranch_execnz .LBB366_31
; %bb.19:                               ;   in Loop: Header=BB366_5 Depth=1
	s_or_saveexec_b32 s20, s20
                                        ; implicit-def: $sgpr21
	s_delay_alu instid0(SALU_CYCLE_1)
	s_xor_b32 exec_lo, exec_lo, s20
	s_cbranch_execnz .LBB366_32
.LBB366_20:                             ;   in Loop: Header=BB366_5 Depth=1
	s_or_b32 exec_lo, exec_lo, s20
	v_mov_b32_e32 v2, s21
	s_and_saveexec_b32 s20, s19
.LBB366_21:                             ;   in Loop: Header=BB366_5 Depth=1
	v_lshrrev_b32_e32 v2, 24, v7
	s_delay_alu instid0(VALU_DEP_1)
	v_and_or_b32 v2, 0x80, v2, v8
.LBB366_22:                             ;   in Loop: Header=BB366_5 Depth=1
	s_or_b32 exec_lo, exec_lo, s20
.LBB366_23:                             ;   in Loop: Header=BB366_5 Depth=1
	s_delay_alu instid0(SALU_CYCLE_1) | instskip(SKIP_3) | instid1(VALU_DEP_2)
	s_or_b32 exec_lo, exec_lo, s2
	v_xor_b32_e32 v7, v3, v4
	v_cls_i32_e32 v8, v4
	s_mov_b32 s2, exec_lo
	v_ashrrev_i32_e32 v7, 31, v7
	s_delay_alu instid0(VALU_DEP_2) | instskip(NEXT) | instid1(VALU_DEP_2)
	v_add_nc_u32_e32 v8, -1, v8
	v_add_nc_u32_e32 v7, 32, v7
	s_delay_alu instid0(VALU_DEP_1) | instskip(NEXT) | instid1(VALU_DEP_1)
	v_min_u32_e32 v7, v8, v7
	v_lshlrev_b64 v[3:4], v7, v[3:4]
	s_delay_alu instid0(VALU_DEP_1) | instskip(NEXT) | instid1(VALU_DEP_1)
	v_min_u32_e32 v3, 1, v3
	v_or_b32_e32 v3, v4, v3
	v_sub_nc_u32_e32 v4, 32, v7
	s_delay_alu instid0(VALU_DEP_2) | instskip(NEXT) | instid1(VALU_DEP_1)
	v_cvt_f32_i32_e32 v3, v3
	v_ldexp_f32 v3, v3, v4
	s_delay_alu instid0(VALU_DEP_1) | instskip(NEXT) | instid1(VALU_DEP_1)
	v_and_b32_e32 v4, 0x7fffffff, v3
	v_cmpx_gt_u32_e32 0x43800000, v4
	s_cbranch_execz .LBB366_4
; %bb.24:                               ;   in Loop: Header=BB366_5 Depth=1
	v_cmp_lt_u32_e32 vcc_lo, 0x3bffffff, v4
	s_mov_b32 s19, 0
                                        ; implicit-def: $vgpr4
	s_and_saveexec_b32 s20, vcc_lo
	s_delay_alu instid0(SALU_CYCLE_1)
	s_xor_b32 s20, exec_lo, s20
	s_cbranch_execnz .LBB366_33
; %bb.25:                               ;   in Loop: Header=BB366_5 Depth=1
	s_or_saveexec_b32 s20, s20
                                        ; implicit-def: $sgpr21
	s_delay_alu instid0(SALU_CYCLE_1)
	s_xor_b32 exec_lo, exec_lo, s20
	s_cbranch_execnz .LBB366_34
.LBB366_26:                             ;   in Loop: Header=BB366_5 Depth=1
	s_or_b32 exec_lo, exec_lo, s20
	v_mov_b32_e32 v1, s21
	s_and_saveexec_b32 s20, s19
	s_cbranch_execz .LBB366_3
	s_branch .LBB366_35
.LBB366_27:                             ;   in Loop: Header=BB366_5 Depth=1
	v_bfe_u32 v5, v13, 20, 1
	s_mov_b32 s19, exec_lo
	s_delay_alu instid0(VALU_DEP_1) | instskip(NEXT) | instid1(VALU_DEP_1)
	v_add3_u32 v5, v13, v5, 0x487ffff
	v_lshrrev_b32_e32 v14, 20, v5
	s_or_saveexec_b32 s20, s20
                                        ; implicit-def: $sgpr21
	s_delay_alu instid0(SALU_CYCLE_1)
	s_xor_b32 exec_lo, exec_lo, s20
	s_cbranch_execz .LBB366_8
.LBB366_28:                             ;   in Loop: Header=BB366_5 Depth=1
	v_add_f32_e64 v5, 0x46000000, |v13|
	s_and_not1_b32 s19, s19, exec_lo
	s_mov_b32 s21, 0
	s_delay_alu instid0(VALU_DEP_1) | instskip(NEXT) | instid1(VALU_DEP_1)
	v_and_b32_e32 v14, 0xff, v5
	v_cmp_ne_u32_e32 vcc_lo, 0, v14
	s_and_b32 s22, vcc_lo, exec_lo
	s_delay_alu instid0(SALU_CYCLE_1)
	s_or_b32 s19, s19, s22
	s_or_b32 exec_lo, exec_lo, s20
	v_mov_b32_e32 v5, s21
	s_and_saveexec_b32 s20, s19
	s_cbranch_execnz .LBB366_9
	s_branch .LBB366_10
.LBB366_29:                             ;   in Loop: Header=BB366_5 Depth=1
	v_bfe_u32 v6, v7, 20, 1
	s_mov_b32 s19, exec_lo
	s_delay_alu instid0(VALU_DEP_1) | instskip(NEXT) | instid1(VALU_DEP_1)
	v_add3_u32 v6, v7, v6, 0x487ffff
	v_lshrrev_b32_e32 v8, 20, v6
	s_or_saveexec_b32 s20, s20
                                        ; implicit-def: $sgpr21
	s_delay_alu instid0(SALU_CYCLE_1)
	s_xor_b32 exec_lo, exec_lo, s20
	s_cbranch_execz .LBB366_14
.LBB366_30:                             ;   in Loop: Header=BB366_5 Depth=1
	v_add_f32_e64 v6, 0x46000000, |v7|
	s_and_not1_b32 s19, s19, exec_lo
	s_mov_b32 s21, 0
	s_delay_alu instid0(VALU_DEP_1) | instskip(NEXT) | instid1(VALU_DEP_1)
	v_and_b32_e32 v8, 0xff, v6
	v_cmp_ne_u32_e32 vcc_lo, 0, v8
	s_and_b32 s22, vcc_lo, exec_lo
	s_delay_alu instid0(SALU_CYCLE_1)
	s_or_b32 s19, s19, s22
	s_or_b32 exec_lo, exec_lo, s20
	v_mov_b32_e32 v6, s21
	s_and_saveexec_b32 s20, s19
	s_cbranch_execnz .LBB366_15
	s_branch .LBB366_16
.LBB366_31:                             ;   in Loop: Header=BB366_5 Depth=1
	v_bfe_u32 v2, v7, 20, 1
	s_mov_b32 s19, exec_lo
	s_delay_alu instid0(VALU_DEP_1) | instskip(NEXT) | instid1(VALU_DEP_1)
	v_add3_u32 v2, v7, v2, 0x487ffff
	v_lshrrev_b32_e32 v8, 20, v2
	s_or_saveexec_b32 s20, s20
                                        ; implicit-def: $sgpr21
	s_delay_alu instid0(SALU_CYCLE_1)
	s_xor_b32 exec_lo, exec_lo, s20
	s_cbranch_execz .LBB366_20
.LBB366_32:                             ;   in Loop: Header=BB366_5 Depth=1
	v_add_f32_e64 v2, 0x46000000, |v7|
	s_and_not1_b32 s19, s19, exec_lo
	s_mov_b32 s21, 0
	s_delay_alu instid0(VALU_DEP_1) | instskip(NEXT) | instid1(VALU_DEP_1)
	v_and_b32_e32 v8, 0xff, v2
	v_cmp_ne_u32_e32 vcc_lo, 0, v8
	s_and_b32 s22, vcc_lo, exec_lo
	s_delay_alu instid0(SALU_CYCLE_1)
	s_or_b32 s19, s19, s22
	s_or_b32 exec_lo, exec_lo, s20
	v_mov_b32_e32 v2, s21
	s_and_saveexec_b32 s20, s19
	s_cbranch_execnz .LBB366_21
	s_branch .LBB366_22
.LBB366_33:                             ;   in Loop: Header=BB366_5 Depth=1
	v_bfe_u32 v1, v3, 20, 1
	s_mov_b32 s19, exec_lo
	s_delay_alu instid0(VALU_DEP_1) | instskip(NEXT) | instid1(VALU_DEP_1)
	v_add3_u32 v1, v3, v1, 0x487ffff
	v_lshrrev_b32_e32 v4, 20, v1
	s_or_saveexec_b32 s20, s20
                                        ; implicit-def: $sgpr21
	s_delay_alu instid0(SALU_CYCLE_1)
	s_xor_b32 exec_lo, exec_lo, s20
	s_cbranch_execz .LBB366_26
.LBB366_34:                             ;   in Loop: Header=BB366_5 Depth=1
	v_add_f32_e64 v1, 0x46000000, |v3|
	s_and_not1_b32 s19, s19, exec_lo
	s_mov_b32 s21, 0
	s_delay_alu instid0(VALU_DEP_1) | instskip(NEXT) | instid1(VALU_DEP_1)
	v_and_b32_e32 v4, 0xff, v1
	v_cmp_ne_u32_e32 vcc_lo, 0, v4
	s_and_b32 s22, vcc_lo, exec_lo
	s_delay_alu instid0(SALU_CYCLE_1)
	s_or_b32 s19, s19, s22
	s_or_b32 exec_lo, exec_lo, s20
	v_mov_b32_e32 v1, s21
	s_and_saveexec_b32 s20, s19
	s_cbranch_execz .LBB366_3
.LBB366_35:                             ;   in Loop: Header=BB366_5 Depth=1
	v_lshrrev_b32_e32 v1, 24, v3
	s_delay_alu instid0(VALU_DEP_1)
	v_and_or_b32 v1, 0x80, v1, v4
	s_branch .LBB366_3
.LBB366_36:
	s_or_b32 exec_lo, exec_lo, s3
	s_mov_b32 s2, 0
.LBB366_37:
	s_delay_alu instid0(SALU_CYCLE_1)
	s_and_not1_b32 vcc_lo, exec_lo, s2
	s_cbranch_vccnz .LBB366_89
; %bb.38:
	v_cmp_lt_i64_e64 s2, s[4:5], 1
	s_delay_alu instid0(VALU_DEP_1)
	s_and_b32 vcc_lo, exec_lo, s2
	s_cbranch_vccnz .LBB366_89
; %bb.39:
	s_load_b32 s0, s[0:1], 0xc5c
	v_cmp_gt_u64_e64 s1, 0x10000, s[4:5]
	v_add_co_u32 v5, s2, s8, v0
	v_lshlrev_b32_e32 v1, 3, v0
	v_add_co_ci_u32_e64 v6, null, s9, 0, s2
	s_delay_alu instid0(VALU_DEP_3) | instskip(NEXT) | instid1(VALU_DEP_2)
	v_add_co_u32 v21, vcc_lo, s6, v5
                                        ; implicit-def: $vgpr9_vgpr10
                                        ; implicit-def: $vgpr11_vgpr12
                                        ; implicit-def: $vgpr7_vgpr8
	v_add_co_ci_u32_e32 v22, vcc_lo, s7, v6, vcc_lo
	s_waitcnt lgkmcnt(0)
	s_and_b32 s0, s0, 0xffff
	s_and_b32 s1, s1, exec_lo
	s_cselect_b32 s3, s5, 0
	s_cselect_b32 s2, s4, 0x10000
	s_lshl_b64 s[10:11], s[10:11], 19
	s_lshl_b32 s14, s0, 1
	s_lshl_b32 s1, s0, 2
	s_add_u32 s12, s12, s10
	s_mul_i32 s15, s0, 3
	s_addc_u32 s13, s13, s11
	s_lshl_b32 s10, s0, 5
	v_add_co_u32 v1, s16, s12, v1
	s_add_u32 s11, s8, s15
	v_add_co_ci_u32_e64 v2, null, s13, 0, s16
	s_addc_u32 s16, s9, 0
	s_add_u32 s11, s6, s11
	s_addc_u32 s16, s7, s16
	v_add_co_u32 v23, s11, s11, v0
	s_delay_alu instid0(VALU_DEP_1)
	v_add_co_ci_u32_e64 v24, null, s16, 0, s11
	v_add_co_u32 v25, s11, s15, v0
	v_add_co_u32 v27, s15, v0, s0
	v_add_co_ci_u32_e64 v26, null, 0, 0, s11
	s_lshl_b32 s11, s0, 4
	s_add_u32 s8, s8, s14
	s_addc_u32 s9, s9, 0
	s_add_u32 s8, s6, s8
	v_lshlrev_b32_e32 v3, 3, v27
	s_addc_u32 s9, s7, s9
	v_add_co_u32 v28, s8, s8, v0
	s_delay_alu instid0(VALU_DEP_1)
	v_add_co_ci_u32_e64 v29, null, s9, 0, s8
	v_add_co_u32 v31, s8, s14, v0
	s_add_u32 s6, s6, s0
	v_add_co_ci_u32_e64 v32, null, 0, 0, s8
	v_add_co_u32 v3, s8, s12, v3
	s_addc_u32 s7, s7, 0
	v_add_co_u32 v33, vcc_lo, s6, v5
	v_add_co_ci_u32_e64 v30, null, 0, 0, s15
	v_add_co_ci_u32_e64 v4, null, s13, 0, s8
	v_add_co_ci_u32_e32 v34, vcc_lo, s7, v6, vcc_lo
	s_mul_i32 s8, s0, 24
	s_mov_b64 s[6:7], 0
                                        ; implicit-def: $vgpr5_vgpr6
	s_branch .LBB366_41
.LBB366_40:                             ;   in Loop: Header=BB366_41 Depth=1
	s_or_b32 exec_lo, exec_lo, s0
	s_add_u32 s6, s6, s1
	s_addc_u32 s7, s7, 0
	v_add_co_u32 v1, vcc_lo, v1, s10
	v_cmp_ge_i64_e64 s0, s[6:7], s[4:5]
	v_cmp_lt_u64_e64 s9, 0xffff, s[6:7]
	v_add_co_ci_u32_e32 v2, vcc_lo, 0, v2, vcc_lo
	v_add_co_u32 v3, vcc_lo, v3, s10
	v_add_co_ci_u32_e32 v4, vcc_lo, 0, v4, vcc_lo
	s_delay_alu instid0(VALU_DEP_4) | instskip(NEXT) | instid1(SALU_CYCLE_1)
	s_or_b32 s0, s0, s9
	s_and_b32 vcc_lo, exec_lo, s0
	s_cbranch_vccnz .LBB366_89
.LBB366_41:                             ; =>This Inner Loop Header: Depth=1
	v_add_co_u32 v13, s0, v0, s6
	s_delay_alu instid0(VALU_DEP_1) | instskip(NEXT) | instid1(VALU_DEP_1)
	v_add_co_ci_u32_e64 v14, null, 0, s7, s0
	v_cmp_gt_i64_e32 vcc_lo, s[4:5], v[13:14]
	v_cmp_gt_u64_e64 s0, 0x10000, v[13:14]
	s_delay_alu instid0(VALU_DEP_1) | instskip(NEXT) | instid1(SALU_CYCLE_1)
	s_and_b32 s9, vcc_lo, s0
	s_and_saveexec_b32 s0, s9
	s_cbranch_execz .LBB366_43
; %bb.42:                               ;   in Loop: Header=BB366_41 Depth=1
	global_load_b64 v[7:8], v[1:2], off
.LBB366_43:                             ;   in Loop: Header=BB366_41 Depth=1
	s_or_b32 exec_lo, exec_lo, s0
	v_add_co_u32 v15, vcc_lo, v27, s6
	v_add_co_ci_u32_e32 v16, vcc_lo, s7, v30, vcc_lo
	s_delay_alu instid0(VALU_DEP_1) | instskip(SKIP_1) | instid1(VALU_DEP_1)
	v_cmp_gt_i64_e32 vcc_lo, s[4:5], v[15:16]
	v_cmp_gt_u64_e64 s0, 0x10000, v[15:16]
	s_and_b32 s9, vcc_lo, s0
	s_delay_alu instid0(SALU_CYCLE_1)
	s_and_saveexec_b32 s0, s9
	s_cbranch_execz .LBB366_45
; %bb.44:                               ;   in Loop: Header=BB366_41 Depth=1
	global_load_b64 v[5:6], v[3:4], off
.LBB366_45:                             ;   in Loop: Header=BB366_41 Depth=1
	s_or_b32 exec_lo, exec_lo, s0
	v_add_co_u32 v17, vcc_lo, v31, s6
	v_add_co_ci_u32_e32 v18, vcc_lo, s7, v32, vcc_lo
	s_delay_alu instid0(VALU_DEP_1) | instskip(SKIP_1) | instid1(VALU_DEP_1)
	v_cmp_gt_i64_e32 vcc_lo, s[4:5], v[17:18]
	v_cmp_gt_u64_e64 s0, 0x10000, v[17:18]
	s_and_b32 s9, vcc_lo, s0
	s_delay_alu instid0(SALU_CYCLE_1)
	s_and_saveexec_b32 s0, s9
	s_cbranch_execz .LBB366_47
; %bb.46:                               ;   in Loop: Header=BB366_41 Depth=1
	v_add_co_u32 v11, vcc_lo, v1, s11
	v_add_co_ci_u32_e32 v12, vcc_lo, 0, v2, vcc_lo
	global_load_b64 v[11:12], v[11:12], off
.LBB366_47:                             ;   in Loop: Header=BB366_41 Depth=1
	s_or_b32 exec_lo, exec_lo, s0
	v_add_co_u32 v19, vcc_lo, v25, s6
	v_add_co_ci_u32_e32 v20, vcc_lo, s7, v26, vcc_lo
	s_delay_alu instid0(VALU_DEP_1) | instskip(SKIP_1) | instid1(VALU_DEP_1)
	v_cmp_gt_i64_e32 vcc_lo, s[4:5], v[19:20]
	v_cmp_gt_u64_e64 s0, 0x10000, v[19:20]
	s_and_b32 s9, vcc_lo, s0
	s_delay_alu instid0(SALU_CYCLE_1)
	s_and_saveexec_b32 s0, s9
	s_cbranch_execz .LBB366_49
; %bb.48:                               ;   in Loop: Header=BB366_41 Depth=1
	v_add_co_u32 v9, vcc_lo, v1, s8
	v_add_co_ci_u32_e32 v10, vcc_lo, 0, v2, vcc_lo
	global_load_b64 v[9:10], v[9:10], off
.LBB366_49:                             ;   in Loop: Header=BB366_41 Depth=1
	s_or_b32 exec_lo, exec_lo, s0
	s_waitcnt vmcnt(0)
	v_xor_b32_e32 v35, v7, v8
	v_cls_i32_e32 v36, v8
	s_mov_b32 s0, exec_lo
	s_delay_alu instid0(VALU_DEP_2) | instskip(NEXT) | instid1(VALU_DEP_2)
	v_ashrrev_i32_e32 v35, 31, v35
	v_add_nc_u32_e32 v36, -1, v36
	s_delay_alu instid0(VALU_DEP_2) | instskip(NEXT) | instid1(VALU_DEP_1)
	v_add_nc_u32_e32 v35, 32, v35
	v_min_u32_e32 v37, v36, v35
	s_delay_alu instid0(VALU_DEP_1) | instskip(NEXT) | instid1(VALU_DEP_1)
	v_lshlrev_b64 v[35:36], v37, v[7:8]
	v_min_u32_e32 v35, 1, v35
	s_delay_alu instid0(VALU_DEP_1) | instskip(SKIP_1) | instid1(VALU_DEP_2)
	v_or_b32_e32 v35, v36, v35
	v_sub_nc_u32_e32 v36, 32, v37
	v_cvt_f32_i32_e32 v35, v35
	s_delay_alu instid0(VALU_DEP_1) | instskip(SKIP_1) | instid1(VALU_DEP_2)
	v_ldexp_f32 v37, v35, v36
	v_dual_mov_b32 v36, 0x80 :: v_dual_mov_b32 v35, 0x80
	v_and_b32_e32 v38, 0x7fffffff, v37
	s_delay_alu instid0(VALU_DEP_1)
	v_cmpx_gt_u32_e32 0x43800000, v38
	s_cbranch_execz .LBB366_55
; %bb.50:                               ;   in Loop: Header=BB366_41 Depth=1
	v_cmp_lt_u32_e32 vcc_lo, 0x3bffffff, v38
	s_mov_b32 s9, 0
                                        ; implicit-def: $vgpr38
	s_and_saveexec_b32 s12, vcc_lo
	s_delay_alu instid0(SALU_CYCLE_1)
	s_xor_b32 s12, exec_lo, s12
	s_cbranch_execnz .LBB366_81
; %bb.51:                               ;   in Loop: Header=BB366_41 Depth=1
	s_or_saveexec_b32 s12, s12
                                        ; implicit-def: $sgpr13
	s_delay_alu instid0(SALU_CYCLE_1)
	s_xor_b32 exec_lo, exec_lo, s12
	s_cbranch_execnz .LBB366_82
.LBB366_52:                             ;   in Loop: Header=BB366_41 Depth=1
	s_or_b32 exec_lo, exec_lo, s12
	v_mov_b32_e32 v36, s13
	s_and_saveexec_b32 s12, s9
.LBB366_53:                             ;   in Loop: Header=BB366_41 Depth=1
	v_lshrrev_b32_e32 v36, 24, v37
	s_delay_alu instid0(VALU_DEP_1)
	v_and_or_b32 v36, 0x80, v36, v38
.LBB366_54:                             ;   in Loop: Header=BB366_41 Depth=1
	s_or_b32 exec_lo, exec_lo, s12
.LBB366_55:                             ;   in Loop: Header=BB366_41 Depth=1
	s_delay_alu instid0(SALU_CYCLE_1) | instskip(SKIP_3) | instid1(VALU_DEP_2)
	s_or_b32 exec_lo, exec_lo, s0
	v_xor_b32_e32 v37, v5, v6
	v_cls_i32_e32 v38, v6
	s_mov_b32 s0, exec_lo
	v_ashrrev_i32_e32 v37, 31, v37
	s_delay_alu instid0(VALU_DEP_2) | instskip(NEXT) | instid1(VALU_DEP_2)
	v_add_nc_u32_e32 v38, -1, v38
	v_add_nc_u32_e32 v37, 32, v37
	s_delay_alu instid0(VALU_DEP_1) | instskip(NEXT) | instid1(VALU_DEP_1)
	v_min_u32_e32 v39, v38, v37
	v_lshlrev_b64 v[37:38], v39, v[5:6]
	s_delay_alu instid0(VALU_DEP_1) | instskip(NEXT) | instid1(VALU_DEP_1)
	v_min_u32_e32 v37, 1, v37
	v_or_b32_e32 v37, v38, v37
	v_sub_nc_u32_e32 v38, 32, v39
	s_delay_alu instid0(VALU_DEP_2) | instskip(NEXT) | instid1(VALU_DEP_1)
	v_cvt_f32_i32_e32 v37, v37
	v_ldexp_f32 v37, v37, v38
	s_delay_alu instid0(VALU_DEP_1) | instskip(NEXT) | instid1(VALU_DEP_1)
	v_and_b32_e32 v38, 0x7fffffff, v37
	v_cmpx_gt_u32_e32 0x43800000, v38
	s_cbranch_execz .LBB366_61
; %bb.56:                               ;   in Loop: Header=BB366_41 Depth=1
	v_cmp_lt_u32_e32 vcc_lo, 0x3bffffff, v38
	s_mov_b32 s9, 0
                                        ; implicit-def: $vgpr38
	s_and_saveexec_b32 s12, vcc_lo
	s_delay_alu instid0(SALU_CYCLE_1)
	s_xor_b32 s12, exec_lo, s12
	s_cbranch_execnz .LBB366_83
; %bb.57:                               ;   in Loop: Header=BB366_41 Depth=1
	s_or_saveexec_b32 s12, s12
                                        ; implicit-def: $sgpr13
	s_delay_alu instid0(SALU_CYCLE_1)
	s_xor_b32 exec_lo, exec_lo, s12
	s_cbranch_execnz .LBB366_84
.LBB366_58:                             ;   in Loop: Header=BB366_41 Depth=1
	s_or_b32 exec_lo, exec_lo, s12
	v_mov_b32_e32 v35, s13
	s_and_saveexec_b32 s12, s9
.LBB366_59:                             ;   in Loop: Header=BB366_41 Depth=1
	v_lshrrev_b32_e32 v35, 24, v37
	s_delay_alu instid0(VALU_DEP_1)
	v_and_or_b32 v35, 0x80, v35, v38
.LBB366_60:                             ;   in Loop: Header=BB366_41 Depth=1
	s_or_b32 exec_lo, exec_lo, s12
.LBB366_61:                             ;   in Loop: Header=BB366_41 Depth=1
	s_delay_alu instid0(SALU_CYCLE_1) | instskip(SKIP_3) | instid1(VALU_DEP_2)
	s_or_b32 exec_lo, exec_lo, s0
	v_xor_b32_e32 v37, v11, v12
	v_cls_i32_e32 v38, v12
	s_mov_b32 s0, exec_lo
	v_ashrrev_i32_e32 v37, 31, v37
	s_delay_alu instid0(VALU_DEP_2) | instskip(NEXT) | instid1(VALU_DEP_2)
	v_add_nc_u32_e32 v38, -1, v38
	v_add_nc_u32_e32 v37, 32, v37
	s_delay_alu instid0(VALU_DEP_1) | instskip(NEXT) | instid1(VALU_DEP_1)
	v_min_u32_e32 v39, v38, v37
	v_lshlrev_b64 v[37:38], v39, v[11:12]
	s_delay_alu instid0(VALU_DEP_1) | instskip(NEXT) | instid1(VALU_DEP_1)
	v_min_u32_e32 v37, 1, v37
	v_or_b32_e32 v37, v38, v37
	v_sub_nc_u32_e32 v38, 32, v39
	s_delay_alu instid0(VALU_DEP_2) | instskip(NEXT) | instid1(VALU_DEP_1)
	v_cvt_f32_i32_e32 v37, v37
	v_ldexp_f32 v39, v37, v38
	v_dual_mov_b32 v38, 0x80 :: v_dual_mov_b32 v37, 0x80
	s_delay_alu instid0(VALU_DEP_2) | instskip(NEXT) | instid1(VALU_DEP_1)
	v_and_b32_e32 v40, 0x7fffffff, v39
	v_cmpx_gt_u32_e32 0x43800000, v40
	s_cbranch_execz .LBB366_67
; %bb.62:                               ;   in Loop: Header=BB366_41 Depth=1
	v_cmp_lt_u32_e32 vcc_lo, 0x3bffffff, v40
	s_mov_b32 s9, 0
                                        ; implicit-def: $vgpr40
	s_and_saveexec_b32 s12, vcc_lo
	s_delay_alu instid0(SALU_CYCLE_1)
	s_xor_b32 s12, exec_lo, s12
	s_cbranch_execnz .LBB366_85
; %bb.63:                               ;   in Loop: Header=BB366_41 Depth=1
	s_or_saveexec_b32 s12, s12
                                        ; implicit-def: $sgpr13
	s_delay_alu instid0(SALU_CYCLE_1)
	s_xor_b32 exec_lo, exec_lo, s12
	s_cbranch_execnz .LBB366_86
.LBB366_64:                             ;   in Loop: Header=BB366_41 Depth=1
	s_or_b32 exec_lo, exec_lo, s12
	v_mov_b32_e32 v38, s13
	s_and_saveexec_b32 s12, s9
.LBB366_65:                             ;   in Loop: Header=BB366_41 Depth=1
	v_lshrrev_b32_e32 v38, 24, v39
	s_delay_alu instid0(VALU_DEP_1)
	v_and_or_b32 v38, 0x80, v38, v40
.LBB366_66:                             ;   in Loop: Header=BB366_41 Depth=1
	s_or_b32 exec_lo, exec_lo, s12
.LBB366_67:                             ;   in Loop: Header=BB366_41 Depth=1
	s_delay_alu instid0(SALU_CYCLE_1) | instskip(SKIP_3) | instid1(VALU_DEP_2)
	s_or_b32 exec_lo, exec_lo, s0
	v_xor_b32_e32 v39, v9, v10
	v_cls_i32_e32 v40, v10
	s_mov_b32 s0, exec_lo
	v_ashrrev_i32_e32 v39, 31, v39
	s_delay_alu instid0(VALU_DEP_2) | instskip(NEXT) | instid1(VALU_DEP_2)
	v_add_nc_u32_e32 v40, -1, v40
	v_add_nc_u32_e32 v39, 32, v39
	s_delay_alu instid0(VALU_DEP_1) | instskip(NEXT) | instid1(VALU_DEP_1)
	v_min_u32_e32 v41, v40, v39
	v_lshlrev_b64 v[39:40], v41, v[9:10]
	s_delay_alu instid0(VALU_DEP_1) | instskip(NEXT) | instid1(VALU_DEP_1)
	v_min_u32_e32 v39, 1, v39
	v_or_b32_e32 v39, v40, v39
	v_sub_nc_u32_e32 v40, 32, v41
	s_delay_alu instid0(VALU_DEP_2) | instskip(NEXT) | instid1(VALU_DEP_1)
	v_cvt_f32_i32_e32 v39, v39
	v_ldexp_f32 v39, v39, v40
	s_delay_alu instid0(VALU_DEP_1) | instskip(NEXT) | instid1(VALU_DEP_1)
	v_and_b32_e32 v40, 0x7fffffff, v39
	v_cmpx_gt_u32_e32 0x43800000, v40
	s_cbranch_execz .LBB366_73
; %bb.68:                               ;   in Loop: Header=BB366_41 Depth=1
	v_cmp_lt_u32_e32 vcc_lo, 0x3bffffff, v40
	s_mov_b32 s9, 0
                                        ; implicit-def: $vgpr40
	s_and_saveexec_b32 s12, vcc_lo
	s_delay_alu instid0(SALU_CYCLE_1)
	s_xor_b32 s12, exec_lo, s12
	s_cbranch_execnz .LBB366_87
; %bb.69:                               ;   in Loop: Header=BB366_41 Depth=1
	s_or_saveexec_b32 s12, s12
                                        ; implicit-def: $sgpr13
	s_delay_alu instid0(SALU_CYCLE_1)
	s_xor_b32 exec_lo, exec_lo, s12
	s_cbranch_execnz .LBB366_88
.LBB366_70:                             ;   in Loop: Header=BB366_41 Depth=1
	s_or_b32 exec_lo, exec_lo, s12
	v_mov_b32_e32 v37, s13
	s_and_saveexec_b32 s12, s9
.LBB366_71:                             ;   in Loop: Header=BB366_41 Depth=1
	v_lshrrev_b32_e32 v37, 24, v39
	s_delay_alu instid0(VALU_DEP_1)
	v_and_or_b32 v37, 0x80, v37, v40
.LBB366_72:                             ;   in Loop: Header=BB366_41 Depth=1
	s_or_b32 exec_lo, exec_lo, s12
.LBB366_73:                             ;   in Loop: Header=BB366_41 Depth=1
	s_delay_alu instid0(SALU_CYCLE_1) | instskip(NEXT) | instid1(SALU_CYCLE_1)
	s_or_b32 exec_lo, exec_lo, s0
	s_mov_b32 s0, exec_lo
	v_cmpx_gt_u64_e64 s[2:3], v[13:14]
	s_xor_b32 s0, exec_lo, s0
	s_cbranch_execnz .LBB366_77
; %bb.74:                               ;   in Loop: Header=BB366_41 Depth=1
	s_or_b32 exec_lo, exec_lo, s0
	s_delay_alu instid0(SALU_CYCLE_1)
	s_mov_b32 s0, exec_lo
	v_cmpx_gt_u64_e64 s[2:3], v[15:16]
	s_cbranch_execnz .LBB366_78
.LBB366_75:                             ;   in Loop: Header=BB366_41 Depth=1
	s_or_b32 exec_lo, exec_lo, s0
	s_delay_alu instid0(SALU_CYCLE_1)
	s_mov_b32 s0, exec_lo
	v_cmpx_gt_u64_e64 s[2:3], v[17:18]
	s_cbranch_execnz .LBB366_79
.LBB366_76:                             ;   in Loop: Header=BB366_41 Depth=1
	s_or_b32 exec_lo, exec_lo, s0
	s_delay_alu instid0(SALU_CYCLE_1)
	s_mov_b32 s0, exec_lo
	v_cmpx_gt_u64_e64 s[2:3], v[19:20]
	s_cbranch_execz .LBB366_40
	s_branch .LBB366_80
.LBB366_77:                             ;   in Loop: Header=BB366_41 Depth=1
	v_add_co_u32 v13, vcc_lo, v21, s6
	v_add_co_ci_u32_e32 v14, vcc_lo, s7, v22, vcc_lo
	global_store_b8 v[13:14], v36, off
	s_or_b32 exec_lo, exec_lo, s0
	s_delay_alu instid0(SALU_CYCLE_1)
	s_mov_b32 s0, exec_lo
	v_cmpx_gt_u64_e64 s[2:3], v[15:16]
	s_cbranch_execz .LBB366_75
.LBB366_78:                             ;   in Loop: Header=BB366_41 Depth=1
	v_add_co_u32 v13, vcc_lo, v33, s6
	v_add_co_ci_u32_e32 v14, vcc_lo, s7, v34, vcc_lo
	global_store_b8 v[13:14], v35, off
	s_or_b32 exec_lo, exec_lo, s0
	s_delay_alu instid0(SALU_CYCLE_1)
	s_mov_b32 s0, exec_lo
	v_cmpx_gt_u64_e64 s[2:3], v[17:18]
	s_cbranch_execz .LBB366_76
.LBB366_79:                             ;   in Loop: Header=BB366_41 Depth=1
	v_add_co_u32 v13, vcc_lo, v28, s6
	v_add_co_ci_u32_e32 v14, vcc_lo, s7, v29, vcc_lo
	global_store_b8 v[13:14], v38, off
	s_or_b32 exec_lo, exec_lo, s0
	s_delay_alu instid0(SALU_CYCLE_1)
	s_mov_b32 s0, exec_lo
	v_cmpx_gt_u64_e64 s[2:3], v[19:20]
	s_cbranch_execz .LBB366_40
.LBB366_80:                             ;   in Loop: Header=BB366_41 Depth=1
	v_add_co_u32 v13, vcc_lo, v23, s6
	v_add_co_ci_u32_e32 v14, vcc_lo, s7, v24, vcc_lo
	global_store_b8 v[13:14], v37, off
	s_branch .LBB366_40
.LBB366_81:                             ;   in Loop: Header=BB366_41 Depth=1
	v_bfe_u32 v36, v37, 20, 1
	s_mov_b32 s9, exec_lo
	s_delay_alu instid0(VALU_DEP_1) | instskip(NEXT) | instid1(VALU_DEP_1)
	v_add3_u32 v36, v37, v36, 0x487ffff
	v_lshrrev_b32_e32 v38, 20, v36
	s_or_saveexec_b32 s12, s12
                                        ; implicit-def: $sgpr13
	s_delay_alu instid0(SALU_CYCLE_1)
	s_xor_b32 exec_lo, exec_lo, s12
	s_cbranch_execz .LBB366_52
.LBB366_82:                             ;   in Loop: Header=BB366_41 Depth=1
	v_add_f32_e64 v36, 0x46000000, |v37|
	s_and_not1_b32 s9, s9, exec_lo
	s_mov_b32 s13, 0
	s_delay_alu instid0(VALU_DEP_1) | instskip(NEXT) | instid1(VALU_DEP_1)
	v_and_b32_e32 v38, 0xff, v36
	v_cmp_ne_u32_e32 vcc_lo, 0, v38
	s_and_b32 s14, vcc_lo, exec_lo
	s_delay_alu instid0(SALU_CYCLE_1)
	s_or_b32 s9, s9, s14
	s_or_b32 exec_lo, exec_lo, s12
	v_mov_b32_e32 v36, s13
	s_and_saveexec_b32 s12, s9
	s_cbranch_execnz .LBB366_53
	s_branch .LBB366_54
.LBB366_83:                             ;   in Loop: Header=BB366_41 Depth=1
	v_bfe_u32 v35, v37, 20, 1
	s_mov_b32 s9, exec_lo
	s_delay_alu instid0(VALU_DEP_1) | instskip(NEXT) | instid1(VALU_DEP_1)
	v_add3_u32 v35, v37, v35, 0x487ffff
	v_lshrrev_b32_e32 v38, 20, v35
	s_or_saveexec_b32 s12, s12
                                        ; implicit-def: $sgpr13
	s_delay_alu instid0(SALU_CYCLE_1)
	s_xor_b32 exec_lo, exec_lo, s12
	s_cbranch_execz .LBB366_58
.LBB366_84:                             ;   in Loop: Header=BB366_41 Depth=1
	v_add_f32_e64 v35, 0x46000000, |v37|
	s_and_not1_b32 s9, s9, exec_lo
	s_mov_b32 s13, 0
	s_delay_alu instid0(VALU_DEP_1) | instskip(NEXT) | instid1(VALU_DEP_1)
	v_and_b32_e32 v38, 0xff, v35
	v_cmp_ne_u32_e32 vcc_lo, 0, v38
	s_and_b32 s14, vcc_lo, exec_lo
	s_delay_alu instid0(SALU_CYCLE_1)
	s_or_b32 s9, s9, s14
	s_or_b32 exec_lo, exec_lo, s12
	v_mov_b32_e32 v35, s13
	s_and_saveexec_b32 s12, s9
	s_cbranch_execnz .LBB366_59
	s_branch .LBB366_60
.LBB366_85:                             ;   in Loop: Header=BB366_41 Depth=1
	v_bfe_u32 v38, v39, 20, 1
	s_mov_b32 s9, exec_lo
	s_delay_alu instid0(VALU_DEP_1) | instskip(NEXT) | instid1(VALU_DEP_1)
	v_add3_u32 v38, v39, v38, 0x487ffff
	v_lshrrev_b32_e32 v40, 20, v38
	s_or_saveexec_b32 s12, s12
                                        ; implicit-def: $sgpr13
	s_delay_alu instid0(SALU_CYCLE_1)
	s_xor_b32 exec_lo, exec_lo, s12
	s_cbranch_execz .LBB366_64
.LBB366_86:                             ;   in Loop: Header=BB366_41 Depth=1
	v_add_f32_e64 v38, 0x46000000, |v39|
	s_and_not1_b32 s9, s9, exec_lo
	s_mov_b32 s13, 0
	s_delay_alu instid0(VALU_DEP_1) | instskip(NEXT) | instid1(VALU_DEP_1)
	v_and_b32_e32 v40, 0xff, v38
	v_cmp_ne_u32_e32 vcc_lo, 0, v40
	s_and_b32 s14, vcc_lo, exec_lo
	s_delay_alu instid0(SALU_CYCLE_1)
	s_or_b32 s9, s9, s14
	s_or_b32 exec_lo, exec_lo, s12
	v_mov_b32_e32 v38, s13
	s_and_saveexec_b32 s12, s9
	s_cbranch_execnz .LBB366_65
	s_branch .LBB366_66
.LBB366_87:                             ;   in Loop: Header=BB366_41 Depth=1
	v_bfe_u32 v37, v39, 20, 1
	s_mov_b32 s9, exec_lo
	s_delay_alu instid0(VALU_DEP_1) | instskip(NEXT) | instid1(VALU_DEP_1)
	v_add3_u32 v37, v39, v37, 0x487ffff
	v_lshrrev_b32_e32 v40, 20, v37
	s_or_saveexec_b32 s12, s12
                                        ; implicit-def: $sgpr13
	s_delay_alu instid0(SALU_CYCLE_1)
	s_xor_b32 exec_lo, exec_lo, s12
	s_cbranch_execz .LBB366_70
.LBB366_88:                             ;   in Loop: Header=BB366_41 Depth=1
	v_add_f32_e64 v37, 0x46000000, |v39|
	s_and_not1_b32 s9, s9, exec_lo
	s_mov_b32 s13, 0
	s_delay_alu instid0(VALU_DEP_1) | instskip(NEXT) | instid1(VALU_DEP_1)
	v_and_b32_e32 v40, 0xff, v37
	v_cmp_ne_u32_e32 vcc_lo, 0, v40
	s_and_b32 s14, vcc_lo, exec_lo
	s_delay_alu instid0(SALU_CYCLE_1)
	s_or_b32 s9, s9, s14
	s_or_b32 exec_lo, exec_lo, s12
	v_mov_b32_e32 v37, s13
	s_and_saveexec_b32 s12, s9
	s_cbranch_execnz .LBB366_71
	s_branch .LBB366_72
.LBB366_89:
	s_nop 0
	s_sendmsg sendmsg(MSG_DEALLOC_VGPRS)
	s_endpgm
	.section	.rodata,"a",@progbits
	.p2align	6, 0x0
	.amdhsa_kernel _ZN2at6native12_GLOBAL__N_125multi_tensor_apply_kernelINS1_18TensorListMetadataILi2EEENS1_11CopyFunctorIN3c1015Float8_e4m3fnuzElLi2ELi1ELi1EEEJNS0_4CopyIS7_lEEEEEvT_T0_DpT1_
		.amdhsa_group_segment_fixed_size 0
		.amdhsa_private_segment_fixed_size 0
		.amdhsa_kernarg_size 3408
		.amdhsa_user_sgpr_count 15
		.amdhsa_user_sgpr_dispatch_ptr 0
		.amdhsa_user_sgpr_queue_ptr 0
		.amdhsa_user_sgpr_kernarg_segment_ptr 1
		.amdhsa_user_sgpr_dispatch_id 0
		.amdhsa_user_sgpr_private_segment_size 0
		.amdhsa_wavefront_size32 1
		.amdhsa_uses_dynamic_stack 0
		.amdhsa_enable_private_segment 0
		.amdhsa_system_sgpr_workgroup_id_x 1
		.amdhsa_system_sgpr_workgroup_id_y 0
		.amdhsa_system_sgpr_workgroup_id_z 0
		.amdhsa_system_sgpr_workgroup_info 0
		.amdhsa_system_vgpr_workitem_id 0
		.amdhsa_next_free_vgpr 42
		.amdhsa_next_free_sgpr 23
		.amdhsa_reserve_vcc 1
		.amdhsa_float_round_mode_32 0
		.amdhsa_float_round_mode_16_64 0
		.amdhsa_float_denorm_mode_32 3
		.amdhsa_float_denorm_mode_16_64 3
		.amdhsa_dx10_clamp 1
		.amdhsa_ieee_mode 1
		.amdhsa_fp16_overflow 0
		.amdhsa_workgroup_processor_mode 1
		.amdhsa_memory_ordered 1
		.amdhsa_forward_progress 0
		.amdhsa_shared_vgpr_count 0
		.amdhsa_exception_fp_ieee_invalid_op 0
		.amdhsa_exception_fp_denorm_src 0
		.amdhsa_exception_fp_ieee_div_zero 0
		.amdhsa_exception_fp_ieee_overflow 0
		.amdhsa_exception_fp_ieee_underflow 0
		.amdhsa_exception_fp_ieee_inexact 0
		.amdhsa_exception_int_div_zero 0
	.end_amdhsa_kernel
	.section	.text._ZN2at6native12_GLOBAL__N_125multi_tensor_apply_kernelINS1_18TensorListMetadataILi2EEENS1_11CopyFunctorIN3c1015Float8_e4m3fnuzElLi2ELi1ELi1EEEJNS0_4CopyIS7_lEEEEEvT_T0_DpT1_,"axG",@progbits,_ZN2at6native12_GLOBAL__N_125multi_tensor_apply_kernelINS1_18TensorListMetadataILi2EEENS1_11CopyFunctorIN3c1015Float8_e4m3fnuzElLi2ELi1ELi1EEEJNS0_4CopyIS7_lEEEEEvT_T0_DpT1_,comdat
.Lfunc_end366:
	.size	_ZN2at6native12_GLOBAL__N_125multi_tensor_apply_kernelINS1_18TensorListMetadataILi2EEENS1_11CopyFunctorIN3c1015Float8_e4m3fnuzElLi2ELi1ELi1EEEJNS0_4CopyIS7_lEEEEEvT_T0_DpT1_, .Lfunc_end366-_ZN2at6native12_GLOBAL__N_125multi_tensor_apply_kernelINS1_18TensorListMetadataILi2EEENS1_11CopyFunctorIN3c1015Float8_e4m3fnuzElLi2ELi1ELi1EEEJNS0_4CopyIS7_lEEEEEvT_T0_DpT1_
                                        ; -- End function
	.section	.AMDGPU.csdata,"",@progbits
; Kernel info:
; codeLenInByte = 3864
; NumSgprs: 25
; NumVgprs: 42
; ScratchSize: 0
; MemoryBound: 1
; FloatMode: 240
; IeeeMode: 1
; LDSByteSize: 0 bytes/workgroup (compile time only)
; SGPRBlocks: 3
; VGPRBlocks: 5
; NumSGPRsForWavesPerEU: 25
; NumVGPRsForWavesPerEU: 42
; Occupancy: 16
; WaveLimiterHint : 0
; COMPUTE_PGM_RSRC2:SCRATCH_EN: 0
; COMPUTE_PGM_RSRC2:USER_SGPR: 15
; COMPUTE_PGM_RSRC2:TRAP_HANDLER: 0
; COMPUTE_PGM_RSRC2:TGID_X_EN: 1
; COMPUTE_PGM_RSRC2:TGID_Y_EN: 0
; COMPUTE_PGM_RSRC2:TGID_Z_EN: 0
; COMPUTE_PGM_RSRC2:TIDIG_COMP_CNT: 0
	.section	.text._ZN2at6native12_GLOBAL__N_125multi_tensor_apply_kernelINS1_18TensorListMetadataILi2EEENS1_11CopyFunctorIN3c1015Float8_e4m3fnuzEsLi2ELi1ELi1EEEJNS0_4CopyIS7_sEEEEEvT_T0_DpT1_,"axG",@progbits,_ZN2at6native12_GLOBAL__N_125multi_tensor_apply_kernelINS1_18TensorListMetadataILi2EEENS1_11CopyFunctorIN3c1015Float8_e4m3fnuzEsLi2ELi1ELi1EEEJNS0_4CopyIS7_sEEEEEvT_T0_DpT1_,comdat
	.globl	_ZN2at6native12_GLOBAL__N_125multi_tensor_apply_kernelINS1_18TensorListMetadataILi2EEENS1_11CopyFunctorIN3c1015Float8_e4m3fnuzEsLi2ELi1ELi1EEEJNS0_4CopyIS7_sEEEEEvT_T0_DpT1_ ; -- Begin function _ZN2at6native12_GLOBAL__N_125multi_tensor_apply_kernelINS1_18TensorListMetadataILi2EEENS1_11CopyFunctorIN3c1015Float8_e4m3fnuzEsLi2ELi1ELi1EEEJNS0_4CopyIS7_sEEEEEvT_T0_DpT1_
	.p2align	8
	.type	_ZN2at6native12_GLOBAL__N_125multi_tensor_apply_kernelINS1_18TensorListMetadataILi2EEENS1_11CopyFunctorIN3c1015Float8_e4m3fnuzEsLi2ELi1ELi1EEEJNS0_4CopyIS7_sEEEEEvT_T0_DpT1_,@function
_ZN2at6native12_GLOBAL__N_125multi_tensor_apply_kernelINS1_18TensorListMetadataILi2EEENS1_11CopyFunctorIN3c1015Float8_e4m3fnuzEsLi2ELi1ELi1EEEJNS0_4CopyIS7_sEEEEEvT_T0_DpT1_: ; @_ZN2at6native12_GLOBAL__N_125multi_tensor_apply_kernelINS1_18TensorListMetadataILi2EEENS1_11CopyFunctorIN3c1015Float8_e4m3fnuzEsLi2ELi1ELi1EEEJNS0_4CopyIS7_sEEEEEvT_T0_DpT1_
; %bb.0:
	v_mov_b32_e32 v1, s15
	s_add_u32 s2, s0, s15
	s_mul_i32 s4, s15, 3
	s_addc_u32 s3, s1, 0
	s_mul_hi_u32 s5, s15, 3
	global_load_u8 v1, v1, s[0:1] offset:1536
	s_add_u32 s2, s2, s4
	s_addc_u32 s3, s3, s5
	s_mov_b32 s17, 0
	s_load_b32 s10, s[2:3], 0x740
	s_waitcnt lgkmcnt(0)
	s_ashr_i32 s11, s10, 31
	s_delay_alu instid0(SALU_CYCLE_1) | instskip(SKIP_2) | instid1(VALU_DEP_1)
	s_lshl_b64 s[8:9], s[10:11], 16
	s_waitcnt vmcnt(0)
	v_readfirstlane_b32 s4, v1
	s_lshl_b32 s4, s4, 3
	s_clause 0x2
	s_load_b64 s[6:7], s[0:1], s4 offset:0x200
	s_load_b64 s[2:3], s[0:1], s4 offset:0x400
	;; [unrolled: 1-line block ×3, first 2 shown]
	s_waitcnt lgkmcnt(0)
	s_add_u32 s14, s6, s8
	s_addc_u32 s15, s7, s9
	s_delay_alu instid0(SALU_CYCLE_1) | instskip(SKIP_2) | instid1(SALU_CYCLE_1)
	s_or_b64 s[4:5], s[2:3], s[14:15]
	s_and_b32 s5, s12, 7
	s_and_b32 s4, s4, 3
	s_or_b32 s16, s4, s5
	s_sub_u32 s4, s2, s8
	s_subb_u32 s5, s3, s9
	s_cmp_eq_u64 s[16:17], 0
	s_mov_b32 s2, -1
	s_cbranch_scc0 .LBB367_37
; %bb.1:
	v_dual_mov_b32 v2, 0 :: v_dual_lshlrev_b32 v1, 2, v0
	s_mov_b32 s3, exec_lo
	s_delay_alu instid0(VALU_DEP_1)
	v_cmpx_gt_i64_e64 s[4:5], v[1:2]
	s_cbranch_execz .LBB367_36
; %bb.2:
	s_load_b32 s2, s[0:1], 0xc5c
	v_lshlrev_b32_e32 v3, 3, v0
	s_lshl_b64 s[16:17], s[10:11], 17
	s_waitcnt lgkmcnt(0)
	s_and_b32 s2, s2, 0xffff
	s_add_u32 s16, s12, s16
	s_addc_u32 s17, s13, s17
	v_add_co_u32 v3, s16, s16, v3
	s_delay_alu instid0(VALU_DEP_1)
	v_add_co_ci_u32_e64 v4, null, s17, 0, s16
	s_mov_b32 s16, 0
	s_lshl_b32 s17, s2, 3
	s_lshl_b32 s18, s2, 2
	s_branch .LBB367_5
.LBB367_3:                              ;   in Loop: Header=BB367_5 Depth=1
	s_or_b32 exec_lo, exec_lo, s20
.LBB367_4:                              ;   in Loop: Header=BB367_5 Depth=1
	s_delay_alu instid0(SALU_CYCLE_1)
	s_or_b32 exec_lo, exec_lo, s2
	v_add_co_u32 v10, vcc_lo, s14, v1
	v_add_co_ci_u32_e32 v11, vcc_lo, s15, v2, vcc_lo
	v_add_co_u32 v1, vcc_lo, s18, v1
	v_add_co_ci_u32_e32 v2, vcc_lo, 0, v2, vcc_lo
	v_lshlrev_b32_e32 v6, 16, v9
	v_lshlrev_b32_e32 v8, 8, v8
	v_and_b32_e32 v7, 0xff, v7
	s_delay_alu instid0(VALU_DEP_4) | instskip(SKIP_3) | instid1(VALU_DEP_3)
	v_cmp_le_i64_e32 vcc_lo, s[4:5], v[1:2]
	v_cmp_lt_u64_e64 s2, 0xffff, v[1:2]
	v_perm_b32 v5, v5, v6, 0x4020c0c
	v_and_b32_e32 v6, 0xff00, v8
	s_or_b32 s2, vcc_lo, s2
	v_add_co_u32 v3, vcc_lo, v3, s17
	s_delay_alu instid0(VALU_DEP_2) | instskip(SKIP_2) | instid1(SALU_CYCLE_1)
	v_or3_b32 v5, v5, v6, v7
	v_add_co_ci_u32_e32 v4, vcc_lo, 0, v4, vcc_lo
	s_and_b32 s2, exec_lo, s2
	s_or_b32 s16, s2, s16
	global_store_b32 v[10:11], v5, off
	s_and_not1_b32 exec_lo, exec_lo, s16
	s_cbranch_execz .LBB367_36
.LBB367_5:                              ; =>This Inner Loop Header: Depth=1
	global_load_b64 v[5:6], v[3:4], off
	v_mov_b32_e32 v8, 0x80
	s_mov_b32 s2, exec_lo
	s_waitcnt vmcnt(0)
	v_bfe_i32 v7, v5, 0, 16
	s_delay_alu instid0(VALU_DEP_1) | instskip(SKIP_1) | instid1(VALU_DEP_2)
	v_cvt_f32_i32_e32 v9, v7
	v_mov_b32_e32 v7, 0x80
	v_and_b32_e32 v10, 0x7fffffff, v9
	s_delay_alu instid0(VALU_DEP_1)
	v_cmpx_gt_u32_e32 0x43800000, v10
	s_cbranch_execz .LBB367_11
; %bb.6:                                ;   in Loop: Header=BB367_5 Depth=1
	v_cmp_lt_u32_e32 vcc_lo, 0x3bffffff, v10
	s_mov_b32 s19, 0
                                        ; implicit-def: $vgpr10
	s_and_saveexec_b32 s20, vcc_lo
	s_delay_alu instid0(SALU_CYCLE_1)
	s_xor_b32 s20, exec_lo, s20
	s_cbranch_execnz .LBB367_27
; %bb.7:                                ;   in Loop: Header=BB367_5 Depth=1
	s_or_saveexec_b32 s20, s20
                                        ; implicit-def: $sgpr21
	s_delay_alu instid0(SALU_CYCLE_1)
	s_xor_b32 exec_lo, exec_lo, s20
	s_cbranch_execnz .LBB367_28
.LBB367_8:                              ;   in Loop: Header=BB367_5 Depth=1
	s_or_b32 exec_lo, exec_lo, s20
	v_mov_b32_e32 v7, s21
	s_and_saveexec_b32 s20, s19
.LBB367_9:                              ;   in Loop: Header=BB367_5 Depth=1
	v_lshrrev_b32_e32 v7, 24, v9
	s_delay_alu instid0(VALU_DEP_1)
	v_and_or_b32 v7, 0x80, v7, v10
.LBB367_10:                             ;   in Loop: Header=BB367_5 Depth=1
	s_or_b32 exec_lo, exec_lo, s20
.LBB367_11:                             ;   in Loop: Header=BB367_5 Depth=1
	s_delay_alu instid0(SALU_CYCLE_1) | instskip(SKIP_2) | instid1(VALU_DEP_1)
	s_or_b32 exec_lo, exec_lo, s2
	v_ashrrev_i32_e32 v5, 16, v5
	s_mov_b32 s2, exec_lo
	v_cvt_f32_i32_e32 v5, v5
	s_delay_alu instid0(VALU_DEP_1) | instskip(NEXT) | instid1(VALU_DEP_1)
	v_and_b32_e32 v9, 0x7fffffff, v5
	v_cmpx_gt_u32_e32 0x43800000, v9
	s_cbranch_execz .LBB367_17
; %bb.12:                               ;   in Loop: Header=BB367_5 Depth=1
	v_cmp_lt_u32_e32 vcc_lo, 0x3bffffff, v9
	s_mov_b32 s19, 0
                                        ; implicit-def: $vgpr9
	s_and_saveexec_b32 s20, vcc_lo
	s_delay_alu instid0(SALU_CYCLE_1)
	s_xor_b32 s20, exec_lo, s20
	s_cbranch_execnz .LBB367_29
; %bb.13:                               ;   in Loop: Header=BB367_5 Depth=1
	s_or_saveexec_b32 s20, s20
                                        ; implicit-def: $sgpr21
	s_delay_alu instid0(SALU_CYCLE_1)
	s_xor_b32 exec_lo, exec_lo, s20
	s_cbranch_execnz .LBB367_30
.LBB367_14:                             ;   in Loop: Header=BB367_5 Depth=1
	s_or_b32 exec_lo, exec_lo, s20
	v_mov_b32_e32 v8, s21
	s_and_saveexec_b32 s20, s19
.LBB367_15:                             ;   in Loop: Header=BB367_5 Depth=1
	v_lshrrev_b32_e32 v5, 24, v5
	s_delay_alu instid0(VALU_DEP_1)
	v_and_or_b32 v8, 0x80, v5, v9
.LBB367_16:                             ;   in Loop: Header=BB367_5 Depth=1
	s_or_b32 exec_lo, exec_lo, s20
.LBB367_17:                             ;   in Loop: Header=BB367_5 Depth=1
	s_delay_alu instid0(SALU_CYCLE_1) | instskip(SKIP_3) | instid1(VALU_DEP_2)
	s_or_b32 exec_lo, exec_lo, s2
	v_bfe_i32 v5, v6, 0, 16
	v_mov_b32_e32 v9, 0x80
	s_mov_b32 s2, exec_lo
	v_cvt_f32_i32_e32 v10, v5
	v_mov_b32_e32 v5, 0x80
	s_delay_alu instid0(VALU_DEP_2) | instskip(NEXT) | instid1(VALU_DEP_1)
	v_and_b32_e32 v11, 0x7fffffff, v10
	v_cmpx_gt_u32_e32 0x43800000, v11
	s_cbranch_execz .LBB367_23
; %bb.18:                               ;   in Loop: Header=BB367_5 Depth=1
	v_cmp_lt_u32_e32 vcc_lo, 0x3bffffff, v11
	s_mov_b32 s19, 0
                                        ; implicit-def: $vgpr11
	s_and_saveexec_b32 s20, vcc_lo
	s_delay_alu instid0(SALU_CYCLE_1)
	s_xor_b32 s20, exec_lo, s20
	s_cbranch_execnz .LBB367_31
; %bb.19:                               ;   in Loop: Header=BB367_5 Depth=1
	s_or_saveexec_b32 s20, s20
                                        ; implicit-def: $sgpr21
	s_delay_alu instid0(SALU_CYCLE_1)
	s_xor_b32 exec_lo, exec_lo, s20
	s_cbranch_execnz .LBB367_32
.LBB367_20:                             ;   in Loop: Header=BB367_5 Depth=1
	s_or_b32 exec_lo, exec_lo, s20
	v_mov_b32_e32 v9, s21
	s_and_saveexec_b32 s20, s19
.LBB367_21:                             ;   in Loop: Header=BB367_5 Depth=1
	v_lshrrev_b32_e32 v9, 24, v10
	s_delay_alu instid0(VALU_DEP_1)
	v_and_or_b32 v9, 0x80, v9, v11
.LBB367_22:                             ;   in Loop: Header=BB367_5 Depth=1
	s_or_b32 exec_lo, exec_lo, s20
.LBB367_23:                             ;   in Loop: Header=BB367_5 Depth=1
	s_delay_alu instid0(SALU_CYCLE_1) | instskip(SKIP_2) | instid1(VALU_DEP_1)
	s_or_b32 exec_lo, exec_lo, s2
	v_ashrrev_i32_e32 v6, 16, v6
	s_mov_b32 s2, exec_lo
	v_cvt_f32_i32_e32 v6, v6
	s_delay_alu instid0(VALU_DEP_1) | instskip(NEXT) | instid1(VALU_DEP_1)
	v_and_b32_e32 v10, 0x7fffffff, v6
	v_cmpx_gt_u32_e32 0x43800000, v10
	s_cbranch_execz .LBB367_4
; %bb.24:                               ;   in Loop: Header=BB367_5 Depth=1
	v_cmp_lt_u32_e32 vcc_lo, 0x3bffffff, v10
	s_mov_b32 s19, 0
                                        ; implicit-def: $vgpr10
	s_and_saveexec_b32 s20, vcc_lo
	s_delay_alu instid0(SALU_CYCLE_1)
	s_xor_b32 s20, exec_lo, s20
	s_cbranch_execnz .LBB367_33
; %bb.25:                               ;   in Loop: Header=BB367_5 Depth=1
	s_or_saveexec_b32 s20, s20
                                        ; implicit-def: $sgpr21
	s_delay_alu instid0(SALU_CYCLE_1)
	s_xor_b32 exec_lo, exec_lo, s20
	s_cbranch_execnz .LBB367_34
.LBB367_26:                             ;   in Loop: Header=BB367_5 Depth=1
	s_or_b32 exec_lo, exec_lo, s20
	v_mov_b32_e32 v5, s21
	s_and_saveexec_b32 s20, s19
	s_cbranch_execz .LBB367_3
	s_branch .LBB367_35
.LBB367_27:                             ;   in Loop: Header=BB367_5 Depth=1
	v_bfe_u32 v7, v9, 20, 1
	s_mov_b32 s19, exec_lo
	s_delay_alu instid0(VALU_DEP_1) | instskip(NEXT) | instid1(VALU_DEP_1)
	v_add3_u32 v7, v9, v7, 0x487ffff
	v_lshrrev_b32_e32 v10, 20, v7
	s_or_saveexec_b32 s20, s20
                                        ; implicit-def: $sgpr21
	s_delay_alu instid0(SALU_CYCLE_1)
	s_xor_b32 exec_lo, exec_lo, s20
	s_cbranch_execz .LBB367_8
.LBB367_28:                             ;   in Loop: Header=BB367_5 Depth=1
	v_add_f32_e64 v7, 0x46000000, |v9|
	s_and_not1_b32 s19, s19, exec_lo
	s_mov_b32 s21, 0
	s_delay_alu instid0(VALU_DEP_1) | instskip(NEXT) | instid1(VALU_DEP_1)
	v_and_b32_e32 v10, 0xff, v7
	v_cmp_ne_u32_e32 vcc_lo, 0, v10
	s_and_b32 s22, vcc_lo, exec_lo
	s_delay_alu instid0(SALU_CYCLE_1)
	s_or_b32 s19, s19, s22
	s_or_b32 exec_lo, exec_lo, s20
	v_mov_b32_e32 v7, s21
	s_and_saveexec_b32 s20, s19
	s_cbranch_execnz .LBB367_9
	s_branch .LBB367_10
.LBB367_29:                             ;   in Loop: Header=BB367_5 Depth=1
	v_bfe_u32 v8, v5, 20, 1
	s_mov_b32 s19, exec_lo
	s_delay_alu instid0(VALU_DEP_1) | instskip(NEXT) | instid1(VALU_DEP_1)
	v_add3_u32 v8, v5, v8, 0x487ffff
	v_lshrrev_b32_e32 v9, 20, v8
	s_or_saveexec_b32 s20, s20
                                        ; implicit-def: $sgpr21
	s_delay_alu instid0(SALU_CYCLE_1)
	s_xor_b32 exec_lo, exec_lo, s20
	s_cbranch_execz .LBB367_14
.LBB367_30:                             ;   in Loop: Header=BB367_5 Depth=1
	v_add_f32_e64 v8, 0x46000000, |v5|
	s_and_not1_b32 s19, s19, exec_lo
	s_mov_b32 s21, 0
	s_delay_alu instid0(VALU_DEP_1) | instskip(NEXT) | instid1(VALU_DEP_1)
	v_and_b32_e32 v9, 0xff, v8
	v_cmp_ne_u32_e32 vcc_lo, 0, v9
	s_and_b32 s22, vcc_lo, exec_lo
	s_delay_alu instid0(SALU_CYCLE_1)
	s_or_b32 s19, s19, s22
	s_or_b32 exec_lo, exec_lo, s20
	v_mov_b32_e32 v8, s21
	s_and_saveexec_b32 s20, s19
	s_cbranch_execnz .LBB367_15
	s_branch .LBB367_16
.LBB367_31:                             ;   in Loop: Header=BB367_5 Depth=1
	v_bfe_u32 v9, v10, 20, 1
	s_mov_b32 s19, exec_lo
	s_delay_alu instid0(VALU_DEP_1) | instskip(NEXT) | instid1(VALU_DEP_1)
	v_add3_u32 v9, v10, v9, 0x487ffff
	v_lshrrev_b32_e32 v11, 20, v9
	s_or_saveexec_b32 s20, s20
                                        ; implicit-def: $sgpr21
	s_delay_alu instid0(SALU_CYCLE_1)
	s_xor_b32 exec_lo, exec_lo, s20
	s_cbranch_execz .LBB367_20
.LBB367_32:                             ;   in Loop: Header=BB367_5 Depth=1
	v_add_f32_e64 v9, 0x46000000, |v10|
	s_and_not1_b32 s19, s19, exec_lo
	s_mov_b32 s21, 0
	s_delay_alu instid0(VALU_DEP_1) | instskip(NEXT) | instid1(VALU_DEP_1)
	v_and_b32_e32 v11, 0xff, v9
	v_cmp_ne_u32_e32 vcc_lo, 0, v11
	s_and_b32 s22, vcc_lo, exec_lo
	s_delay_alu instid0(SALU_CYCLE_1)
	s_or_b32 s19, s19, s22
	s_or_b32 exec_lo, exec_lo, s20
	v_mov_b32_e32 v9, s21
	s_and_saveexec_b32 s20, s19
	s_cbranch_execnz .LBB367_21
	s_branch .LBB367_22
.LBB367_33:                             ;   in Loop: Header=BB367_5 Depth=1
	v_bfe_u32 v5, v6, 20, 1
	s_mov_b32 s19, exec_lo
	s_delay_alu instid0(VALU_DEP_1) | instskip(NEXT) | instid1(VALU_DEP_1)
	v_add3_u32 v5, v6, v5, 0x487ffff
	v_lshrrev_b32_e32 v10, 20, v5
	s_or_saveexec_b32 s20, s20
                                        ; implicit-def: $sgpr21
	s_delay_alu instid0(SALU_CYCLE_1)
	s_xor_b32 exec_lo, exec_lo, s20
	s_cbranch_execz .LBB367_26
.LBB367_34:                             ;   in Loop: Header=BB367_5 Depth=1
	v_add_f32_e64 v5, 0x46000000, |v6|
	s_and_not1_b32 s19, s19, exec_lo
	s_mov_b32 s21, 0
	s_delay_alu instid0(VALU_DEP_1) | instskip(NEXT) | instid1(VALU_DEP_1)
	v_and_b32_e32 v10, 0xff, v5
	v_cmp_ne_u32_e32 vcc_lo, 0, v10
	s_and_b32 s22, vcc_lo, exec_lo
	s_delay_alu instid0(SALU_CYCLE_1)
	s_or_b32 s19, s19, s22
	s_or_b32 exec_lo, exec_lo, s20
	v_mov_b32_e32 v5, s21
	s_and_saveexec_b32 s20, s19
	s_cbranch_execz .LBB367_3
.LBB367_35:                             ;   in Loop: Header=BB367_5 Depth=1
	v_lshrrev_b32_e32 v5, 24, v6
	s_delay_alu instid0(VALU_DEP_1)
	v_and_or_b32 v5, 0x80, v5, v10
	s_branch .LBB367_3
.LBB367_36:
	s_or_b32 exec_lo, exec_lo, s3
	s_mov_b32 s2, 0
.LBB367_37:
	s_delay_alu instid0(SALU_CYCLE_1)
	s_and_not1_b32 vcc_lo, exec_lo, s2
	s_cbranch_vccnz .LBB367_89
; %bb.38:
	v_cmp_lt_i64_e64 s2, s[4:5], 1
	s_delay_alu instid0(VALU_DEP_1)
	s_and_b32 vcc_lo, exec_lo, s2
	s_cbranch_vccnz .LBB367_89
; %bb.39:
	s_load_b32 s0, s[0:1], 0xc5c
	v_cmp_gt_u64_e64 s1, 0x10000, s[4:5]
	v_add_co_u32 v5, s2, s8, v0
	v_lshlrev_b32_e32 v1, 1, v0
	v_add_co_ci_u32_e64 v6, null, s9, 0, s2
	s_delay_alu instid0(VALU_DEP_3) | instskip(NEXT) | instid1(VALU_DEP_2)
	v_add_co_u32 v15, vcc_lo, s6, v5
	v_add_co_ci_u32_e32 v16, vcc_lo, s7, v6, vcc_lo
	s_waitcnt lgkmcnt(0)
	s_and_b32 s0, s0, 0xffff
	s_and_b32 s1, s1, exec_lo
	s_cselect_b32 s3, s5, 0
	s_cselect_b32 s2, s4, 0x10000
	s_lshl_b64 s[10:11], s[10:11], 17
	s_lshl_b32 s14, s0, 1
	s_lshl_b32 s1, s0, 2
	s_add_u32 s12, s12, s10
	s_mul_i32 s15, s0, 3
	s_addc_u32 s11, s13, s11
	s_lshl_b32 s10, s0, 3
	v_add_co_u32 v1, s16, s12, v1
	s_add_u32 s13, s8, s15
	v_add_co_ci_u32_e64 v2, null, s11, 0, s16
	s_addc_u32 s16, s9, 0
	s_add_u32 s13, s6, s13
	s_addc_u32 s16, s7, s16
	v_add_co_u32 v17, s13, s13, v0
	s_delay_alu instid0(VALU_DEP_1) | instskip(SKIP_1) | instid1(VALU_DEP_1)
	v_add_co_ci_u32_e64 v18, null, s16, 0, s13
	v_add_co_u32 v19, s13, s15, v0
	v_add_co_ci_u32_e64 v20, null, 0, 0, s13
	v_add_co_u32 v21, s13, v0, s0
	s_add_u32 s8, s8, s14
	s_addc_u32 s9, s9, 0
	s_add_u32 s8, s6, s8
	s_delay_alu instid0(VALU_DEP_1) | instskip(SKIP_2) | instid1(VALU_DEP_1)
	v_lshlrev_b32_e32 v3, 1, v21
	s_addc_u32 s9, s7, s9
	v_add_co_u32 v22, s8, s8, v0
	v_add_co_ci_u32_e64 v23, null, s9, 0, s8
	v_add_co_u32 v25, s8, s14, v0
	s_add_u32 s6, s6, s0
	v_add_co_ci_u32_e64 v26, null, 0, 0, s8
	v_add_co_u32 v3, s8, s12, v3
	s_addc_u32 s7, s7, 0
	v_add_co_u32 v27, vcc_lo, s6, v5
	v_add_co_ci_u32_e64 v24, null, 0, 0, s13
	v_add_co_ci_u32_e64 v4, null, s11, 0, s8
	v_add_co_ci_u32_e32 v28, vcc_lo, s7, v6, vcc_lo
	s_mul_i32 s8, s0, 6
	s_mov_b64 s[6:7], 0
                                        ; implicit-def: $vgpr5_vgpr6
	s_branch .LBB367_41
.LBB367_40:                             ;   in Loop: Header=BB367_41 Depth=1
	s_or_b32 exec_lo, exec_lo, s0
	s_add_u32 s6, s6, s1
	s_addc_u32 s7, s7, 0
	v_add_co_u32 v1, vcc_lo, v1, s10
	v_cmp_ge_i64_e64 s0, s[6:7], s[4:5]
	v_cmp_lt_u64_e64 s9, 0xffff, s[6:7]
	v_add_co_ci_u32_e32 v2, vcc_lo, 0, v2, vcc_lo
	v_add_co_u32 v3, vcc_lo, v3, s10
	v_add_co_ci_u32_e32 v4, vcc_lo, 0, v4, vcc_lo
	s_delay_alu instid0(VALU_DEP_4) | instskip(NEXT) | instid1(SALU_CYCLE_1)
	s_or_b32 s0, s0, s9
	s_and_b32 vcc_lo, exec_lo, s0
	s_cbranch_vccnz .LBB367_89
.LBB367_41:                             ; =>This Inner Loop Header: Depth=1
	v_add_co_u32 v7, s0, v0, s6
	s_delay_alu instid0(VALU_DEP_1) | instskip(NEXT) | instid1(VALU_DEP_1)
	v_add_co_ci_u32_e64 v8, null, 0, s7, s0
	v_cmp_gt_i64_e32 vcc_lo, s[4:5], v[7:8]
	v_cmp_gt_u64_e64 s0, 0x10000, v[7:8]
	s_delay_alu instid0(VALU_DEP_1) | instskip(NEXT) | instid1(SALU_CYCLE_1)
	s_and_b32 s9, vcc_lo, s0
	s_and_saveexec_b32 s0, s9
	s_cbranch_execz .LBB367_43
; %bb.42:                               ;   in Loop: Header=BB367_41 Depth=1
	global_load_d16_b16 v5, v[1:2], off
.LBB367_43:                             ;   in Loop: Header=BB367_41 Depth=1
	s_or_b32 exec_lo, exec_lo, s0
	v_add_co_u32 v9, vcc_lo, v21, s6
	v_add_co_ci_u32_e32 v10, vcc_lo, s7, v24, vcc_lo
	s_delay_alu instid0(VALU_DEP_1) | instskip(SKIP_1) | instid1(VALU_DEP_1)
	v_cmp_gt_i64_e32 vcc_lo, s[4:5], v[9:10]
	v_cmp_gt_u64_e64 s0, 0x10000, v[9:10]
	s_and_b32 s9, vcc_lo, s0
	s_delay_alu instid0(SALU_CYCLE_1)
	s_and_saveexec_b32 s0, s9
	s_cbranch_execz .LBB367_45
; %bb.44:                               ;   in Loop: Header=BB367_41 Depth=1
	global_load_d16_hi_b16 v5, v[3:4], off
.LBB367_45:                             ;   in Loop: Header=BB367_41 Depth=1
	s_or_b32 exec_lo, exec_lo, s0
	v_add_co_u32 v11, vcc_lo, v25, s6
	v_add_co_ci_u32_e32 v12, vcc_lo, s7, v26, vcc_lo
	s_delay_alu instid0(VALU_DEP_1) | instskip(SKIP_1) | instid1(VALU_DEP_1)
	v_cmp_gt_i64_e32 vcc_lo, s[4:5], v[11:12]
	v_cmp_gt_u64_e64 s0, 0x10000, v[11:12]
	s_and_b32 s9, vcc_lo, s0
	s_delay_alu instid0(SALU_CYCLE_1)
	s_and_saveexec_b32 s0, s9
	s_cbranch_execz .LBB367_47
; %bb.46:                               ;   in Loop: Header=BB367_41 Depth=1
	v_add_co_u32 v13, vcc_lo, v1, s1
	v_add_co_ci_u32_e32 v14, vcc_lo, 0, v2, vcc_lo
	global_load_d16_b16 v6, v[13:14], off
.LBB367_47:                             ;   in Loop: Header=BB367_41 Depth=1
	s_or_b32 exec_lo, exec_lo, s0
	v_add_co_u32 v13, vcc_lo, v19, s6
	v_add_co_ci_u32_e32 v14, vcc_lo, s7, v20, vcc_lo
	s_delay_alu instid0(VALU_DEP_1) | instskip(SKIP_1) | instid1(VALU_DEP_1)
	v_cmp_gt_i64_e32 vcc_lo, s[4:5], v[13:14]
	v_cmp_gt_u64_e64 s0, 0x10000, v[13:14]
	s_and_b32 s9, vcc_lo, s0
	s_delay_alu instid0(SALU_CYCLE_1)
	s_and_saveexec_b32 s0, s9
	s_cbranch_execz .LBB367_49
; %bb.48:                               ;   in Loop: Header=BB367_41 Depth=1
	v_add_co_u32 v29, vcc_lo, v1, s8
	v_add_co_ci_u32_e32 v30, vcc_lo, 0, v2, vcc_lo
	global_load_d16_hi_b16 v6, v[29:30], off
.LBB367_49:                             ;   in Loop: Header=BB367_41 Depth=1
	s_or_b32 exec_lo, exec_lo, s0
	s_waitcnt vmcnt(0)
	v_bfe_i32 v29, v5, 0, 16
	s_mov_b32 s0, exec_lo
	v_mov_b32_e32 v30, 0x80
	s_delay_alu instid0(VALU_DEP_2) | instskip(SKIP_1) | instid1(VALU_DEP_2)
	v_cvt_f32_i32_e32 v31, v29
	v_mov_b32_e32 v29, 0x80
	v_and_b32_e32 v32, 0x7fffffff, v31
	s_delay_alu instid0(VALU_DEP_1)
	v_cmpx_gt_u32_e32 0x43800000, v32
	s_cbranch_execz .LBB367_55
; %bb.50:                               ;   in Loop: Header=BB367_41 Depth=1
	v_cmp_lt_u32_e32 vcc_lo, 0x3bffffff, v32
	s_mov_b32 s9, 0
                                        ; implicit-def: $vgpr32
	s_and_saveexec_b32 s11, vcc_lo
	s_delay_alu instid0(SALU_CYCLE_1)
	s_xor_b32 s11, exec_lo, s11
	s_cbranch_execnz .LBB367_81
; %bb.51:                               ;   in Loop: Header=BB367_41 Depth=1
	s_or_saveexec_b32 s11, s11
                                        ; implicit-def: $sgpr12
	s_delay_alu instid0(SALU_CYCLE_1)
	s_xor_b32 exec_lo, exec_lo, s11
	s_cbranch_execnz .LBB367_82
.LBB367_52:                             ;   in Loop: Header=BB367_41 Depth=1
	s_or_b32 exec_lo, exec_lo, s11
	v_mov_b32_e32 v30, s12
	s_and_saveexec_b32 s11, s9
.LBB367_53:                             ;   in Loop: Header=BB367_41 Depth=1
	v_lshrrev_b32_e32 v30, 24, v31
	s_delay_alu instid0(VALU_DEP_1)
	v_and_or_b32 v30, 0x80, v30, v32
.LBB367_54:                             ;   in Loop: Header=BB367_41 Depth=1
	s_or_b32 exec_lo, exec_lo, s11
.LBB367_55:                             ;   in Loop: Header=BB367_41 Depth=1
	s_delay_alu instid0(SALU_CYCLE_1) | instskip(SKIP_2) | instid1(VALU_DEP_1)
	s_or_b32 exec_lo, exec_lo, s0
	v_ashrrev_i32_e32 v31, 16, v5
	s_mov_b32 s0, exec_lo
	v_cvt_f32_i32_e32 v31, v31
	s_delay_alu instid0(VALU_DEP_1) | instskip(NEXT) | instid1(VALU_DEP_1)
	v_and_b32_e32 v32, 0x7fffffff, v31
	v_cmpx_gt_u32_e32 0x43800000, v32
	s_cbranch_execz .LBB367_61
; %bb.56:                               ;   in Loop: Header=BB367_41 Depth=1
	v_cmp_lt_u32_e32 vcc_lo, 0x3bffffff, v32
	s_mov_b32 s9, 0
                                        ; implicit-def: $vgpr32
	s_and_saveexec_b32 s11, vcc_lo
	s_delay_alu instid0(SALU_CYCLE_1)
	s_xor_b32 s11, exec_lo, s11
	s_cbranch_execnz .LBB367_83
; %bb.57:                               ;   in Loop: Header=BB367_41 Depth=1
	s_or_saveexec_b32 s11, s11
                                        ; implicit-def: $sgpr12
	s_delay_alu instid0(SALU_CYCLE_1)
	s_xor_b32 exec_lo, exec_lo, s11
	s_cbranch_execnz .LBB367_84
.LBB367_58:                             ;   in Loop: Header=BB367_41 Depth=1
	s_or_b32 exec_lo, exec_lo, s11
	v_mov_b32_e32 v29, s12
	s_and_saveexec_b32 s11, s9
.LBB367_59:                             ;   in Loop: Header=BB367_41 Depth=1
	v_lshrrev_b32_e32 v29, 24, v31
	s_delay_alu instid0(VALU_DEP_1)
	v_and_or_b32 v29, 0x80, v29, v32
.LBB367_60:                             ;   in Loop: Header=BB367_41 Depth=1
	s_or_b32 exec_lo, exec_lo, s11
.LBB367_61:                             ;   in Loop: Header=BB367_41 Depth=1
	s_delay_alu instid0(SALU_CYCLE_1) | instskip(SKIP_3) | instid1(VALU_DEP_2)
	s_or_b32 exec_lo, exec_lo, s0
	v_bfe_i32 v31, v6, 0, 16
	s_mov_b32 s0, exec_lo
	v_mov_b32_e32 v32, 0x80
	v_cvt_f32_i32_e32 v33, v31
	v_mov_b32_e32 v31, 0x80
	s_delay_alu instid0(VALU_DEP_2) | instskip(NEXT) | instid1(VALU_DEP_1)
	v_and_b32_e32 v34, 0x7fffffff, v33
	v_cmpx_gt_u32_e32 0x43800000, v34
	s_cbranch_execz .LBB367_67
; %bb.62:                               ;   in Loop: Header=BB367_41 Depth=1
	v_cmp_lt_u32_e32 vcc_lo, 0x3bffffff, v34
	s_mov_b32 s9, 0
                                        ; implicit-def: $vgpr34
	s_and_saveexec_b32 s11, vcc_lo
	s_delay_alu instid0(SALU_CYCLE_1)
	s_xor_b32 s11, exec_lo, s11
	s_cbranch_execnz .LBB367_85
; %bb.63:                               ;   in Loop: Header=BB367_41 Depth=1
	s_or_saveexec_b32 s11, s11
                                        ; implicit-def: $sgpr12
	s_delay_alu instid0(SALU_CYCLE_1)
	s_xor_b32 exec_lo, exec_lo, s11
	s_cbranch_execnz .LBB367_86
.LBB367_64:                             ;   in Loop: Header=BB367_41 Depth=1
	s_or_b32 exec_lo, exec_lo, s11
	v_mov_b32_e32 v32, s12
	s_and_saveexec_b32 s11, s9
.LBB367_65:                             ;   in Loop: Header=BB367_41 Depth=1
	v_lshrrev_b32_e32 v32, 24, v33
	s_delay_alu instid0(VALU_DEP_1)
	v_and_or_b32 v32, 0x80, v32, v34
.LBB367_66:                             ;   in Loop: Header=BB367_41 Depth=1
	s_or_b32 exec_lo, exec_lo, s11
.LBB367_67:                             ;   in Loop: Header=BB367_41 Depth=1
	s_delay_alu instid0(SALU_CYCLE_1) | instskip(SKIP_2) | instid1(VALU_DEP_1)
	s_or_b32 exec_lo, exec_lo, s0
	v_ashrrev_i32_e32 v33, 16, v6
	s_mov_b32 s0, exec_lo
	v_cvt_f32_i32_e32 v33, v33
	s_delay_alu instid0(VALU_DEP_1) | instskip(NEXT) | instid1(VALU_DEP_1)
	v_and_b32_e32 v34, 0x7fffffff, v33
	v_cmpx_gt_u32_e32 0x43800000, v34
	s_cbranch_execz .LBB367_73
; %bb.68:                               ;   in Loop: Header=BB367_41 Depth=1
	v_cmp_lt_u32_e32 vcc_lo, 0x3bffffff, v34
	s_mov_b32 s9, 0
                                        ; implicit-def: $vgpr34
	s_and_saveexec_b32 s11, vcc_lo
	s_delay_alu instid0(SALU_CYCLE_1)
	s_xor_b32 s11, exec_lo, s11
	s_cbranch_execnz .LBB367_87
; %bb.69:                               ;   in Loop: Header=BB367_41 Depth=1
	s_or_saveexec_b32 s11, s11
                                        ; implicit-def: $sgpr12
	s_delay_alu instid0(SALU_CYCLE_1)
	s_xor_b32 exec_lo, exec_lo, s11
	s_cbranch_execnz .LBB367_88
.LBB367_70:                             ;   in Loop: Header=BB367_41 Depth=1
	s_or_b32 exec_lo, exec_lo, s11
	v_mov_b32_e32 v31, s12
	s_and_saveexec_b32 s11, s9
.LBB367_71:                             ;   in Loop: Header=BB367_41 Depth=1
	v_lshrrev_b32_e32 v31, 24, v33
	s_delay_alu instid0(VALU_DEP_1)
	v_and_or_b32 v31, 0x80, v31, v34
.LBB367_72:                             ;   in Loop: Header=BB367_41 Depth=1
	s_or_b32 exec_lo, exec_lo, s11
.LBB367_73:                             ;   in Loop: Header=BB367_41 Depth=1
	s_delay_alu instid0(SALU_CYCLE_1) | instskip(NEXT) | instid1(SALU_CYCLE_1)
	s_or_b32 exec_lo, exec_lo, s0
	s_mov_b32 s0, exec_lo
	v_cmpx_gt_u64_e64 s[2:3], v[7:8]
	s_xor_b32 s0, exec_lo, s0
	s_cbranch_execnz .LBB367_77
; %bb.74:                               ;   in Loop: Header=BB367_41 Depth=1
	s_or_b32 exec_lo, exec_lo, s0
	s_delay_alu instid0(SALU_CYCLE_1)
	s_mov_b32 s0, exec_lo
	v_cmpx_gt_u64_e64 s[2:3], v[9:10]
	s_cbranch_execnz .LBB367_78
.LBB367_75:                             ;   in Loop: Header=BB367_41 Depth=1
	s_or_b32 exec_lo, exec_lo, s0
	s_delay_alu instid0(SALU_CYCLE_1)
	s_mov_b32 s0, exec_lo
	v_cmpx_gt_u64_e64 s[2:3], v[11:12]
	s_cbranch_execnz .LBB367_79
.LBB367_76:                             ;   in Loop: Header=BB367_41 Depth=1
	s_or_b32 exec_lo, exec_lo, s0
	s_delay_alu instid0(SALU_CYCLE_1)
	s_mov_b32 s0, exec_lo
	v_cmpx_gt_u64_e64 s[2:3], v[13:14]
	s_cbranch_execz .LBB367_40
	s_branch .LBB367_80
.LBB367_77:                             ;   in Loop: Header=BB367_41 Depth=1
	v_add_co_u32 v7, vcc_lo, v15, s6
	v_add_co_ci_u32_e32 v8, vcc_lo, s7, v16, vcc_lo
	global_store_b8 v[7:8], v30, off
	s_or_b32 exec_lo, exec_lo, s0
	s_delay_alu instid0(SALU_CYCLE_1)
	s_mov_b32 s0, exec_lo
	v_cmpx_gt_u64_e64 s[2:3], v[9:10]
	s_cbranch_execz .LBB367_75
.LBB367_78:                             ;   in Loop: Header=BB367_41 Depth=1
	v_add_co_u32 v7, vcc_lo, v27, s6
	v_add_co_ci_u32_e32 v8, vcc_lo, s7, v28, vcc_lo
	global_store_b8 v[7:8], v29, off
	s_or_b32 exec_lo, exec_lo, s0
	s_delay_alu instid0(SALU_CYCLE_1)
	s_mov_b32 s0, exec_lo
	v_cmpx_gt_u64_e64 s[2:3], v[11:12]
	s_cbranch_execz .LBB367_76
.LBB367_79:                             ;   in Loop: Header=BB367_41 Depth=1
	v_add_co_u32 v7, vcc_lo, v22, s6
	v_add_co_ci_u32_e32 v8, vcc_lo, s7, v23, vcc_lo
	global_store_b8 v[7:8], v32, off
	s_or_b32 exec_lo, exec_lo, s0
	s_delay_alu instid0(SALU_CYCLE_1)
	s_mov_b32 s0, exec_lo
	v_cmpx_gt_u64_e64 s[2:3], v[13:14]
	s_cbranch_execz .LBB367_40
.LBB367_80:                             ;   in Loop: Header=BB367_41 Depth=1
	v_add_co_u32 v7, vcc_lo, v17, s6
	v_add_co_ci_u32_e32 v8, vcc_lo, s7, v18, vcc_lo
	global_store_b8 v[7:8], v31, off
	s_branch .LBB367_40
.LBB367_81:                             ;   in Loop: Header=BB367_41 Depth=1
	v_bfe_u32 v30, v31, 20, 1
	s_mov_b32 s9, exec_lo
	s_delay_alu instid0(VALU_DEP_1) | instskip(NEXT) | instid1(VALU_DEP_1)
	v_add3_u32 v30, v31, v30, 0x487ffff
	v_lshrrev_b32_e32 v32, 20, v30
	s_or_saveexec_b32 s11, s11
                                        ; implicit-def: $sgpr12
	s_delay_alu instid0(SALU_CYCLE_1)
	s_xor_b32 exec_lo, exec_lo, s11
	s_cbranch_execz .LBB367_52
.LBB367_82:                             ;   in Loop: Header=BB367_41 Depth=1
	v_add_f32_e64 v30, 0x46000000, |v31|
	s_and_not1_b32 s9, s9, exec_lo
	s_mov_b32 s12, 0
	s_delay_alu instid0(VALU_DEP_1) | instskip(NEXT) | instid1(VALU_DEP_1)
	v_and_b32_e32 v32, 0xff, v30
	v_cmp_ne_u32_e32 vcc_lo, 0, v32
	s_and_b32 s13, vcc_lo, exec_lo
	s_delay_alu instid0(SALU_CYCLE_1)
	s_or_b32 s9, s9, s13
	s_or_b32 exec_lo, exec_lo, s11
	v_mov_b32_e32 v30, s12
	s_and_saveexec_b32 s11, s9
	s_cbranch_execnz .LBB367_53
	s_branch .LBB367_54
.LBB367_83:                             ;   in Loop: Header=BB367_41 Depth=1
	v_bfe_u32 v29, v31, 20, 1
	s_mov_b32 s9, exec_lo
	s_delay_alu instid0(VALU_DEP_1) | instskip(NEXT) | instid1(VALU_DEP_1)
	v_add3_u32 v29, v31, v29, 0x487ffff
	v_lshrrev_b32_e32 v32, 20, v29
	s_or_saveexec_b32 s11, s11
                                        ; implicit-def: $sgpr12
	s_delay_alu instid0(SALU_CYCLE_1)
	s_xor_b32 exec_lo, exec_lo, s11
	s_cbranch_execz .LBB367_58
.LBB367_84:                             ;   in Loop: Header=BB367_41 Depth=1
	v_add_f32_e64 v29, 0x46000000, |v31|
	s_and_not1_b32 s9, s9, exec_lo
	s_mov_b32 s12, 0
	s_delay_alu instid0(VALU_DEP_1) | instskip(NEXT) | instid1(VALU_DEP_1)
	v_and_b32_e32 v32, 0xff, v29
	v_cmp_ne_u32_e32 vcc_lo, 0, v32
	s_and_b32 s13, vcc_lo, exec_lo
	s_delay_alu instid0(SALU_CYCLE_1)
	s_or_b32 s9, s9, s13
	s_or_b32 exec_lo, exec_lo, s11
	v_mov_b32_e32 v29, s12
	s_and_saveexec_b32 s11, s9
	s_cbranch_execnz .LBB367_59
	s_branch .LBB367_60
.LBB367_85:                             ;   in Loop: Header=BB367_41 Depth=1
	v_bfe_u32 v32, v33, 20, 1
	s_mov_b32 s9, exec_lo
	s_delay_alu instid0(VALU_DEP_1) | instskip(NEXT) | instid1(VALU_DEP_1)
	v_add3_u32 v32, v33, v32, 0x487ffff
	v_lshrrev_b32_e32 v34, 20, v32
	s_or_saveexec_b32 s11, s11
                                        ; implicit-def: $sgpr12
	s_delay_alu instid0(SALU_CYCLE_1)
	s_xor_b32 exec_lo, exec_lo, s11
	s_cbranch_execz .LBB367_64
.LBB367_86:                             ;   in Loop: Header=BB367_41 Depth=1
	v_add_f32_e64 v32, 0x46000000, |v33|
	s_and_not1_b32 s9, s9, exec_lo
	s_mov_b32 s12, 0
	s_delay_alu instid0(VALU_DEP_1) | instskip(NEXT) | instid1(VALU_DEP_1)
	v_and_b32_e32 v34, 0xff, v32
	v_cmp_ne_u32_e32 vcc_lo, 0, v34
	s_and_b32 s13, vcc_lo, exec_lo
	s_delay_alu instid0(SALU_CYCLE_1)
	s_or_b32 s9, s9, s13
	s_or_b32 exec_lo, exec_lo, s11
	v_mov_b32_e32 v32, s12
	s_and_saveexec_b32 s11, s9
	s_cbranch_execnz .LBB367_65
	s_branch .LBB367_66
.LBB367_87:                             ;   in Loop: Header=BB367_41 Depth=1
	v_bfe_u32 v31, v33, 20, 1
	s_mov_b32 s9, exec_lo
	s_delay_alu instid0(VALU_DEP_1) | instskip(NEXT) | instid1(VALU_DEP_1)
	v_add3_u32 v31, v33, v31, 0x487ffff
	v_lshrrev_b32_e32 v34, 20, v31
	s_or_saveexec_b32 s11, s11
                                        ; implicit-def: $sgpr12
	s_delay_alu instid0(SALU_CYCLE_1)
	s_xor_b32 exec_lo, exec_lo, s11
	s_cbranch_execz .LBB367_70
.LBB367_88:                             ;   in Loop: Header=BB367_41 Depth=1
	v_add_f32_e64 v31, 0x46000000, |v33|
	s_and_not1_b32 s9, s9, exec_lo
	s_mov_b32 s12, 0
	s_delay_alu instid0(VALU_DEP_1) | instskip(NEXT) | instid1(VALU_DEP_1)
	v_and_b32_e32 v34, 0xff, v31
	v_cmp_ne_u32_e32 vcc_lo, 0, v34
	s_and_b32 s13, vcc_lo, exec_lo
	s_delay_alu instid0(SALU_CYCLE_1)
	s_or_b32 s9, s9, s13
	s_or_b32 exec_lo, exec_lo, s11
	v_mov_b32_e32 v31, s12
	s_and_saveexec_b32 s11, s9
	s_cbranch_execnz .LBB367_71
	s_branch .LBB367_72
.LBB367_89:
	s_nop 0
	s_sendmsg sendmsg(MSG_DEALLOC_VGPRS)
	s_endpgm
	.section	.rodata,"a",@progbits
	.p2align	6, 0x0
	.amdhsa_kernel _ZN2at6native12_GLOBAL__N_125multi_tensor_apply_kernelINS1_18TensorListMetadataILi2EEENS1_11CopyFunctorIN3c1015Float8_e4m3fnuzEsLi2ELi1ELi1EEEJNS0_4CopyIS7_sEEEEEvT_T0_DpT1_
		.amdhsa_group_segment_fixed_size 0
		.amdhsa_private_segment_fixed_size 0
		.amdhsa_kernarg_size 3408
		.amdhsa_user_sgpr_count 15
		.amdhsa_user_sgpr_dispatch_ptr 0
		.amdhsa_user_sgpr_queue_ptr 0
		.amdhsa_user_sgpr_kernarg_segment_ptr 1
		.amdhsa_user_sgpr_dispatch_id 0
		.amdhsa_user_sgpr_private_segment_size 0
		.amdhsa_wavefront_size32 1
		.amdhsa_uses_dynamic_stack 0
		.amdhsa_enable_private_segment 0
		.amdhsa_system_sgpr_workgroup_id_x 1
		.amdhsa_system_sgpr_workgroup_id_y 0
		.amdhsa_system_sgpr_workgroup_id_z 0
		.amdhsa_system_sgpr_workgroup_info 0
		.amdhsa_system_vgpr_workitem_id 0
		.amdhsa_next_free_vgpr 35
		.amdhsa_next_free_sgpr 23
		.amdhsa_reserve_vcc 1
		.amdhsa_float_round_mode_32 0
		.amdhsa_float_round_mode_16_64 0
		.amdhsa_float_denorm_mode_32 3
		.amdhsa_float_denorm_mode_16_64 3
		.amdhsa_dx10_clamp 1
		.amdhsa_ieee_mode 1
		.amdhsa_fp16_overflow 0
		.amdhsa_workgroup_processor_mode 1
		.amdhsa_memory_ordered 1
		.amdhsa_forward_progress 0
		.amdhsa_shared_vgpr_count 0
		.amdhsa_exception_fp_ieee_invalid_op 0
		.amdhsa_exception_fp_denorm_src 0
		.amdhsa_exception_fp_ieee_div_zero 0
		.amdhsa_exception_fp_ieee_overflow 0
		.amdhsa_exception_fp_ieee_underflow 0
		.amdhsa_exception_fp_ieee_inexact 0
		.amdhsa_exception_int_div_zero 0
	.end_amdhsa_kernel
	.section	.text._ZN2at6native12_GLOBAL__N_125multi_tensor_apply_kernelINS1_18TensorListMetadataILi2EEENS1_11CopyFunctorIN3c1015Float8_e4m3fnuzEsLi2ELi1ELi1EEEJNS0_4CopyIS7_sEEEEEvT_T0_DpT1_,"axG",@progbits,_ZN2at6native12_GLOBAL__N_125multi_tensor_apply_kernelINS1_18TensorListMetadataILi2EEENS1_11CopyFunctorIN3c1015Float8_e4m3fnuzEsLi2ELi1ELi1EEEJNS0_4CopyIS7_sEEEEEvT_T0_DpT1_,comdat
.Lfunc_end367:
	.size	_ZN2at6native12_GLOBAL__N_125multi_tensor_apply_kernelINS1_18TensorListMetadataILi2EEENS1_11CopyFunctorIN3c1015Float8_e4m3fnuzEsLi2ELi1ELi1EEEJNS0_4CopyIS7_sEEEEEvT_T0_DpT1_, .Lfunc_end367-_ZN2at6native12_GLOBAL__N_125multi_tensor_apply_kernelINS1_18TensorListMetadataILi2EEENS1_11CopyFunctorIN3c1015Float8_e4m3fnuzEsLi2ELi1ELi1EEEJNS0_4CopyIS7_sEEEEEvT_T0_DpT1_
                                        ; -- End function
	.section	.AMDGPU.csdata,"",@progbits
; Kernel info:
; codeLenInByte = 3364
; NumSgprs: 25
; NumVgprs: 35
; ScratchSize: 0
; MemoryBound: 0
; FloatMode: 240
; IeeeMode: 1
; LDSByteSize: 0 bytes/workgroup (compile time only)
; SGPRBlocks: 3
; VGPRBlocks: 4
; NumSGPRsForWavesPerEU: 25
; NumVGPRsForWavesPerEU: 35
; Occupancy: 16
; WaveLimiterHint : 0
; COMPUTE_PGM_RSRC2:SCRATCH_EN: 0
; COMPUTE_PGM_RSRC2:USER_SGPR: 15
; COMPUTE_PGM_RSRC2:TRAP_HANDLER: 0
; COMPUTE_PGM_RSRC2:TGID_X_EN: 1
; COMPUTE_PGM_RSRC2:TGID_Y_EN: 0
; COMPUTE_PGM_RSRC2:TGID_Z_EN: 0
; COMPUTE_PGM_RSRC2:TIDIG_COMP_CNT: 0
	.section	.text._ZN2at6native12_GLOBAL__N_125multi_tensor_apply_kernelINS1_18TensorListMetadataILi2EEENS1_11CopyFunctorIN3c1015Float8_e4m3fnuzEiLi2ELi1ELi1EEEJNS0_4CopyIS7_iEEEEEvT_T0_DpT1_,"axG",@progbits,_ZN2at6native12_GLOBAL__N_125multi_tensor_apply_kernelINS1_18TensorListMetadataILi2EEENS1_11CopyFunctorIN3c1015Float8_e4m3fnuzEiLi2ELi1ELi1EEEJNS0_4CopyIS7_iEEEEEvT_T0_DpT1_,comdat
	.globl	_ZN2at6native12_GLOBAL__N_125multi_tensor_apply_kernelINS1_18TensorListMetadataILi2EEENS1_11CopyFunctorIN3c1015Float8_e4m3fnuzEiLi2ELi1ELi1EEEJNS0_4CopyIS7_iEEEEEvT_T0_DpT1_ ; -- Begin function _ZN2at6native12_GLOBAL__N_125multi_tensor_apply_kernelINS1_18TensorListMetadataILi2EEENS1_11CopyFunctorIN3c1015Float8_e4m3fnuzEiLi2ELi1ELi1EEEJNS0_4CopyIS7_iEEEEEvT_T0_DpT1_
	.p2align	8
	.type	_ZN2at6native12_GLOBAL__N_125multi_tensor_apply_kernelINS1_18TensorListMetadataILi2EEENS1_11CopyFunctorIN3c1015Float8_e4m3fnuzEiLi2ELi1ELi1EEEJNS0_4CopyIS7_iEEEEEvT_T0_DpT1_,@function
_ZN2at6native12_GLOBAL__N_125multi_tensor_apply_kernelINS1_18TensorListMetadataILi2EEENS1_11CopyFunctorIN3c1015Float8_e4m3fnuzEiLi2ELi1ELi1EEEJNS0_4CopyIS7_iEEEEEvT_T0_DpT1_: ; @_ZN2at6native12_GLOBAL__N_125multi_tensor_apply_kernelINS1_18TensorListMetadataILi2EEENS1_11CopyFunctorIN3c1015Float8_e4m3fnuzEiLi2ELi1ELi1EEEJNS0_4CopyIS7_iEEEEEvT_T0_DpT1_
; %bb.0:
	v_mov_b32_e32 v1, s15
	s_add_u32 s2, s0, s15
	s_mul_i32 s4, s15, 3
	s_addc_u32 s3, s1, 0
	s_mul_hi_u32 s5, s15, 3
	global_load_u8 v1, v1, s[0:1] offset:1536
	s_add_u32 s2, s2, s4
	s_addc_u32 s3, s3, s5
	s_mov_b32 s17, 0
	s_load_b32 s10, s[2:3], 0x740
	s_waitcnt lgkmcnt(0)
	s_ashr_i32 s11, s10, 31
	s_delay_alu instid0(SALU_CYCLE_1) | instskip(SKIP_2) | instid1(VALU_DEP_1)
	s_lshl_b64 s[8:9], s[10:11], 16
	s_waitcnt vmcnt(0)
	v_readfirstlane_b32 s4, v1
	s_lshl_b32 s4, s4, 3
	s_clause 0x2
	s_load_b64 s[6:7], s[0:1], s4 offset:0x200
	s_load_b64 s[2:3], s[0:1], s4 offset:0x400
	;; [unrolled: 1-line block ×3, first 2 shown]
	s_waitcnt lgkmcnt(0)
	s_add_u32 s14, s6, s8
	s_addc_u32 s15, s7, s9
	s_delay_alu instid0(SALU_CYCLE_1) | instskip(SKIP_2) | instid1(SALU_CYCLE_1)
	s_or_b64 s[4:5], s[2:3], s[14:15]
	s_and_b32 s5, s12, 15
	s_and_b32 s4, s4, 3
	s_or_b32 s16, s4, s5
	s_sub_u32 s4, s2, s8
	s_subb_u32 s5, s3, s9
	s_cmp_eq_u64 s[16:17], 0
	s_mov_b32 s2, -1
	s_cbranch_scc0 .LBB368_37
; %bb.1:
	v_dual_mov_b32 v6, 0 :: v_dual_lshlrev_b32 v5, 2, v0
	s_mov_b32 s3, exec_lo
	s_delay_alu instid0(VALU_DEP_1)
	v_cmpx_gt_i64_e64 s[4:5], v[5:6]
	s_cbranch_execz .LBB368_36
; %bb.2:
	s_load_b32 s2, s[0:1], 0xc5c
	v_lshlrev_b32_e32 v1, 4, v0
	s_lshl_b64 s[18:19], s[10:11], 18
	s_waitcnt lgkmcnt(0)
	s_and_b32 s2, s2, 0xffff
	s_delay_alu instid0(SALU_CYCLE_1) | instskip(SKIP_3) | instid1(VALU_DEP_1)
	s_lshl_b32 s16, s2, 2
	s_add_u32 s17, s12, s18
	s_addc_u32 s18, s13, s19
	v_add_co_u32 v7, s17, s17, v1
	v_add_co_ci_u32_e64 v8, null, s18, 0, s17
	s_mov_b32 s17, 0
	s_lshl_b32 s18, s2, 4
	s_branch .LBB368_5
.LBB368_3:                              ;   in Loop: Header=BB368_5 Depth=1
	s_or_b32 exec_lo, exec_lo, s20
.LBB368_4:                              ;   in Loop: Header=BB368_5 Depth=1
	s_delay_alu instid0(SALU_CYCLE_1)
	s_or_b32 exec_lo, exec_lo, s2
	v_add_co_u32 v10, vcc_lo, s14, v5
	v_add_co_ci_u32_e32 v11, vcc_lo, s15, v6, vcc_lo
	v_add_co_u32 v5, vcc_lo, s16, v5
	v_add_co_ci_u32_e32 v6, vcc_lo, 0, v6, vcc_lo
	v_lshlrev_b32_e32 v3, 16, v3
	v_lshlrev_b32_e32 v4, 8, v9
	v_and_b32_e32 v1, 0xff, v1
	s_delay_alu instid0(VALU_DEP_4) | instskip(SKIP_3) | instid1(VALU_DEP_3)
	v_cmp_le_i64_e32 vcc_lo, s[4:5], v[5:6]
	v_cmp_lt_u64_e64 s2, 0xffff, v[5:6]
	v_perm_b32 v2, v2, v3, 0x4020c0c
	v_and_b32_e32 v3, 0xff00, v4
	s_or_b32 s2, vcc_lo, s2
	v_add_co_u32 v7, vcc_lo, v7, s18
	s_delay_alu instid0(VALU_DEP_2) | instskip(SKIP_2) | instid1(SALU_CYCLE_1)
	v_or3_b32 v1, v2, v3, v1
	v_add_co_ci_u32_e32 v8, vcc_lo, 0, v8, vcc_lo
	s_and_b32 s2, exec_lo, s2
	s_or_b32 s17, s2, s17
	global_store_b32 v[10:11], v1, off
	s_and_not1_b32 exec_lo, exec_lo, s17
	s_cbranch_execz .LBB368_36
.LBB368_5:                              ; =>This Inner Loop Header: Depth=1
	global_load_b128 v[1:4], v[7:8], off
	v_mov_b32_e32 v9, 0x80
	s_mov_b32 s2, exec_lo
	s_waitcnt vmcnt(0)
	v_cvt_f32_i32_e32 v10, v1
	v_mov_b32_e32 v1, 0x80
	s_delay_alu instid0(VALU_DEP_2) | instskip(NEXT) | instid1(VALU_DEP_1)
	v_and_b32_e32 v11, 0x7fffffff, v10
	v_cmpx_gt_u32_e32 0x43800000, v11
	s_cbranch_execz .LBB368_11
; %bb.6:                                ;   in Loop: Header=BB368_5 Depth=1
	v_cmp_lt_u32_e32 vcc_lo, 0x3bffffff, v11
	s_mov_b32 s19, 0
                                        ; implicit-def: $vgpr11
	s_and_saveexec_b32 s20, vcc_lo
	s_delay_alu instid0(SALU_CYCLE_1)
	s_xor_b32 s20, exec_lo, s20
	s_cbranch_execnz .LBB368_27
; %bb.7:                                ;   in Loop: Header=BB368_5 Depth=1
	s_or_saveexec_b32 s20, s20
                                        ; implicit-def: $sgpr21
	s_delay_alu instid0(SALU_CYCLE_1)
	s_xor_b32 exec_lo, exec_lo, s20
	s_cbranch_execnz .LBB368_28
.LBB368_8:                              ;   in Loop: Header=BB368_5 Depth=1
	s_or_b32 exec_lo, exec_lo, s20
	v_mov_b32_e32 v1, s21
	s_and_saveexec_b32 s20, s19
.LBB368_9:                              ;   in Loop: Header=BB368_5 Depth=1
	v_lshrrev_b32_e32 v1, 24, v10
	s_delay_alu instid0(VALU_DEP_1)
	v_and_or_b32 v1, 0x80, v1, v11
.LBB368_10:                             ;   in Loop: Header=BB368_5 Depth=1
	s_or_b32 exec_lo, exec_lo, s20
.LBB368_11:                             ;   in Loop: Header=BB368_5 Depth=1
	s_delay_alu instid0(SALU_CYCLE_1) | instskip(SKIP_2) | instid1(VALU_DEP_1)
	s_or_b32 exec_lo, exec_lo, s2
	v_cvt_f32_i32_e32 v2, v2
	s_mov_b32 s2, exec_lo
	v_and_b32_e32 v10, 0x7fffffff, v2
	s_delay_alu instid0(VALU_DEP_1)
	v_cmpx_gt_u32_e32 0x43800000, v10
	s_cbranch_execz .LBB368_17
; %bb.12:                               ;   in Loop: Header=BB368_5 Depth=1
	v_cmp_lt_u32_e32 vcc_lo, 0x3bffffff, v10
	s_mov_b32 s19, 0
                                        ; implicit-def: $vgpr10
	s_and_saveexec_b32 s20, vcc_lo
	s_delay_alu instid0(SALU_CYCLE_1)
	s_xor_b32 s20, exec_lo, s20
	s_cbranch_execnz .LBB368_29
; %bb.13:                               ;   in Loop: Header=BB368_5 Depth=1
	s_or_saveexec_b32 s20, s20
                                        ; implicit-def: $sgpr21
	s_delay_alu instid0(SALU_CYCLE_1)
	s_xor_b32 exec_lo, exec_lo, s20
	s_cbranch_execnz .LBB368_30
.LBB368_14:                             ;   in Loop: Header=BB368_5 Depth=1
	s_or_b32 exec_lo, exec_lo, s20
	v_mov_b32_e32 v9, s21
	s_and_saveexec_b32 s20, s19
.LBB368_15:                             ;   in Loop: Header=BB368_5 Depth=1
	v_lshrrev_b32_e32 v2, 24, v2
	s_delay_alu instid0(VALU_DEP_1)
	v_and_or_b32 v9, 0x80, v2, v10
.LBB368_16:                             ;   in Loop: Header=BB368_5 Depth=1
	s_or_b32 exec_lo, exec_lo, s20
.LBB368_17:                             ;   in Loop: Header=BB368_5 Depth=1
	s_delay_alu instid0(SALU_CYCLE_1) | instskip(SKIP_3) | instid1(VALU_DEP_2)
	s_or_b32 exec_lo, exec_lo, s2
	v_cvt_f32_i32_e32 v10, v3
	v_dual_mov_b32 v2, 0x80 :: v_dual_mov_b32 v3, 0x80
	s_mov_b32 s2, exec_lo
	v_and_b32_e32 v11, 0x7fffffff, v10
	s_delay_alu instid0(VALU_DEP_1)
	v_cmpx_gt_u32_e32 0x43800000, v11
	s_cbranch_execz .LBB368_23
; %bb.18:                               ;   in Loop: Header=BB368_5 Depth=1
	v_cmp_lt_u32_e32 vcc_lo, 0x3bffffff, v11
	s_mov_b32 s19, 0
                                        ; implicit-def: $vgpr11
	s_and_saveexec_b32 s20, vcc_lo
	s_delay_alu instid0(SALU_CYCLE_1)
	s_xor_b32 s20, exec_lo, s20
	s_cbranch_execnz .LBB368_31
; %bb.19:                               ;   in Loop: Header=BB368_5 Depth=1
	s_or_saveexec_b32 s20, s20
                                        ; implicit-def: $sgpr21
	s_delay_alu instid0(SALU_CYCLE_1)
	s_xor_b32 exec_lo, exec_lo, s20
	s_cbranch_execnz .LBB368_32
.LBB368_20:                             ;   in Loop: Header=BB368_5 Depth=1
	s_or_b32 exec_lo, exec_lo, s20
	v_mov_b32_e32 v3, s21
	s_and_saveexec_b32 s20, s19
.LBB368_21:                             ;   in Loop: Header=BB368_5 Depth=1
	v_lshrrev_b32_e32 v3, 24, v10
	s_delay_alu instid0(VALU_DEP_1)
	v_and_or_b32 v3, 0x80, v3, v11
.LBB368_22:                             ;   in Loop: Header=BB368_5 Depth=1
	s_or_b32 exec_lo, exec_lo, s20
.LBB368_23:                             ;   in Loop: Header=BB368_5 Depth=1
	s_delay_alu instid0(SALU_CYCLE_1) | instskip(SKIP_2) | instid1(VALU_DEP_1)
	s_or_b32 exec_lo, exec_lo, s2
	v_cvt_f32_i32_e32 v4, v4
	s_mov_b32 s2, exec_lo
	v_and_b32_e32 v10, 0x7fffffff, v4
	s_delay_alu instid0(VALU_DEP_1)
	v_cmpx_gt_u32_e32 0x43800000, v10
	s_cbranch_execz .LBB368_4
; %bb.24:                               ;   in Loop: Header=BB368_5 Depth=1
	v_cmp_lt_u32_e32 vcc_lo, 0x3bffffff, v10
	s_mov_b32 s19, 0
                                        ; implicit-def: $vgpr10
	s_and_saveexec_b32 s20, vcc_lo
	s_delay_alu instid0(SALU_CYCLE_1)
	s_xor_b32 s20, exec_lo, s20
	s_cbranch_execnz .LBB368_33
; %bb.25:                               ;   in Loop: Header=BB368_5 Depth=1
	s_or_saveexec_b32 s20, s20
                                        ; implicit-def: $sgpr21
	s_delay_alu instid0(SALU_CYCLE_1)
	s_xor_b32 exec_lo, exec_lo, s20
	s_cbranch_execnz .LBB368_34
.LBB368_26:                             ;   in Loop: Header=BB368_5 Depth=1
	s_or_b32 exec_lo, exec_lo, s20
	v_mov_b32_e32 v2, s21
	s_and_saveexec_b32 s20, s19
	s_cbranch_execz .LBB368_3
	s_branch .LBB368_35
.LBB368_27:                             ;   in Loop: Header=BB368_5 Depth=1
	v_bfe_u32 v1, v10, 20, 1
	s_mov_b32 s19, exec_lo
	s_delay_alu instid0(VALU_DEP_1) | instskip(NEXT) | instid1(VALU_DEP_1)
	v_add3_u32 v1, v10, v1, 0x487ffff
	v_lshrrev_b32_e32 v11, 20, v1
	s_or_saveexec_b32 s20, s20
                                        ; implicit-def: $sgpr21
	s_delay_alu instid0(SALU_CYCLE_1)
	s_xor_b32 exec_lo, exec_lo, s20
	s_cbranch_execz .LBB368_8
.LBB368_28:                             ;   in Loop: Header=BB368_5 Depth=1
	v_add_f32_e64 v1, 0x46000000, |v10|
	s_and_not1_b32 s19, s19, exec_lo
	s_mov_b32 s21, 0
	s_delay_alu instid0(VALU_DEP_1) | instskip(NEXT) | instid1(VALU_DEP_1)
	v_and_b32_e32 v11, 0xff, v1
	v_cmp_ne_u32_e32 vcc_lo, 0, v11
	s_and_b32 s22, vcc_lo, exec_lo
	s_delay_alu instid0(SALU_CYCLE_1)
	s_or_b32 s19, s19, s22
	s_or_b32 exec_lo, exec_lo, s20
	v_mov_b32_e32 v1, s21
	s_and_saveexec_b32 s20, s19
	s_cbranch_execnz .LBB368_9
	s_branch .LBB368_10
.LBB368_29:                             ;   in Loop: Header=BB368_5 Depth=1
	v_bfe_u32 v9, v2, 20, 1
	s_mov_b32 s19, exec_lo
	s_delay_alu instid0(VALU_DEP_1) | instskip(NEXT) | instid1(VALU_DEP_1)
	v_add3_u32 v9, v2, v9, 0x487ffff
	v_lshrrev_b32_e32 v10, 20, v9
	s_or_saveexec_b32 s20, s20
                                        ; implicit-def: $sgpr21
	s_delay_alu instid0(SALU_CYCLE_1)
	s_xor_b32 exec_lo, exec_lo, s20
	s_cbranch_execz .LBB368_14
.LBB368_30:                             ;   in Loop: Header=BB368_5 Depth=1
	v_add_f32_e64 v9, 0x46000000, |v2|
	s_and_not1_b32 s19, s19, exec_lo
	s_mov_b32 s21, 0
	s_delay_alu instid0(VALU_DEP_1) | instskip(NEXT) | instid1(VALU_DEP_1)
	v_and_b32_e32 v10, 0xff, v9
	v_cmp_ne_u32_e32 vcc_lo, 0, v10
	s_and_b32 s22, vcc_lo, exec_lo
	s_delay_alu instid0(SALU_CYCLE_1)
	s_or_b32 s19, s19, s22
	s_or_b32 exec_lo, exec_lo, s20
	v_mov_b32_e32 v9, s21
	s_and_saveexec_b32 s20, s19
	s_cbranch_execnz .LBB368_15
	s_branch .LBB368_16
.LBB368_31:                             ;   in Loop: Header=BB368_5 Depth=1
	v_bfe_u32 v3, v10, 20, 1
	s_mov_b32 s19, exec_lo
	s_delay_alu instid0(VALU_DEP_1) | instskip(NEXT) | instid1(VALU_DEP_1)
	v_add3_u32 v3, v10, v3, 0x487ffff
	v_lshrrev_b32_e32 v11, 20, v3
	s_or_saveexec_b32 s20, s20
                                        ; implicit-def: $sgpr21
	s_delay_alu instid0(SALU_CYCLE_1)
	s_xor_b32 exec_lo, exec_lo, s20
	s_cbranch_execz .LBB368_20
.LBB368_32:                             ;   in Loop: Header=BB368_5 Depth=1
	v_add_f32_e64 v3, 0x46000000, |v10|
	s_and_not1_b32 s19, s19, exec_lo
	s_mov_b32 s21, 0
	s_delay_alu instid0(VALU_DEP_1) | instskip(NEXT) | instid1(VALU_DEP_1)
	v_and_b32_e32 v11, 0xff, v3
	v_cmp_ne_u32_e32 vcc_lo, 0, v11
	s_and_b32 s22, vcc_lo, exec_lo
	s_delay_alu instid0(SALU_CYCLE_1)
	s_or_b32 s19, s19, s22
	s_or_b32 exec_lo, exec_lo, s20
	v_mov_b32_e32 v3, s21
	s_and_saveexec_b32 s20, s19
	s_cbranch_execnz .LBB368_21
	s_branch .LBB368_22
.LBB368_33:                             ;   in Loop: Header=BB368_5 Depth=1
	v_bfe_u32 v2, v4, 20, 1
	s_mov_b32 s19, exec_lo
	s_delay_alu instid0(VALU_DEP_1) | instskip(NEXT) | instid1(VALU_DEP_1)
	v_add3_u32 v2, v4, v2, 0x487ffff
	v_lshrrev_b32_e32 v10, 20, v2
	s_or_saveexec_b32 s20, s20
                                        ; implicit-def: $sgpr21
	s_delay_alu instid0(SALU_CYCLE_1)
	s_xor_b32 exec_lo, exec_lo, s20
	s_cbranch_execz .LBB368_26
.LBB368_34:                             ;   in Loop: Header=BB368_5 Depth=1
	v_add_f32_e64 v2, 0x46000000, |v4|
	s_and_not1_b32 s19, s19, exec_lo
	s_mov_b32 s21, 0
	s_delay_alu instid0(VALU_DEP_1) | instskip(NEXT) | instid1(VALU_DEP_1)
	v_and_b32_e32 v10, 0xff, v2
	v_cmp_ne_u32_e32 vcc_lo, 0, v10
	s_and_b32 s22, vcc_lo, exec_lo
	s_delay_alu instid0(SALU_CYCLE_1)
	s_or_b32 s19, s19, s22
	s_or_b32 exec_lo, exec_lo, s20
	v_mov_b32_e32 v2, s21
	s_and_saveexec_b32 s20, s19
	s_cbranch_execz .LBB368_3
.LBB368_35:                             ;   in Loop: Header=BB368_5 Depth=1
	v_lshrrev_b32_e32 v2, 24, v4
	s_delay_alu instid0(VALU_DEP_1)
	v_and_or_b32 v2, 0x80, v2, v10
	s_branch .LBB368_3
.LBB368_36:
	s_or_b32 exec_lo, exec_lo, s3
	s_mov_b32 s2, 0
.LBB368_37:
	s_delay_alu instid0(SALU_CYCLE_1)
	s_and_not1_b32 vcc_lo, exec_lo, s2
	s_cbranch_vccnz .LBB368_89
; %bb.38:
	v_cmp_lt_i64_e64 s2, s[4:5], 1
	s_delay_alu instid0(VALU_DEP_1)
	s_and_b32 vcc_lo, exec_lo, s2
	s_cbranch_vccnz .LBB368_89
; %bb.39:
	s_load_b32 s0, s[0:1], 0xc5c
	v_cmp_gt_u64_e64 s1, 0x10000, s[4:5]
	v_add_co_u32 v5, s2, s8, v0
	v_lshlrev_b32_e32 v1, 2, v0
	v_add_co_ci_u32_e64 v6, null, s9, 0, s2
	s_delay_alu instid0(VALU_DEP_3) | instskip(NEXT) | instid1(VALU_DEP_2)
	v_add_co_u32 v13, vcc_lo, s6, v5
                                        ; implicit-def: $vgpr29
                                        ; implicit-def: $vgpr30
                                        ; implicit-def: $vgpr27
                                        ; implicit-def: $vgpr28
	v_add_co_ci_u32_e32 v14, vcc_lo, s7, v6, vcc_lo
	s_waitcnt lgkmcnt(0)
	s_and_b32 s0, s0, 0xffff
	s_and_b32 s1, s1, exec_lo
	s_cselect_b32 s3, s5, 0
	s_cselect_b32 s2, s4, 0x10000
	s_lshl_b64 s[10:11], s[10:11], 18
	s_lshl_b32 s14, s0, 1
	s_lshl_b32 s1, s0, 2
	s_add_u32 s12, s12, s10
	s_mul_i32 s15, s0, 3
	s_addc_u32 s13, s13, s11
	s_lshl_b32 s10, s0, 4
	v_add_co_u32 v1, s16, s12, v1
	s_add_u32 s11, s8, s15
	v_add_co_ci_u32_e64 v2, null, s13, 0, s16
	s_addc_u32 s16, s9, 0
	s_add_u32 s11, s6, s11
	s_addc_u32 s16, s7, s16
	v_add_co_u32 v15, s11, s11, v0
	s_delay_alu instid0(VALU_DEP_1)
	v_add_co_ci_u32_e64 v16, null, s16, 0, s11
	v_add_co_u32 v17, s11, s15, v0
	v_add_co_u32 v19, s15, v0, s0
	v_add_co_ci_u32_e64 v18, null, 0, 0, s11
	s_lshl_b32 s11, s0, 3
	s_add_u32 s8, s8, s14
	s_addc_u32 s9, s9, 0
	s_add_u32 s8, s6, s8
	v_lshlrev_b32_e32 v3, 2, v19
	s_addc_u32 s9, s7, s9
	v_add_co_u32 v20, s8, s8, v0
	s_delay_alu instid0(VALU_DEP_1)
	v_add_co_ci_u32_e64 v21, null, s9, 0, s8
	v_add_co_u32 v23, s8, s14, v0
	s_add_u32 s6, s6, s0
	v_add_co_ci_u32_e64 v24, null, 0, 0, s8
	v_add_co_u32 v3, s8, s12, v3
	s_addc_u32 s7, s7, 0
	v_add_co_u32 v25, vcc_lo, s6, v5
	v_add_co_ci_u32_e64 v22, null, 0, 0, s15
	v_add_co_ci_u32_e64 v4, null, s13, 0, s8
	v_add_co_ci_u32_e32 v26, vcc_lo, s7, v6, vcc_lo
	s_mul_i32 s8, s0, 12
	s_mov_b64 s[6:7], 0
	s_branch .LBB368_41
.LBB368_40:                             ;   in Loop: Header=BB368_41 Depth=1
	s_or_b32 exec_lo, exec_lo, s0
	s_add_u32 s6, s6, s1
	s_addc_u32 s7, s7, 0
	v_add_co_u32 v1, vcc_lo, v1, s10
	v_cmp_ge_i64_e64 s0, s[6:7], s[4:5]
	v_cmp_lt_u64_e64 s9, 0xffff, s[6:7]
	v_add_co_ci_u32_e32 v2, vcc_lo, 0, v2, vcc_lo
	v_add_co_u32 v3, vcc_lo, v3, s10
	v_add_co_ci_u32_e32 v4, vcc_lo, 0, v4, vcc_lo
	s_delay_alu instid0(VALU_DEP_4) | instskip(NEXT) | instid1(SALU_CYCLE_1)
	s_or_b32 s0, s0, s9
	s_and_b32 vcc_lo, exec_lo, s0
	s_cbranch_vccnz .LBB368_89
.LBB368_41:                             ; =>This Inner Loop Header: Depth=1
	v_add_co_u32 v5, s0, v0, s6
	s_delay_alu instid0(VALU_DEP_1) | instskip(NEXT) | instid1(VALU_DEP_1)
	v_add_co_ci_u32_e64 v6, null, 0, s7, s0
	v_cmp_gt_i64_e32 vcc_lo, s[4:5], v[5:6]
	v_cmp_gt_u64_e64 s0, 0x10000, v[5:6]
	s_delay_alu instid0(VALU_DEP_1) | instskip(NEXT) | instid1(SALU_CYCLE_1)
	s_and_b32 s9, vcc_lo, s0
	s_and_saveexec_b32 s0, s9
	s_cbranch_execz .LBB368_43
; %bb.42:                               ;   in Loop: Header=BB368_41 Depth=1
	global_load_b32 v28, v[1:2], off
.LBB368_43:                             ;   in Loop: Header=BB368_41 Depth=1
	s_or_b32 exec_lo, exec_lo, s0
	v_add_co_u32 v7, vcc_lo, v19, s6
	v_add_co_ci_u32_e32 v8, vcc_lo, s7, v22, vcc_lo
	s_delay_alu instid0(VALU_DEP_1) | instskip(SKIP_1) | instid1(VALU_DEP_1)
	v_cmp_gt_i64_e32 vcc_lo, s[4:5], v[7:8]
	v_cmp_gt_u64_e64 s0, 0x10000, v[7:8]
	s_and_b32 s9, vcc_lo, s0
	s_delay_alu instid0(SALU_CYCLE_1)
	s_and_saveexec_b32 s0, s9
	s_cbranch_execz .LBB368_45
; %bb.44:                               ;   in Loop: Header=BB368_41 Depth=1
	global_load_b32 v27, v[3:4], off
.LBB368_45:                             ;   in Loop: Header=BB368_41 Depth=1
	s_or_b32 exec_lo, exec_lo, s0
	v_add_co_u32 v9, vcc_lo, v23, s6
	v_add_co_ci_u32_e32 v10, vcc_lo, s7, v24, vcc_lo
	s_delay_alu instid0(VALU_DEP_1) | instskip(SKIP_1) | instid1(VALU_DEP_1)
	v_cmp_gt_i64_e32 vcc_lo, s[4:5], v[9:10]
	v_cmp_gt_u64_e64 s0, 0x10000, v[9:10]
	s_and_b32 s9, vcc_lo, s0
	s_delay_alu instid0(SALU_CYCLE_1)
	s_and_saveexec_b32 s0, s9
	s_cbranch_execz .LBB368_47
; %bb.46:                               ;   in Loop: Header=BB368_41 Depth=1
	v_add_co_u32 v11, vcc_lo, v1, s11
	v_add_co_ci_u32_e32 v12, vcc_lo, 0, v2, vcc_lo
	global_load_b32 v30, v[11:12], off
.LBB368_47:                             ;   in Loop: Header=BB368_41 Depth=1
	s_or_b32 exec_lo, exec_lo, s0
	v_add_co_u32 v11, vcc_lo, v17, s6
	v_add_co_ci_u32_e32 v12, vcc_lo, s7, v18, vcc_lo
	s_delay_alu instid0(VALU_DEP_1) | instskip(SKIP_1) | instid1(VALU_DEP_1)
	v_cmp_gt_i64_e32 vcc_lo, s[4:5], v[11:12]
	v_cmp_gt_u64_e64 s0, 0x10000, v[11:12]
	s_and_b32 s9, vcc_lo, s0
	s_delay_alu instid0(SALU_CYCLE_1)
	s_and_saveexec_b32 s0, s9
	s_cbranch_execz .LBB368_49
; %bb.48:                               ;   in Loop: Header=BB368_41 Depth=1
	v_add_co_u32 v31, vcc_lo, v1, s8
	v_add_co_ci_u32_e32 v32, vcc_lo, 0, v2, vcc_lo
	global_load_b32 v29, v[31:32], off
.LBB368_49:                             ;   in Loop: Header=BB368_41 Depth=1
	s_or_b32 exec_lo, exec_lo, s0
	s_waitcnt vmcnt(0)
	v_cvt_f32_i32_e32 v33, v28
	v_dual_mov_b32 v31, 0x80 :: v_dual_mov_b32 v32, 0x80
	s_mov_b32 s0, exec_lo
	s_delay_alu instid0(VALU_DEP_2) | instskip(NEXT) | instid1(VALU_DEP_1)
	v_and_b32_e32 v34, 0x7fffffff, v33
	v_cmpx_gt_u32_e32 0x43800000, v34
	s_cbranch_execz .LBB368_55
; %bb.50:                               ;   in Loop: Header=BB368_41 Depth=1
	v_cmp_lt_u32_e32 vcc_lo, 0x3bffffff, v34
	s_mov_b32 s9, 0
                                        ; implicit-def: $vgpr34
	s_and_saveexec_b32 s12, vcc_lo
	s_delay_alu instid0(SALU_CYCLE_1)
	s_xor_b32 s12, exec_lo, s12
	s_cbranch_execnz .LBB368_81
; %bb.51:                               ;   in Loop: Header=BB368_41 Depth=1
	s_or_saveexec_b32 s12, s12
                                        ; implicit-def: $sgpr13
	s_delay_alu instid0(SALU_CYCLE_1)
	s_xor_b32 exec_lo, exec_lo, s12
	s_cbranch_execnz .LBB368_82
.LBB368_52:                             ;   in Loop: Header=BB368_41 Depth=1
	s_or_b32 exec_lo, exec_lo, s12
	v_mov_b32_e32 v32, s13
	s_and_saveexec_b32 s12, s9
.LBB368_53:                             ;   in Loop: Header=BB368_41 Depth=1
	v_lshrrev_b32_e32 v32, 24, v33
	s_delay_alu instid0(VALU_DEP_1)
	v_and_or_b32 v32, 0x80, v32, v34
.LBB368_54:                             ;   in Loop: Header=BB368_41 Depth=1
	s_or_b32 exec_lo, exec_lo, s12
.LBB368_55:                             ;   in Loop: Header=BB368_41 Depth=1
	s_delay_alu instid0(SALU_CYCLE_1) | instskip(SKIP_2) | instid1(VALU_DEP_1)
	s_or_b32 exec_lo, exec_lo, s0
	v_cvt_f32_i32_e32 v33, v27
	s_mov_b32 s0, exec_lo
	v_and_b32_e32 v34, 0x7fffffff, v33
	s_delay_alu instid0(VALU_DEP_1)
	v_cmpx_gt_u32_e32 0x43800000, v34
	s_cbranch_execz .LBB368_61
; %bb.56:                               ;   in Loop: Header=BB368_41 Depth=1
	v_cmp_lt_u32_e32 vcc_lo, 0x3bffffff, v34
	s_mov_b32 s9, 0
                                        ; implicit-def: $vgpr34
	s_and_saveexec_b32 s12, vcc_lo
	s_delay_alu instid0(SALU_CYCLE_1)
	s_xor_b32 s12, exec_lo, s12
	s_cbranch_execnz .LBB368_83
; %bb.57:                               ;   in Loop: Header=BB368_41 Depth=1
	s_or_saveexec_b32 s12, s12
                                        ; implicit-def: $sgpr13
	s_delay_alu instid0(SALU_CYCLE_1)
	s_xor_b32 exec_lo, exec_lo, s12
	s_cbranch_execnz .LBB368_84
.LBB368_58:                             ;   in Loop: Header=BB368_41 Depth=1
	s_or_b32 exec_lo, exec_lo, s12
	v_mov_b32_e32 v31, s13
	s_and_saveexec_b32 s12, s9
.LBB368_59:                             ;   in Loop: Header=BB368_41 Depth=1
	v_lshrrev_b32_e32 v31, 24, v33
	s_delay_alu instid0(VALU_DEP_1)
	v_and_or_b32 v31, 0x80, v31, v34
.LBB368_60:                             ;   in Loop: Header=BB368_41 Depth=1
	s_or_b32 exec_lo, exec_lo, s12
.LBB368_61:                             ;   in Loop: Header=BB368_41 Depth=1
	s_delay_alu instid0(SALU_CYCLE_1) | instskip(SKIP_3) | instid1(VALU_DEP_2)
	s_or_b32 exec_lo, exec_lo, s0
	v_cvt_f32_i32_e32 v35, v30
	v_dual_mov_b32 v33, 0x80 :: v_dual_mov_b32 v34, 0x80
	s_mov_b32 s0, exec_lo
	v_and_b32_e32 v36, 0x7fffffff, v35
	s_delay_alu instid0(VALU_DEP_1)
	v_cmpx_gt_u32_e32 0x43800000, v36
	s_cbranch_execz .LBB368_67
; %bb.62:                               ;   in Loop: Header=BB368_41 Depth=1
	v_cmp_lt_u32_e32 vcc_lo, 0x3bffffff, v36
	s_mov_b32 s9, 0
                                        ; implicit-def: $vgpr36
	s_and_saveexec_b32 s12, vcc_lo
	s_delay_alu instid0(SALU_CYCLE_1)
	s_xor_b32 s12, exec_lo, s12
	s_cbranch_execnz .LBB368_85
; %bb.63:                               ;   in Loop: Header=BB368_41 Depth=1
	s_or_saveexec_b32 s12, s12
                                        ; implicit-def: $sgpr13
	s_delay_alu instid0(SALU_CYCLE_1)
	s_xor_b32 exec_lo, exec_lo, s12
	s_cbranch_execnz .LBB368_86
.LBB368_64:                             ;   in Loop: Header=BB368_41 Depth=1
	s_or_b32 exec_lo, exec_lo, s12
	v_mov_b32_e32 v34, s13
	s_and_saveexec_b32 s12, s9
.LBB368_65:                             ;   in Loop: Header=BB368_41 Depth=1
	v_lshrrev_b32_e32 v34, 24, v35
	s_delay_alu instid0(VALU_DEP_1)
	v_and_or_b32 v34, 0x80, v34, v36
.LBB368_66:                             ;   in Loop: Header=BB368_41 Depth=1
	s_or_b32 exec_lo, exec_lo, s12
.LBB368_67:                             ;   in Loop: Header=BB368_41 Depth=1
	s_delay_alu instid0(SALU_CYCLE_1) | instskip(SKIP_2) | instid1(VALU_DEP_1)
	s_or_b32 exec_lo, exec_lo, s0
	v_cvt_f32_i32_e32 v35, v29
	s_mov_b32 s0, exec_lo
	v_and_b32_e32 v36, 0x7fffffff, v35
	s_delay_alu instid0(VALU_DEP_1)
	v_cmpx_gt_u32_e32 0x43800000, v36
	s_cbranch_execz .LBB368_73
; %bb.68:                               ;   in Loop: Header=BB368_41 Depth=1
	v_cmp_lt_u32_e32 vcc_lo, 0x3bffffff, v36
	s_mov_b32 s9, 0
                                        ; implicit-def: $vgpr36
	s_and_saveexec_b32 s12, vcc_lo
	s_delay_alu instid0(SALU_CYCLE_1)
	s_xor_b32 s12, exec_lo, s12
	s_cbranch_execnz .LBB368_87
; %bb.69:                               ;   in Loop: Header=BB368_41 Depth=1
	s_or_saveexec_b32 s12, s12
                                        ; implicit-def: $sgpr13
	s_delay_alu instid0(SALU_CYCLE_1)
	s_xor_b32 exec_lo, exec_lo, s12
	s_cbranch_execnz .LBB368_88
.LBB368_70:                             ;   in Loop: Header=BB368_41 Depth=1
	s_or_b32 exec_lo, exec_lo, s12
	v_mov_b32_e32 v33, s13
	s_and_saveexec_b32 s12, s9
.LBB368_71:                             ;   in Loop: Header=BB368_41 Depth=1
	v_lshrrev_b32_e32 v33, 24, v35
	s_delay_alu instid0(VALU_DEP_1)
	v_and_or_b32 v33, 0x80, v33, v36
.LBB368_72:                             ;   in Loop: Header=BB368_41 Depth=1
	s_or_b32 exec_lo, exec_lo, s12
.LBB368_73:                             ;   in Loop: Header=BB368_41 Depth=1
	s_delay_alu instid0(SALU_CYCLE_1) | instskip(NEXT) | instid1(SALU_CYCLE_1)
	s_or_b32 exec_lo, exec_lo, s0
	s_mov_b32 s0, exec_lo
	v_cmpx_gt_u64_e64 s[2:3], v[5:6]
	s_xor_b32 s0, exec_lo, s0
	s_cbranch_execnz .LBB368_77
; %bb.74:                               ;   in Loop: Header=BB368_41 Depth=1
	s_or_b32 exec_lo, exec_lo, s0
	s_delay_alu instid0(SALU_CYCLE_1)
	s_mov_b32 s0, exec_lo
	v_cmpx_gt_u64_e64 s[2:3], v[7:8]
	s_cbranch_execnz .LBB368_78
.LBB368_75:                             ;   in Loop: Header=BB368_41 Depth=1
	s_or_b32 exec_lo, exec_lo, s0
	s_delay_alu instid0(SALU_CYCLE_1)
	s_mov_b32 s0, exec_lo
	v_cmpx_gt_u64_e64 s[2:3], v[9:10]
	s_cbranch_execnz .LBB368_79
.LBB368_76:                             ;   in Loop: Header=BB368_41 Depth=1
	s_or_b32 exec_lo, exec_lo, s0
	s_delay_alu instid0(SALU_CYCLE_1)
	s_mov_b32 s0, exec_lo
	v_cmpx_gt_u64_e64 s[2:3], v[11:12]
	s_cbranch_execz .LBB368_40
	s_branch .LBB368_80
.LBB368_77:                             ;   in Loop: Header=BB368_41 Depth=1
	v_add_co_u32 v5, vcc_lo, v13, s6
	v_add_co_ci_u32_e32 v6, vcc_lo, s7, v14, vcc_lo
	global_store_b8 v[5:6], v32, off
	s_or_b32 exec_lo, exec_lo, s0
	s_delay_alu instid0(SALU_CYCLE_1)
	s_mov_b32 s0, exec_lo
	v_cmpx_gt_u64_e64 s[2:3], v[7:8]
	s_cbranch_execz .LBB368_75
.LBB368_78:                             ;   in Loop: Header=BB368_41 Depth=1
	v_add_co_u32 v5, vcc_lo, v25, s6
	v_add_co_ci_u32_e32 v6, vcc_lo, s7, v26, vcc_lo
	global_store_b8 v[5:6], v31, off
	s_or_b32 exec_lo, exec_lo, s0
	s_delay_alu instid0(SALU_CYCLE_1)
	s_mov_b32 s0, exec_lo
	v_cmpx_gt_u64_e64 s[2:3], v[9:10]
	s_cbranch_execz .LBB368_76
.LBB368_79:                             ;   in Loop: Header=BB368_41 Depth=1
	v_add_co_u32 v5, vcc_lo, v20, s6
	v_add_co_ci_u32_e32 v6, vcc_lo, s7, v21, vcc_lo
	global_store_b8 v[5:6], v34, off
	s_or_b32 exec_lo, exec_lo, s0
	s_delay_alu instid0(SALU_CYCLE_1)
	s_mov_b32 s0, exec_lo
	v_cmpx_gt_u64_e64 s[2:3], v[11:12]
	s_cbranch_execz .LBB368_40
.LBB368_80:                             ;   in Loop: Header=BB368_41 Depth=1
	v_add_co_u32 v5, vcc_lo, v15, s6
	v_add_co_ci_u32_e32 v6, vcc_lo, s7, v16, vcc_lo
	global_store_b8 v[5:6], v33, off
	s_branch .LBB368_40
.LBB368_81:                             ;   in Loop: Header=BB368_41 Depth=1
	v_bfe_u32 v32, v33, 20, 1
	s_mov_b32 s9, exec_lo
	s_delay_alu instid0(VALU_DEP_1) | instskip(NEXT) | instid1(VALU_DEP_1)
	v_add3_u32 v32, v33, v32, 0x487ffff
	v_lshrrev_b32_e32 v34, 20, v32
	s_or_saveexec_b32 s12, s12
                                        ; implicit-def: $sgpr13
	s_delay_alu instid0(SALU_CYCLE_1)
	s_xor_b32 exec_lo, exec_lo, s12
	s_cbranch_execz .LBB368_52
.LBB368_82:                             ;   in Loop: Header=BB368_41 Depth=1
	v_add_f32_e64 v32, 0x46000000, |v33|
	s_and_not1_b32 s9, s9, exec_lo
	s_mov_b32 s13, 0
	s_delay_alu instid0(VALU_DEP_1) | instskip(NEXT) | instid1(VALU_DEP_1)
	v_and_b32_e32 v34, 0xff, v32
	v_cmp_ne_u32_e32 vcc_lo, 0, v34
	s_and_b32 s14, vcc_lo, exec_lo
	s_delay_alu instid0(SALU_CYCLE_1)
	s_or_b32 s9, s9, s14
	s_or_b32 exec_lo, exec_lo, s12
	v_mov_b32_e32 v32, s13
	s_and_saveexec_b32 s12, s9
	s_cbranch_execnz .LBB368_53
	s_branch .LBB368_54
.LBB368_83:                             ;   in Loop: Header=BB368_41 Depth=1
	v_bfe_u32 v31, v33, 20, 1
	s_mov_b32 s9, exec_lo
	s_delay_alu instid0(VALU_DEP_1) | instskip(NEXT) | instid1(VALU_DEP_1)
	v_add3_u32 v31, v33, v31, 0x487ffff
	v_lshrrev_b32_e32 v34, 20, v31
	s_or_saveexec_b32 s12, s12
                                        ; implicit-def: $sgpr13
	s_delay_alu instid0(SALU_CYCLE_1)
	s_xor_b32 exec_lo, exec_lo, s12
	s_cbranch_execz .LBB368_58
.LBB368_84:                             ;   in Loop: Header=BB368_41 Depth=1
	v_add_f32_e64 v31, 0x46000000, |v33|
	s_and_not1_b32 s9, s9, exec_lo
	s_mov_b32 s13, 0
	s_delay_alu instid0(VALU_DEP_1) | instskip(NEXT) | instid1(VALU_DEP_1)
	v_and_b32_e32 v34, 0xff, v31
	v_cmp_ne_u32_e32 vcc_lo, 0, v34
	s_and_b32 s14, vcc_lo, exec_lo
	s_delay_alu instid0(SALU_CYCLE_1)
	s_or_b32 s9, s9, s14
	s_or_b32 exec_lo, exec_lo, s12
	v_mov_b32_e32 v31, s13
	s_and_saveexec_b32 s12, s9
	s_cbranch_execnz .LBB368_59
	s_branch .LBB368_60
.LBB368_85:                             ;   in Loop: Header=BB368_41 Depth=1
	v_bfe_u32 v34, v35, 20, 1
	s_mov_b32 s9, exec_lo
	s_delay_alu instid0(VALU_DEP_1) | instskip(NEXT) | instid1(VALU_DEP_1)
	v_add3_u32 v34, v35, v34, 0x487ffff
	v_lshrrev_b32_e32 v36, 20, v34
	s_or_saveexec_b32 s12, s12
                                        ; implicit-def: $sgpr13
	s_delay_alu instid0(SALU_CYCLE_1)
	s_xor_b32 exec_lo, exec_lo, s12
	s_cbranch_execz .LBB368_64
.LBB368_86:                             ;   in Loop: Header=BB368_41 Depth=1
	v_add_f32_e64 v34, 0x46000000, |v35|
	s_and_not1_b32 s9, s9, exec_lo
	s_mov_b32 s13, 0
	s_delay_alu instid0(VALU_DEP_1) | instskip(NEXT) | instid1(VALU_DEP_1)
	v_and_b32_e32 v36, 0xff, v34
	v_cmp_ne_u32_e32 vcc_lo, 0, v36
	s_and_b32 s14, vcc_lo, exec_lo
	s_delay_alu instid0(SALU_CYCLE_1)
	s_or_b32 s9, s9, s14
	s_or_b32 exec_lo, exec_lo, s12
	v_mov_b32_e32 v34, s13
	s_and_saveexec_b32 s12, s9
	s_cbranch_execnz .LBB368_65
	s_branch .LBB368_66
.LBB368_87:                             ;   in Loop: Header=BB368_41 Depth=1
	v_bfe_u32 v33, v35, 20, 1
	s_mov_b32 s9, exec_lo
	s_delay_alu instid0(VALU_DEP_1) | instskip(NEXT) | instid1(VALU_DEP_1)
	v_add3_u32 v33, v35, v33, 0x487ffff
	v_lshrrev_b32_e32 v36, 20, v33
	s_or_saveexec_b32 s12, s12
                                        ; implicit-def: $sgpr13
	s_delay_alu instid0(SALU_CYCLE_1)
	s_xor_b32 exec_lo, exec_lo, s12
	s_cbranch_execz .LBB368_70
.LBB368_88:                             ;   in Loop: Header=BB368_41 Depth=1
	v_add_f32_e64 v33, 0x46000000, |v35|
	s_and_not1_b32 s9, s9, exec_lo
	s_mov_b32 s13, 0
	s_delay_alu instid0(VALU_DEP_1) | instskip(NEXT) | instid1(VALU_DEP_1)
	v_and_b32_e32 v36, 0xff, v33
	v_cmp_ne_u32_e32 vcc_lo, 0, v36
	s_and_b32 s14, vcc_lo, exec_lo
	s_delay_alu instid0(SALU_CYCLE_1)
	s_or_b32 s9, s9, s14
	s_or_b32 exec_lo, exec_lo, s12
	v_mov_b32_e32 v33, s13
	s_and_saveexec_b32 s12, s9
	s_cbranch_execnz .LBB368_71
	s_branch .LBB368_72
.LBB368_89:
	s_nop 0
	s_sendmsg sendmsg(MSG_DEALLOC_VGPRS)
	s_endpgm
	.section	.rodata,"a",@progbits
	.p2align	6, 0x0
	.amdhsa_kernel _ZN2at6native12_GLOBAL__N_125multi_tensor_apply_kernelINS1_18TensorListMetadataILi2EEENS1_11CopyFunctorIN3c1015Float8_e4m3fnuzEiLi2ELi1ELi1EEEJNS0_4CopyIS7_iEEEEEvT_T0_DpT1_
		.amdhsa_group_segment_fixed_size 0
		.amdhsa_private_segment_fixed_size 0
		.amdhsa_kernarg_size 3408
		.amdhsa_user_sgpr_count 15
		.amdhsa_user_sgpr_dispatch_ptr 0
		.amdhsa_user_sgpr_queue_ptr 0
		.amdhsa_user_sgpr_kernarg_segment_ptr 1
		.amdhsa_user_sgpr_dispatch_id 0
		.amdhsa_user_sgpr_private_segment_size 0
		.amdhsa_wavefront_size32 1
		.amdhsa_uses_dynamic_stack 0
		.amdhsa_enable_private_segment 0
		.amdhsa_system_sgpr_workgroup_id_x 1
		.amdhsa_system_sgpr_workgroup_id_y 0
		.amdhsa_system_sgpr_workgroup_id_z 0
		.amdhsa_system_sgpr_workgroup_info 0
		.amdhsa_system_vgpr_workitem_id 0
		.amdhsa_next_free_vgpr 37
		.amdhsa_next_free_sgpr 23
		.amdhsa_reserve_vcc 1
		.amdhsa_float_round_mode_32 0
		.amdhsa_float_round_mode_16_64 0
		.amdhsa_float_denorm_mode_32 3
		.amdhsa_float_denorm_mode_16_64 3
		.amdhsa_dx10_clamp 1
		.amdhsa_ieee_mode 1
		.amdhsa_fp16_overflow 0
		.amdhsa_workgroup_processor_mode 1
		.amdhsa_memory_ordered 1
		.amdhsa_forward_progress 0
		.amdhsa_shared_vgpr_count 0
		.amdhsa_exception_fp_ieee_invalid_op 0
		.amdhsa_exception_fp_denorm_src 0
		.amdhsa_exception_fp_ieee_div_zero 0
		.amdhsa_exception_fp_ieee_overflow 0
		.amdhsa_exception_fp_ieee_underflow 0
		.amdhsa_exception_fp_ieee_inexact 0
		.amdhsa_exception_int_div_zero 0
	.end_amdhsa_kernel
	.section	.text._ZN2at6native12_GLOBAL__N_125multi_tensor_apply_kernelINS1_18TensorListMetadataILi2EEENS1_11CopyFunctorIN3c1015Float8_e4m3fnuzEiLi2ELi1ELi1EEEJNS0_4CopyIS7_iEEEEEvT_T0_DpT1_,"axG",@progbits,_ZN2at6native12_GLOBAL__N_125multi_tensor_apply_kernelINS1_18TensorListMetadataILi2EEENS1_11CopyFunctorIN3c1015Float8_e4m3fnuzEiLi2ELi1ELi1EEEJNS0_4CopyIS7_iEEEEEvT_T0_DpT1_,comdat
.Lfunc_end368:
	.size	_ZN2at6native12_GLOBAL__N_125multi_tensor_apply_kernelINS1_18TensorListMetadataILi2EEENS1_11CopyFunctorIN3c1015Float8_e4m3fnuzEiLi2ELi1ELi1EEEJNS0_4CopyIS7_iEEEEEvT_T0_DpT1_, .Lfunc_end368-_ZN2at6native12_GLOBAL__N_125multi_tensor_apply_kernelINS1_18TensorListMetadataILi2EEENS1_11CopyFunctorIN3c1015Float8_e4m3fnuzEiLi2ELi1ELi1EEEJNS0_4CopyIS7_iEEEEEvT_T0_DpT1_
                                        ; -- End function
	.section	.AMDGPU.csdata,"",@progbits
; Kernel info:
; codeLenInByte = 3300
; NumSgprs: 25
; NumVgprs: 37
; ScratchSize: 0
; MemoryBound: 0
; FloatMode: 240
; IeeeMode: 1
; LDSByteSize: 0 bytes/workgroup (compile time only)
; SGPRBlocks: 3
; VGPRBlocks: 4
; NumSGPRsForWavesPerEU: 25
; NumVGPRsForWavesPerEU: 37
; Occupancy: 16
; WaveLimiterHint : 0
; COMPUTE_PGM_RSRC2:SCRATCH_EN: 0
; COMPUTE_PGM_RSRC2:USER_SGPR: 15
; COMPUTE_PGM_RSRC2:TRAP_HANDLER: 0
; COMPUTE_PGM_RSRC2:TGID_X_EN: 1
; COMPUTE_PGM_RSRC2:TGID_Y_EN: 0
; COMPUTE_PGM_RSRC2:TGID_Z_EN: 0
; COMPUTE_PGM_RSRC2:TIDIG_COMP_CNT: 0
	.section	.text._ZN2at6native12_GLOBAL__N_125multi_tensor_apply_kernelINS1_18TensorListMetadataILi2EEENS1_11CopyFunctorIN3c1015Float8_e4m3fnuzEdLi2ELi1ELi1EEEJNS0_4CopyIS7_dEEEEEvT_T0_DpT1_,"axG",@progbits,_ZN2at6native12_GLOBAL__N_125multi_tensor_apply_kernelINS1_18TensorListMetadataILi2EEENS1_11CopyFunctorIN3c1015Float8_e4m3fnuzEdLi2ELi1ELi1EEEJNS0_4CopyIS7_dEEEEEvT_T0_DpT1_,comdat
	.globl	_ZN2at6native12_GLOBAL__N_125multi_tensor_apply_kernelINS1_18TensorListMetadataILi2EEENS1_11CopyFunctorIN3c1015Float8_e4m3fnuzEdLi2ELi1ELi1EEEJNS0_4CopyIS7_dEEEEEvT_T0_DpT1_ ; -- Begin function _ZN2at6native12_GLOBAL__N_125multi_tensor_apply_kernelINS1_18TensorListMetadataILi2EEENS1_11CopyFunctorIN3c1015Float8_e4m3fnuzEdLi2ELi1ELi1EEEJNS0_4CopyIS7_dEEEEEvT_T0_DpT1_
	.p2align	8
	.type	_ZN2at6native12_GLOBAL__N_125multi_tensor_apply_kernelINS1_18TensorListMetadataILi2EEENS1_11CopyFunctorIN3c1015Float8_e4m3fnuzEdLi2ELi1ELi1EEEJNS0_4CopyIS7_dEEEEEvT_T0_DpT1_,@function
_ZN2at6native12_GLOBAL__N_125multi_tensor_apply_kernelINS1_18TensorListMetadataILi2EEENS1_11CopyFunctorIN3c1015Float8_e4m3fnuzEdLi2ELi1ELi1EEEJNS0_4CopyIS7_dEEEEEvT_T0_DpT1_: ; @_ZN2at6native12_GLOBAL__N_125multi_tensor_apply_kernelINS1_18TensorListMetadataILi2EEENS1_11CopyFunctorIN3c1015Float8_e4m3fnuzEdLi2ELi1ELi1EEEJNS0_4CopyIS7_dEEEEEvT_T0_DpT1_
; %bb.0:
	v_mov_b32_e32 v1, s15
	s_add_u32 s2, s0, s15
	s_mul_i32 s4, s15, 3
	s_addc_u32 s3, s1, 0
	s_mul_hi_u32 s5, s15, 3
	global_load_u8 v1, v1, s[0:1] offset:1536
	s_add_u32 s2, s2, s4
	s_addc_u32 s3, s3, s5
	s_mov_b32 s17, 0
	s_load_b32 s10, s[2:3], 0x740
	s_waitcnt lgkmcnt(0)
	s_ashr_i32 s11, s10, 31
	s_delay_alu instid0(SALU_CYCLE_1) | instskip(SKIP_2) | instid1(VALU_DEP_1)
	s_lshl_b64 s[8:9], s[10:11], 16
	s_waitcnt vmcnt(0)
	v_readfirstlane_b32 s4, v1
	s_lshl_b32 s4, s4, 3
	s_clause 0x2
	s_load_b64 s[6:7], s[0:1], s4 offset:0x200
	s_load_b64 s[2:3], s[0:1], s4 offset:0x400
	;; [unrolled: 1-line block ×3, first 2 shown]
	s_waitcnt lgkmcnt(0)
	s_add_u32 s14, s6, s8
	s_addc_u32 s15, s7, s9
	s_delay_alu instid0(SALU_CYCLE_1) | instskip(SKIP_2) | instid1(SALU_CYCLE_1)
	s_or_b64 s[4:5], s[2:3], s[14:15]
	s_and_b32 s5, s12, 31
	s_and_b32 s4, s4, 3
	s_or_b32 s16, s4, s5
	s_sub_u32 s4, s2, s8
	s_subb_u32 s5, s3, s9
	s_cmp_eq_u64 s[16:17], 0
	s_mov_b32 s2, -1
	s_cbranch_scc0 .LBB369_37
; %bb.1:
	v_dual_mov_b32 v10, 0 :: v_dual_lshlrev_b32 v9, 2, v0
	s_mov_b32 s3, exec_lo
	s_delay_alu instid0(VALU_DEP_1)
	v_cmpx_gt_i64_e64 s[4:5], v[9:10]
	s_cbranch_execz .LBB369_36
; %bb.2:
	s_load_b32 s2, s[0:1], 0xc5c
	v_lshlrev_b32_e32 v1, 5, v0
	s_lshl_b64 s[18:19], s[10:11], 19
	s_waitcnt lgkmcnt(0)
	s_and_b32 s2, s2, 0xffff
	s_delay_alu instid0(SALU_CYCLE_1) | instskip(SKIP_3) | instid1(VALU_DEP_1)
	s_lshl_b32 s16, s2, 2
	s_add_u32 s17, s12, s18
	s_addc_u32 s18, s13, s19
	v_add_co_u32 v11, s17, s17, v1
	v_add_co_ci_u32_e64 v12, null, s18, 0, s17
	s_mov_b32 s17, 0
	s_lshl_b32 s18, s2, 5
	s_branch .LBB369_5
.LBB369_3:                              ;   in Loop: Header=BB369_5 Depth=1
	s_or_b32 exec_lo, exec_lo, s20
.LBB369_4:                              ;   in Loop: Header=BB369_5 Depth=1
	s_delay_alu instid0(SALU_CYCLE_1)
	s_or_b32 exec_lo, exec_lo, s2
	v_add_co_u32 v3, vcc_lo, s14, v9
	v_add_co_ci_u32_e32 v4, vcc_lo, s15, v10, vcc_lo
	v_add_co_u32 v9, vcc_lo, s16, v9
	v_add_co_ci_u32_e32 v10, vcc_lo, 0, v10, vcc_lo
	v_lshlrev_b32_e32 v2, 16, v2
	v_lshlrev_b32_e32 v6, 8, v6
	v_and_b32_e32 v5, 0xff, v5
	s_delay_alu instid0(VALU_DEP_4) | instskip(SKIP_3) | instid1(VALU_DEP_3)
	v_cmp_le_i64_e32 vcc_lo, s[4:5], v[9:10]
	v_cmp_lt_u64_e64 s2, 0xffff, v[9:10]
	v_perm_b32 v1, v1, v2, 0x4020c0c
	v_and_b32_e32 v2, 0xff00, v6
	s_or_b32 s2, vcc_lo, s2
	v_add_co_u32 v11, vcc_lo, v11, s18
	s_delay_alu instid0(VALU_DEP_2) | instskip(SKIP_2) | instid1(SALU_CYCLE_1)
	v_or3_b32 v1, v1, v2, v5
	v_add_co_ci_u32_e32 v12, vcc_lo, 0, v12, vcc_lo
	s_and_b32 s2, exec_lo, s2
	s_or_b32 s17, s2, s17
	global_store_b32 v[3:4], v1, off
	s_and_not1_b32 exec_lo, exec_lo, s17
	s_cbranch_execz .LBB369_36
.LBB369_5:                              ; =>This Inner Loop Header: Depth=1
	s_clause 0x1
	global_load_b128 v[5:8], v[11:12], off
	global_load_b128 v[1:4], v[11:12], off offset:16
	s_mov_b32 s2, exec_lo
	s_waitcnt vmcnt(1)
	v_cvt_f32_f64_e32 v13, v[5:6]
	v_dual_mov_b32 v6, 0x80 :: v_dual_mov_b32 v5, 0x80
	s_delay_alu instid0(VALU_DEP_2) | instskip(NEXT) | instid1(VALU_DEP_1)
	v_and_b32_e32 v14, 0x7fffffff, v13
	v_cmpx_gt_u32_e32 0x43800000, v14
	s_cbranch_execz .LBB369_11
; %bb.6:                                ;   in Loop: Header=BB369_5 Depth=1
	v_cmp_lt_u32_e32 vcc_lo, 0x3bffffff, v14
	s_mov_b32 s19, 0
                                        ; implicit-def: $vgpr14
	s_and_saveexec_b32 s20, vcc_lo
	s_delay_alu instid0(SALU_CYCLE_1)
	s_xor_b32 s20, exec_lo, s20
	s_cbranch_execnz .LBB369_27
; %bb.7:                                ;   in Loop: Header=BB369_5 Depth=1
	s_or_saveexec_b32 s20, s20
                                        ; implicit-def: $sgpr21
	s_delay_alu instid0(SALU_CYCLE_1)
	s_xor_b32 exec_lo, exec_lo, s20
	s_cbranch_execnz .LBB369_28
.LBB369_8:                              ;   in Loop: Header=BB369_5 Depth=1
	s_or_b32 exec_lo, exec_lo, s20
	v_mov_b32_e32 v5, s21
	s_and_saveexec_b32 s20, s19
.LBB369_9:                              ;   in Loop: Header=BB369_5 Depth=1
	v_lshrrev_b32_e32 v5, 24, v13
	s_delay_alu instid0(VALU_DEP_1)
	v_and_or_b32 v5, 0x80, v5, v14
.LBB369_10:                             ;   in Loop: Header=BB369_5 Depth=1
	s_or_b32 exec_lo, exec_lo, s20
.LBB369_11:                             ;   in Loop: Header=BB369_5 Depth=1
	s_delay_alu instid0(SALU_CYCLE_1) | instskip(SKIP_2) | instid1(VALU_DEP_1)
	s_or_b32 exec_lo, exec_lo, s2
	v_cvt_f32_f64_e32 v7, v[7:8]
	s_mov_b32 s2, exec_lo
	v_and_b32_e32 v8, 0x7fffffff, v7
	s_delay_alu instid0(VALU_DEP_1)
	v_cmpx_gt_u32_e32 0x43800000, v8
	s_cbranch_execz .LBB369_17
; %bb.12:                               ;   in Loop: Header=BB369_5 Depth=1
	v_cmp_lt_u32_e32 vcc_lo, 0x3bffffff, v8
	s_mov_b32 s19, 0
                                        ; implicit-def: $vgpr8
	s_and_saveexec_b32 s20, vcc_lo
	s_delay_alu instid0(SALU_CYCLE_1)
	s_xor_b32 s20, exec_lo, s20
	s_cbranch_execnz .LBB369_29
; %bb.13:                               ;   in Loop: Header=BB369_5 Depth=1
	s_or_saveexec_b32 s20, s20
                                        ; implicit-def: $sgpr21
	s_delay_alu instid0(SALU_CYCLE_1)
	s_xor_b32 exec_lo, exec_lo, s20
	s_cbranch_execnz .LBB369_30
.LBB369_14:                             ;   in Loop: Header=BB369_5 Depth=1
	s_or_b32 exec_lo, exec_lo, s20
	v_mov_b32_e32 v6, s21
	s_and_saveexec_b32 s20, s19
.LBB369_15:                             ;   in Loop: Header=BB369_5 Depth=1
	v_lshrrev_b32_e32 v6, 24, v7
	s_delay_alu instid0(VALU_DEP_1)
	v_and_or_b32 v6, 0x80, v6, v8
.LBB369_16:                             ;   in Loop: Header=BB369_5 Depth=1
	s_or_b32 exec_lo, exec_lo, s20
.LBB369_17:                             ;   in Loop: Header=BB369_5 Depth=1
	s_delay_alu instid0(SALU_CYCLE_1) | instskip(SKIP_4) | instid1(VALU_DEP_2)
	s_or_b32 exec_lo, exec_lo, s2
	s_waitcnt vmcnt(0)
	v_cvt_f32_f64_e32 v7, v[1:2]
	v_dual_mov_b32 v1, 0x80 :: v_dual_mov_b32 v2, 0x80
	s_mov_b32 s2, exec_lo
	v_and_b32_e32 v8, 0x7fffffff, v7
	s_delay_alu instid0(VALU_DEP_1)
	v_cmpx_gt_u32_e32 0x43800000, v8
	s_cbranch_execz .LBB369_23
; %bb.18:                               ;   in Loop: Header=BB369_5 Depth=1
	v_cmp_lt_u32_e32 vcc_lo, 0x3bffffff, v8
	s_mov_b32 s19, 0
                                        ; implicit-def: $vgpr8
	s_and_saveexec_b32 s20, vcc_lo
	s_delay_alu instid0(SALU_CYCLE_1)
	s_xor_b32 s20, exec_lo, s20
	s_cbranch_execnz .LBB369_31
; %bb.19:                               ;   in Loop: Header=BB369_5 Depth=1
	s_or_saveexec_b32 s20, s20
                                        ; implicit-def: $sgpr21
	s_delay_alu instid0(SALU_CYCLE_1)
	s_xor_b32 exec_lo, exec_lo, s20
	s_cbranch_execnz .LBB369_32
.LBB369_20:                             ;   in Loop: Header=BB369_5 Depth=1
	s_or_b32 exec_lo, exec_lo, s20
	v_mov_b32_e32 v2, s21
	s_and_saveexec_b32 s20, s19
.LBB369_21:                             ;   in Loop: Header=BB369_5 Depth=1
	v_lshrrev_b32_e32 v2, 24, v7
	s_delay_alu instid0(VALU_DEP_1)
	v_and_or_b32 v2, 0x80, v2, v8
.LBB369_22:                             ;   in Loop: Header=BB369_5 Depth=1
	s_or_b32 exec_lo, exec_lo, s20
.LBB369_23:                             ;   in Loop: Header=BB369_5 Depth=1
	s_delay_alu instid0(SALU_CYCLE_1) | instskip(SKIP_2) | instid1(VALU_DEP_1)
	s_or_b32 exec_lo, exec_lo, s2
	v_cvt_f32_f64_e32 v3, v[3:4]
	s_mov_b32 s2, exec_lo
	v_and_b32_e32 v4, 0x7fffffff, v3
	s_delay_alu instid0(VALU_DEP_1)
	v_cmpx_gt_u32_e32 0x43800000, v4
	s_cbranch_execz .LBB369_4
; %bb.24:                               ;   in Loop: Header=BB369_5 Depth=1
	v_cmp_lt_u32_e32 vcc_lo, 0x3bffffff, v4
	s_mov_b32 s19, 0
                                        ; implicit-def: $vgpr4
	s_and_saveexec_b32 s20, vcc_lo
	s_delay_alu instid0(SALU_CYCLE_1)
	s_xor_b32 s20, exec_lo, s20
	s_cbranch_execnz .LBB369_33
; %bb.25:                               ;   in Loop: Header=BB369_5 Depth=1
	s_or_saveexec_b32 s20, s20
                                        ; implicit-def: $sgpr21
	s_delay_alu instid0(SALU_CYCLE_1)
	s_xor_b32 exec_lo, exec_lo, s20
	s_cbranch_execnz .LBB369_34
.LBB369_26:                             ;   in Loop: Header=BB369_5 Depth=1
	s_or_b32 exec_lo, exec_lo, s20
	v_mov_b32_e32 v1, s21
	s_and_saveexec_b32 s20, s19
	s_cbranch_execz .LBB369_3
	s_branch .LBB369_35
.LBB369_27:                             ;   in Loop: Header=BB369_5 Depth=1
	v_bfe_u32 v5, v13, 20, 1
	s_mov_b32 s19, exec_lo
	s_delay_alu instid0(VALU_DEP_1) | instskip(NEXT) | instid1(VALU_DEP_1)
	v_add3_u32 v5, v13, v5, 0x487ffff
	v_lshrrev_b32_e32 v14, 20, v5
	s_or_saveexec_b32 s20, s20
                                        ; implicit-def: $sgpr21
	s_delay_alu instid0(SALU_CYCLE_1)
	s_xor_b32 exec_lo, exec_lo, s20
	s_cbranch_execz .LBB369_8
.LBB369_28:                             ;   in Loop: Header=BB369_5 Depth=1
	v_add_f32_e64 v5, 0x46000000, |v13|
	s_and_not1_b32 s19, s19, exec_lo
	s_mov_b32 s21, 0
	s_delay_alu instid0(VALU_DEP_1) | instskip(NEXT) | instid1(VALU_DEP_1)
	v_and_b32_e32 v14, 0xff, v5
	v_cmp_ne_u32_e32 vcc_lo, 0, v14
	s_and_b32 s22, vcc_lo, exec_lo
	s_delay_alu instid0(SALU_CYCLE_1)
	s_or_b32 s19, s19, s22
	s_or_b32 exec_lo, exec_lo, s20
	v_mov_b32_e32 v5, s21
	s_and_saveexec_b32 s20, s19
	s_cbranch_execnz .LBB369_9
	s_branch .LBB369_10
.LBB369_29:                             ;   in Loop: Header=BB369_5 Depth=1
	v_bfe_u32 v6, v7, 20, 1
	s_mov_b32 s19, exec_lo
	s_delay_alu instid0(VALU_DEP_1) | instskip(NEXT) | instid1(VALU_DEP_1)
	v_add3_u32 v6, v7, v6, 0x487ffff
	v_lshrrev_b32_e32 v8, 20, v6
	s_or_saveexec_b32 s20, s20
                                        ; implicit-def: $sgpr21
	s_delay_alu instid0(SALU_CYCLE_1)
	s_xor_b32 exec_lo, exec_lo, s20
	s_cbranch_execz .LBB369_14
.LBB369_30:                             ;   in Loop: Header=BB369_5 Depth=1
	v_add_f32_e64 v6, 0x46000000, |v7|
	s_and_not1_b32 s19, s19, exec_lo
	s_mov_b32 s21, 0
	s_delay_alu instid0(VALU_DEP_1) | instskip(NEXT) | instid1(VALU_DEP_1)
	v_and_b32_e32 v8, 0xff, v6
	v_cmp_ne_u32_e32 vcc_lo, 0, v8
	s_and_b32 s22, vcc_lo, exec_lo
	s_delay_alu instid0(SALU_CYCLE_1)
	s_or_b32 s19, s19, s22
	s_or_b32 exec_lo, exec_lo, s20
	v_mov_b32_e32 v6, s21
	s_and_saveexec_b32 s20, s19
	s_cbranch_execnz .LBB369_15
	s_branch .LBB369_16
.LBB369_31:                             ;   in Loop: Header=BB369_5 Depth=1
	v_bfe_u32 v2, v7, 20, 1
	s_mov_b32 s19, exec_lo
	s_delay_alu instid0(VALU_DEP_1) | instskip(NEXT) | instid1(VALU_DEP_1)
	v_add3_u32 v2, v7, v2, 0x487ffff
	v_lshrrev_b32_e32 v8, 20, v2
	s_or_saveexec_b32 s20, s20
                                        ; implicit-def: $sgpr21
	s_delay_alu instid0(SALU_CYCLE_1)
	s_xor_b32 exec_lo, exec_lo, s20
	s_cbranch_execz .LBB369_20
.LBB369_32:                             ;   in Loop: Header=BB369_5 Depth=1
	v_add_f32_e64 v2, 0x46000000, |v7|
	s_and_not1_b32 s19, s19, exec_lo
	s_mov_b32 s21, 0
	s_delay_alu instid0(VALU_DEP_1) | instskip(NEXT) | instid1(VALU_DEP_1)
	v_and_b32_e32 v8, 0xff, v2
	v_cmp_ne_u32_e32 vcc_lo, 0, v8
	s_and_b32 s22, vcc_lo, exec_lo
	s_delay_alu instid0(SALU_CYCLE_1)
	s_or_b32 s19, s19, s22
	s_or_b32 exec_lo, exec_lo, s20
	v_mov_b32_e32 v2, s21
	s_and_saveexec_b32 s20, s19
	s_cbranch_execnz .LBB369_21
	s_branch .LBB369_22
.LBB369_33:                             ;   in Loop: Header=BB369_5 Depth=1
	v_bfe_u32 v1, v3, 20, 1
	s_mov_b32 s19, exec_lo
	s_delay_alu instid0(VALU_DEP_1) | instskip(NEXT) | instid1(VALU_DEP_1)
	v_add3_u32 v1, v3, v1, 0x487ffff
	v_lshrrev_b32_e32 v4, 20, v1
	s_or_saveexec_b32 s20, s20
                                        ; implicit-def: $sgpr21
	s_delay_alu instid0(SALU_CYCLE_1)
	s_xor_b32 exec_lo, exec_lo, s20
	s_cbranch_execz .LBB369_26
.LBB369_34:                             ;   in Loop: Header=BB369_5 Depth=1
	v_add_f32_e64 v1, 0x46000000, |v3|
	s_and_not1_b32 s19, s19, exec_lo
	s_mov_b32 s21, 0
	s_delay_alu instid0(VALU_DEP_1) | instskip(NEXT) | instid1(VALU_DEP_1)
	v_and_b32_e32 v4, 0xff, v1
	v_cmp_ne_u32_e32 vcc_lo, 0, v4
	s_and_b32 s22, vcc_lo, exec_lo
	s_delay_alu instid0(SALU_CYCLE_1)
	s_or_b32 s19, s19, s22
	s_or_b32 exec_lo, exec_lo, s20
	v_mov_b32_e32 v1, s21
	s_and_saveexec_b32 s20, s19
	s_cbranch_execz .LBB369_3
.LBB369_35:                             ;   in Loop: Header=BB369_5 Depth=1
	v_lshrrev_b32_e32 v1, 24, v3
	s_delay_alu instid0(VALU_DEP_1)
	v_and_or_b32 v1, 0x80, v1, v4
	s_branch .LBB369_3
.LBB369_36:
	s_or_b32 exec_lo, exec_lo, s3
	s_mov_b32 s2, 0
.LBB369_37:
	s_delay_alu instid0(SALU_CYCLE_1)
	s_and_not1_b32 vcc_lo, exec_lo, s2
	s_cbranch_vccnz .LBB369_89
; %bb.38:
	v_cmp_lt_i64_e64 s2, s[4:5], 1
	s_delay_alu instid0(VALU_DEP_1)
	s_and_b32 vcc_lo, exec_lo, s2
	s_cbranch_vccnz .LBB369_89
; %bb.39:
	s_load_b32 s0, s[0:1], 0xc5c
	v_cmp_gt_u64_e64 s1, 0x10000, s[4:5]
	v_add_co_u32 v5, s2, s8, v0
	v_lshlrev_b32_e32 v1, 3, v0
	v_add_co_ci_u32_e64 v6, null, s9, 0, s2
	s_delay_alu instid0(VALU_DEP_3) | instskip(NEXT) | instid1(VALU_DEP_2)
	v_add_co_u32 v21, vcc_lo, s6, v5
                                        ; implicit-def: $vgpr9_vgpr10
                                        ; implicit-def: $vgpr11_vgpr12
                                        ; implicit-def: $vgpr7_vgpr8
	v_add_co_ci_u32_e32 v22, vcc_lo, s7, v6, vcc_lo
	s_waitcnt lgkmcnt(0)
	s_and_b32 s0, s0, 0xffff
	s_and_b32 s1, s1, exec_lo
	s_cselect_b32 s3, s5, 0
	s_cselect_b32 s2, s4, 0x10000
	s_lshl_b64 s[10:11], s[10:11], 19
	s_lshl_b32 s14, s0, 1
	s_lshl_b32 s1, s0, 2
	s_add_u32 s12, s12, s10
	s_mul_i32 s15, s0, 3
	s_addc_u32 s13, s13, s11
	s_lshl_b32 s10, s0, 5
	v_add_co_u32 v1, s16, s12, v1
	s_add_u32 s11, s8, s15
	v_add_co_ci_u32_e64 v2, null, s13, 0, s16
	s_addc_u32 s16, s9, 0
	s_add_u32 s11, s6, s11
	s_addc_u32 s16, s7, s16
	v_add_co_u32 v23, s11, s11, v0
	s_delay_alu instid0(VALU_DEP_1)
	v_add_co_ci_u32_e64 v24, null, s16, 0, s11
	v_add_co_u32 v25, s11, s15, v0
	v_add_co_u32 v27, s15, v0, s0
	v_add_co_ci_u32_e64 v26, null, 0, 0, s11
	s_lshl_b32 s11, s0, 4
	s_add_u32 s8, s8, s14
	s_addc_u32 s9, s9, 0
	s_add_u32 s8, s6, s8
	v_lshlrev_b32_e32 v3, 3, v27
	s_addc_u32 s9, s7, s9
	v_add_co_u32 v28, s8, s8, v0
	s_delay_alu instid0(VALU_DEP_1)
	v_add_co_ci_u32_e64 v29, null, s9, 0, s8
	v_add_co_u32 v31, s8, s14, v0
	s_add_u32 s6, s6, s0
	v_add_co_ci_u32_e64 v32, null, 0, 0, s8
	v_add_co_u32 v3, s8, s12, v3
	s_addc_u32 s7, s7, 0
	v_add_co_u32 v33, vcc_lo, s6, v5
	v_add_co_ci_u32_e64 v30, null, 0, 0, s15
	v_add_co_ci_u32_e64 v4, null, s13, 0, s8
	v_add_co_ci_u32_e32 v34, vcc_lo, s7, v6, vcc_lo
	s_mul_i32 s8, s0, 24
	s_mov_b64 s[6:7], 0
                                        ; implicit-def: $vgpr5_vgpr6
	s_branch .LBB369_41
.LBB369_40:                             ;   in Loop: Header=BB369_41 Depth=1
	s_or_b32 exec_lo, exec_lo, s0
	s_add_u32 s6, s6, s1
	s_addc_u32 s7, s7, 0
	v_add_co_u32 v1, vcc_lo, v1, s10
	v_cmp_ge_i64_e64 s0, s[6:7], s[4:5]
	v_cmp_lt_u64_e64 s9, 0xffff, s[6:7]
	v_add_co_ci_u32_e32 v2, vcc_lo, 0, v2, vcc_lo
	v_add_co_u32 v3, vcc_lo, v3, s10
	v_add_co_ci_u32_e32 v4, vcc_lo, 0, v4, vcc_lo
	s_delay_alu instid0(VALU_DEP_4) | instskip(NEXT) | instid1(SALU_CYCLE_1)
	s_or_b32 s0, s0, s9
	s_and_b32 vcc_lo, exec_lo, s0
	s_cbranch_vccnz .LBB369_89
.LBB369_41:                             ; =>This Inner Loop Header: Depth=1
	v_add_co_u32 v13, s0, v0, s6
	s_delay_alu instid0(VALU_DEP_1) | instskip(NEXT) | instid1(VALU_DEP_1)
	v_add_co_ci_u32_e64 v14, null, 0, s7, s0
	v_cmp_gt_i64_e32 vcc_lo, s[4:5], v[13:14]
	v_cmp_gt_u64_e64 s0, 0x10000, v[13:14]
	s_delay_alu instid0(VALU_DEP_1) | instskip(NEXT) | instid1(SALU_CYCLE_1)
	s_and_b32 s9, vcc_lo, s0
	s_and_saveexec_b32 s0, s9
	s_cbranch_execz .LBB369_43
; %bb.42:                               ;   in Loop: Header=BB369_41 Depth=1
	global_load_b64 v[7:8], v[1:2], off
.LBB369_43:                             ;   in Loop: Header=BB369_41 Depth=1
	s_or_b32 exec_lo, exec_lo, s0
	v_add_co_u32 v15, vcc_lo, v27, s6
	v_add_co_ci_u32_e32 v16, vcc_lo, s7, v30, vcc_lo
	s_delay_alu instid0(VALU_DEP_1) | instskip(SKIP_1) | instid1(VALU_DEP_1)
	v_cmp_gt_i64_e32 vcc_lo, s[4:5], v[15:16]
	v_cmp_gt_u64_e64 s0, 0x10000, v[15:16]
	s_and_b32 s9, vcc_lo, s0
	s_delay_alu instid0(SALU_CYCLE_1)
	s_and_saveexec_b32 s0, s9
	s_cbranch_execz .LBB369_45
; %bb.44:                               ;   in Loop: Header=BB369_41 Depth=1
	global_load_b64 v[5:6], v[3:4], off
.LBB369_45:                             ;   in Loop: Header=BB369_41 Depth=1
	s_or_b32 exec_lo, exec_lo, s0
	v_add_co_u32 v17, vcc_lo, v31, s6
	v_add_co_ci_u32_e32 v18, vcc_lo, s7, v32, vcc_lo
	s_delay_alu instid0(VALU_DEP_1) | instskip(SKIP_1) | instid1(VALU_DEP_1)
	v_cmp_gt_i64_e32 vcc_lo, s[4:5], v[17:18]
	v_cmp_gt_u64_e64 s0, 0x10000, v[17:18]
	s_and_b32 s9, vcc_lo, s0
	s_delay_alu instid0(SALU_CYCLE_1)
	s_and_saveexec_b32 s0, s9
	s_cbranch_execz .LBB369_47
; %bb.46:                               ;   in Loop: Header=BB369_41 Depth=1
	v_add_co_u32 v11, vcc_lo, v1, s11
	v_add_co_ci_u32_e32 v12, vcc_lo, 0, v2, vcc_lo
	global_load_b64 v[11:12], v[11:12], off
.LBB369_47:                             ;   in Loop: Header=BB369_41 Depth=1
	s_or_b32 exec_lo, exec_lo, s0
	v_add_co_u32 v19, vcc_lo, v25, s6
	v_add_co_ci_u32_e32 v20, vcc_lo, s7, v26, vcc_lo
	s_delay_alu instid0(VALU_DEP_1) | instskip(SKIP_1) | instid1(VALU_DEP_1)
	v_cmp_gt_i64_e32 vcc_lo, s[4:5], v[19:20]
	v_cmp_gt_u64_e64 s0, 0x10000, v[19:20]
	s_and_b32 s9, vcc_lo, s0
	s_delay_alu instid0(SALU_CYCLE_1)
	s_and_saveexec_b32 s0, s9
	s_cbranch_execz .LBB369_49
; %bb.48:                               ;   in Loop: Header=BB369_41 Depth=1
	v_add_co_u32 v9, vcc_lo, v1, s8
	v_add_co_ci_u32_e32 v10, vcc_lo, 0, v2, vcc_lo
	global_load_b64 v[9:10], v[9:10], off
.LBB369_49:                             ;   in Loop: Header=BB369_41 Depth=1
	s_or_b32 exec_lo, exec_lo, s0
	s_waitcnt vmcnt(0)
	v_cvt_f32_f64_e32 v37, v[7:8]
	v_dual_mov_b32 v35, 0x80 :: v_dual_mov_b32 v36, 0x80
	s_mov_b32 s0, exec_lo
	s_delay_alu instid0(VALU_DEP_2) | instskip(NEXT) | instid1(VALU_DEP_1)
	v_and_b32_e32 v38, 0x7fffffff, v37
	v_cmpx_gt_u32_e32 0x43800000, v38
	s_cbranch_execz .LBB369_55
; %bb.50:                               ;   in Loop: Header=BB369_41 Depth=1
	v_cmp_lt_u32_e32 vcc_lo, 0x3bffffff, v38
	s_mov_b32 s9, 0
                                        ; implicit-def: $vgpr38
	s_and_saveexec_b32 s12, vcc_lo
	s_delay_alu instid0(SALU_CYCLE_1)
	s_xor_b32 s12, exec_lo, s12
	s_cbranch_execnz .LBB369_81
; %bb.51:                               ;   in Loop: Header=BB369_41 Depth=1
	s_or_saveexec_b32 s12, s12
                                        ; implicit-def: $sgpr13
	s_delay_alu instid0(SALU_CYCLE_1)
	s_xor_b32 exec_lo, exec_lo, s12
	s_cbranch_execnz .LBB369_82
.LBB369_52:                             ;   in Loop: Header=BB369_41 Depth=1
	s_or_b32 exec_lo, exec_lo, s12
	v_mov_b32_e32 v36, s13
	s_and_saveexec_b32 s12, s9
.LBB369_53:                             ;   in Loop: Header=BB369_41 Depth=1
	v_lshrrev_b32_e32 v36, 24, v37
	s_delay_alu instid0(VALU_DEP_1)
	v_and_or_b32 v36, 0x80, v36, v38
.LBB369_54:                             ;   in Loop: Header=BB369_41 Depth=1
	s_or_b32 exec_lo, exec_lo, s12
.LBB369_55:                             ;   in Loop: Header=BB369_41 Depth=1
	s_delay_alu instid0(SALU_CYCLE_1) | instskip(SKIP_2) | instid1(VALU_DEP_1)
	s_or_b32 exec_lo, exec_lo, s0
	v_cvt_f32_f64_e32 v37, v[5:6]
	s_mov_b32 s0, exec_lo
	v_and_b32_e32 v38, 0x7fffffff, v37
	s_delay_alu instid0(VALU_DEP_1)
	v_cmpx_gt_u32_e32 0x43800000, v38
	s_cbranch_execz .LBB369_61
; %bb.56:                               ;   in Loop: Header=BB369_41 Depth=1
	v_cmp_lt_u32_e32 vcc_lo, 0x3bffffff, v38
	s_mov_b32 s9, 0
                                        ; implicit-def: $vgpr38
	s_and_saveexec_b32 s12, vcc_lo
	s_delay_alu instid0(SALU_CYCLE_1)
	s_xor_b32 s12, exec_lo, s12
	s_cbranch_execnz .LBB369_83
; %bb.57:                               ;   in Loop: Header=BB369_41 Depth=1
	s_or_saveexec_b32 s12, s12
                                        ; implicit-def: $sgpr13
	s_delay_alu instid0(SALU_CYCLE_1)
	s_xor_b32 exec_lo, exec_lo, s12
	s_cbranch_execnz .LBB369_84
.LBB369_58:                             ;   in Loop: Header=BB369_41 Depth=1
	s_or_b32 exec_lo, exec_lo, s12
	v_mov_b32_e32 v35, s13
	s_and_saveexec_b32 s12, s9
.LBB369_59:                             ;   in Loop: Header=BB369_41 Depth=1
	v_lshrrev_b32_e32 v35, 24, v37
	s_delay_alu instid0(VALU_DEP_1)
	v_and_or_b32 v35, 0x80, v35, v38
.LBB369_60:                             ;   in Loop: Header=BB369_41 Depth=1
	s_or_b32 exec_lo, exec_lo, s12
.LBB369_61:                             ;   in Loop: Header=BB369_41 Depth=1
	s_delay_alu instid0(SALU_CYCLE_1) | instskip(SKIP_3) | instid1(VALU_DEP_2)
	s_or_b32 exec_lo, exec_lo, s0
	v_cvt_f32_f64_e32 v39, v[11:12]
	v_dual_mov_b32 v37, 0x80 :: v_dual_mov_b32 v38, 0x80
	s_mov_b32 s0, exec_lo
	v_and_b32_e32 v40, 0x7fffffff, v39
	s_delay_alu instid0(VALU_DEP_1)
	v_cmpx_gt_u32_e32 0x43800000, v40
	s_cbranch_execz .LBB369_67
; %bb.62:                               ;   in Loop: Header=BB369_41 Depth=1
	v_cmp_lt_u32_e32 vcc_lo, 0x3bffffff, v40
	s_mov_b32 s9, 0
                                        ; implicit-def: $vgpr40
	s_and_saveexec_b32 s12, vcc_lo
	s_delay_alu instid0(SALU_CYCLE_1)
	s_xor_b32 s12, exec_lo, s12
	s_cbranch_execnz .LBB369_85
; %bb.63:                               ;   in Loop: Header=BB369_41 Depth=1
	s_or_saveexec_b32 s12, s12
                                        ; implicit-def: $sgpr13
	s_delay_alu instid0(SALU_CYCLE_1)
	s_xor_b32 exec_lo, exec_lo, s12
	s_cbranch_execnz .LBB369_86
.LBB369_64:                             ;   in Loop: Header=BB369_41 Depth=1
	s_or_b32 exec_lo, exec_lo, s12
	v_mov_b32_e32 v38, s13
	s_and_saveexec_b32 s12, s9
.LBB369_65:                             ;   in Loop: Header=BB369_41 Depth=1
	v_lshrrev_b32_e32 v38, 24, v39
	s_delay_alu instid0(VALU_DEP_1)
	v_and_or_b32 v38, 0x80, v38, v40
.LBB369_66:                             ;   in Loop: Header=BB369_41 Depth=1
	s_or_b32 exec_lo, exec_lo, s12
.LBB369_67:                             ;   in Loop: Header=BB369_41 Depth=1
	s_delay_alu instid0(SALU_CYCLE_1) | instskip(SKIP_2) | instid1(VALU_DEP_1)
	s_or_b32 exec_lo, exec_lo, s0
	v_cvt_f32_f64_e32 v39, v[9:10]
	s_mov_b32 s0, exec_lo
	v_and_b32_e32 v40, 0x7fffffff, v39
	s_delay_alu instid0(VALU_DEP_1)
	v_cmpx_gt_u32_e32 0x43800000, v40
	s_cbranch_execz .LBB369_73
; %bb.68:                               ;   in Loop: Header=BB369_41 Depth=1
	v_cmp_lt_u32_e32 vcc_lo, 0x3bffffff, v40
	s_mov_b32 s9, 0
                                        ; implicit-def: $vgpr40
	s_and_saveexec_b32 s12, vcc_lo
	s_delay_alu instid0(SALU_CYCLE_1)
	s_xor_b32 s12, exec_lo, s12
	s_cbranch_execnz .LBB369_87
; %bb.69:                               ;   in Loop: Header=BB369_41 Depth=1
	s_or_saveexec_b32 s12, s12
                                        ; implicit-def: $sgpr13
	s_delay_alu instid0(SALU_CYCLE_1)
	s_xor_b32 exec_lo, exec_lo, s12
	s_cbranch_execnz .LBB369_88
.LBB369_70:                             ;   in Loop: Header=BB369_41 Depth=1
	s_or_b32 exec_lo, exec_lo, s12
	v_mov_b32_e32 v37, s13
	s_and_saveexec_b32 s12, s9
.LBB369_71:                             ;   in Loop: Header=BB369_41 Depth=1
	v_lshrrev_b32_e32 v37, 24, v39
	s_delay_alu instid0(VALU_DEP_1)
	v_and_or_b32 v37, 0x80, v37, v40
.LBB369_72:                             ;   in Loop: Header=BB369_41 Depth=1
	s_or_b32 exec_lo, exec_lo, s12
.LBB369_73:                             ;   in Loop: Header=BB369_41 Depth=1
	s_delay_alu instid0(SALU_CYCLE_1) | instskip(NEXT) | instid1(SALU_CYCLE_1)
	s_or_b32 exec_lo, exec_lo, s0
	s_mov_b32 s0, exec_lo
	v_cmpx_gt_u64_e64 s[2:3], v[13:14]
	s_xor_b32 s0, exec_lo, s0
	s_cbranch_execnz .LBB369_77
; %bb.74:                               ;   in Loop: Header=BB369_41 Depth=1
	s_or_b32 exec_lo, exec_lo, s0
	s_delay_alu instid0(SALU_CYCLE_1)
	s_mov_b32 s0, exec_lo
	v_cmpx_gt_u64_e64 s[2:3], v[15:16]
	s_cbranch_execnz .LBB369_78
.LBB369_75:                             ;   in Loop: Header=BB369_41 Depth=1
	s_or_b32 exec_lo, exec_lo, s0
	s_delay_alu instid0(SALU_CYCLE_1)
	s_mov_b32 s0, exec_lo
	v_cmpx_gt_u64_e64 s[2:3], v[17:18]
	s_cbranch_execnz .LBB369_79
.LBB369_76:                             ;   in Loop: Header=BB369_41 Depth=1
	s_or_b32 exec_lo, exec_lo, s0
	s_delay_alu instid0(SALU_CYCLE_1)
	s_mov_b32 s0, exec_lo
	v_cmpx_gt_u64_e64 s[2:3], v[19:20]
	s_cbranch_execz .LBB369_40
	s_branch .LBB369_80
.LBB369_77:                             ;   in Loop: Header=BB369_41 Depth=1
	v_add_co_u32 v13, vcc_lo, v21, s6
	v_add_co_ci_u32_e32 v14, vcc_lo, s7, v22, vcc_lo
	global_store_b8 v[13:14], v36, off
	s_or_b32 exec_lo, exec_lo, s0
	s_delay_alu instid0(SALU_CYCLE_1)
	s_mov_b32 s0, exec_lo
	v_cmpx_gt_u64_e64 s[2:3], v[15:16]
	s_cbranch_execz .LBB369_75
.LBB369_78:                             ;   in Loop: Header=BB369_41 Depth=1
	v_add_co_u32 v13, vcc_lo, v33, s6
	v_add_co_ci_u32_e32 v14, vcc_lo, s7, v34, vcc_lo
	global_store_b8 v[13:14], v35, off
	s_or_b32 exec_lo, exec_lo, s0
	s_delay_alu instid0(SALU_CYCLE_1)
	s_mov_b32 s0, exec_lo
	v_cmpx_gt_u64_e64 s[2:3], v[17:18]
	s_cbranch_execz .LBB369_76
.LBB369_79:                             ;   in Loop: Header=BB369_41 Depth=1
	v_add_co_u32 v13, vcc_lo, v28, s6
	v_add_co_ci_u32_e32 v14, vcc_lo, s7, v29, vcc_lo
	global_store_b8 v[13:14], v38, off
	s_or_b32 exec_lo, exec_lo, s0
	s_delay_alu instid0(SALU_CYCLE_1)
	s_mov_b32 s0, exec_lo
	v_cmpx_gt_u64_e64 s[2:3], v[19:20]
	s_cbranch_execz .LBB369_40
.LBB369_80:                             ;   in Loop: Header=BB369_41 Depth=1
	v_add_co_u32 v13, vcc_lo, v23, s6
	v_add_co_ci_u32_e32 v14, vcc_lo, s7, v24, vcc_lo
	global_store_b8 v[13:14], v37, off
	s_branch .LBB369_40
.LBB369_81:                             ;   in Loop: Header=BB369_41 Depth=1
	v_bfe_u32 v36, v37, 20, 1
	s_mov_b32 s9, exec_lo
	s_delay_alu instid0(VALU_DEP_1) | instskip(NEXT) | instid1(VALU_DEP_1)
	v_add3_u32 v36, v37, v36, 0x487ffff
	v_lshrrev_b32_e32 v38, 20, v36
	s_or_saveexec_b32 s12, s12
                                        ; implicit-def: $sgpr13
	s_delay_alu instid0(SALU_CYCLE_1)
	s_xor_b32 exec_lo, exec_lo, s12
	s_cbranch_execz .LBB369_52
.LBB369_82:                             ;   in Loop: Header=BB369_41 Depth=1
	v_add_f32_e64 v36, 0x46000000, |v37|
	s_and_not1_b32 s9, s9, exec_lo
	s_mov_b32 s13, 0
	s_delay_alu instid0(VALU_DEP_1) | instskip(NEXT) | instid1(VALU_DEP_1)
	v_and_b32_e32 v38, 0xff, v36
	v_cmp_ne_u32_e32 vcc_lo, 0, v38
	s_and_b32 s14, vcc_lo, exec_lo
	s_delay_alu instid0(SALU_CYCLE_1)
	s_or_b32 s9, s9, s14
	s_or_b32 exec_lo, exec_lo, s12
	v_mov_b32_e32 v36, s13
	s_and_saveexec_b32 s12, s9
	s_cbranch_execnz .LBB369_53
	s_branch .LBB369_54
.LBB369_83:                             ;   in Loop: Header=BB369_41 Depth=1
	v_bfe_u32 v35, v37, 20, 1
	s_mov_b32 s9, exec_lo
	s_delay_alu instid0(VALU_DEP_1) | instskip(NEXT) | instid1(VALU_DEP_1)
	v_add3_u32 v35, v37, v35, 0x487ffff
	v_lshrrev_b32_e32 v38, 20, v35
	s_or_saveexec_b32 s12, s12
                                        ; implicit-def: $sgpr13
	s_delay_alu instid0(SALU_CYCLE_1)
	s_xor_b32 exec_lo, exec_lo, s12
	s_cbranch_execz .LBB369_58
.LBB369_84:                             ;   in Loop: Header=BB369_41 Depth=1
	v_add_f32_e64 v35, 0x46000000, |v37|
	s_and_not1_b32 s9, s9, exec_lo
	s_mov_b32 s13, 0
	s_delay_alu instid0(VALU_DEP_1) | instskip(NEXT) | instid1(VALU_DEP_1)
	v_and_b32_e32 v38, 0xff, v35
	v_cmp_ne_u32_e32 vcc_lo, 0, v38
	s_and_b32 s14, vcc_lo, exec_lo
	s_delay_alu instid0(SALU_CYCLE_1)
	s_or_b32 s9, s9, s14
	s_or_b32 exec_lo, exec_lo, s12
	v_mov_b32_e32 v35, s13
	s_and_saveexec_b32 s12, s9
	s_cbranch_execnz .LBB369_59
	s_branch .LBB369_60
.LBB369_85:                             ;   in Loop: Header=BB369_41 Depth=1
	v_bfe_u32 v38, v39, 20, 1
	s_mov_b32 s9, exec_lo
	s_delay_alu instid0(VALU_DEP_1) | instskip(NEXT) | instid1(VALU_DEP_1)
	v_add3_u32 v38, v39, v38, 0x487ffff
	v_lshrrev_b32_e32 v40, 20, v38
	s_or_saveexec_b32 s12, s12
                                        ; implicit-def: $sgpr13
	s_delay_alu instid0(SALU_CYCLE_1)
	s_xor_b32 exec_lo, exec_lo, s12
	s_cbranch_execz .LBB369_64
.LBB369_86:                             ;   in Loop: Header=BB369_41 Depth=1
	v_add_f32_e64 v38, 0x46000000, |v39|
	s_and_not1_b32 s9, s9, exec_lo
	s_mov_b32 s13, 0
	s_delay_alu instid0(VALU_DEP_1) | instskip(NEXT) | instid1(VALU_DEP_1)
	v_and_b32_e32 v40, 0xff, v38
	v_cmp_ne_u32_e32 vcc_lo, 0, v40
	s_and_b32 s14, vcc_lo, exec_lo
	s_delay_alu instid0(SALU_CYCLE_1)
	s_or_b32 s9, s9, s14
	s_or_b32 exec_lo, exec_lo, s12
	v_mov_b32_e32 v38, s13
	s_and_saveexec_b32 s12, s9
	s_cbranch_execnz .LBB369_65
	s_branch .LBB369_66
.LBB369_87:                             ;   in Loop: Header=BB369_41 Depth=1
	v_bfe_u32 v37, v39, 20, 1
	s_mov_b32 s9, exec_lo
	s_delay_alu instid0(VALU_DEP_1) | instskip(NEXT) | instid1(VALU_DEP_1)
	v_add3_u32 v37, v39, v37, 0x487ffff
	v_lshrrev_b32_e32 v40, 20, v37
	s_or_saveexec_b32 s12, s12
                                        ; implicit-def: $sgpr13
	s_delay_alu instid0(SALU_CYCLE_1)
	s_xor_b32 exec_lo, exec_lo, s12
	s_cbranch_execz .LBB369_70
.LBB369_88:                             ;   in Loop: Header=BB369_41 Depth=1
	v_add_f32_e64 v37, 0x46000000, |v39|
	s_and_not1_b32 s9, s9, exec_lo
	s_mov_b32 s13, 0
	s_delay_alu instid0(VALU_DEP_1) | instskip(NEXT) | instid1(VALU_DEP_1)
	v_and_b32_e32 v40, 0xff, v37
	v_cmp_ne_u32_e32 vcc_lo, 0, v40
	s_and_b32 s14, vcc_lo, exec_lo
	s_delay_alu instid0(SALU_CYCLE_1)
	s_or_b32 s9, s9, s14
	s_or_b32 exec_lo, exec_lo, s12
	v_mov_b32_e32 v37, s13
	s_and_saveexec_b32 s12, s9
	s_cbranch_execnz .LBB369_71
	s_branch .LBB369_72
.LBB369_89:
	s_nop 0
	s_sendmsg sendmsg(MSG_DEALLOC_VGPRS)
	s_endpgm
	.section	.rodata,"a",@progbits
	.p2align	6, 0x0
	.amdhsa_kernel _ZN2at6native12_GLOBAL__N_125multi_tensor_apply_kernelINS1_18TensorListMetadataILi2EEENS1_11CopyFunctorIN3c1015Float8_e4m3fnuzEdLi2ELi1ELi1EEEJNS0_4CopyIS7_dEEEEEvT_T0_DpT1_
		.amdhsa_group_segment_fixed_size 0
		.amdhsa_private_segment_fixed_size 0
		.amdhsa_kernarg_size 3408
		.amdhsa_user_sgpr_count 15
		.amdhsa_user_sgpr_dispatch_ptr 0
		.amdhsa_user_sgpr_queue_ptr 0
		.amdhsa_user_sgpr_kernarg_segment_ptr 1
		.amdhsa_user_sgpr_dispatch_id 0
		.amdhsa_user_sgpr_private_segment_size 0
		.amdhsa_wavefront_size32 1
		.amdhsa_uses_dynamic_stack 0
		.amdhsa_enable_private_segment 0
		.amdhsa_system_sgpr_workgroup_id_x 1
		.amdhsa_system_sgpr_workgroup_id_y 0
		.amdhsa_system_sgpr_workgroup_id_z 0
		.amdhsa_system_sgpr_workgroup_info 0
		.amdhsa_system_vgpr_workitem_id 0
		.amdhsa_next_free_vgpr 41
		.amdhsa_next_free_sgpr 23
		.amdhsa_reserve_vcc 1
		.amdhsa_float_round_mode_32 0
		.amdhsa_float_round_mode_16_64 0
		.amdhsa_float_denorm_mode_32 3
		.amdhsa_float_denorm_mode_16_64 3
		.amdhsa_dx10_clamp 1
		.amdhsa_ieee_mode 1
		.amdhsa_fp16_overflow 0
		.amdhsa_workgroup_processor_mode 1
		.amdhsa_memory_ordered 1
		.amdhsa_forward_progress 0
		.amdhsa_shared_vgpr_count 0
		.amdhsa_exception_fp_ieee_invalid_op 0
		.amdhsa_exception_fp_denorm_src 0
		.amdhsa_exception_fp_ieee_div_zero 0
		.amdhsa_exception_fp_ieee_overflow 0
		.amdhsa_exception_fp_ieee_underflow 0
		.amdhsa_exception_fp_ieee_inexact 0
		.amdhsa_exception_int_div_zero 0
	.end_amdhsa_kernel
	.section	.text._ZN2at6native12_GLOBAL__N_125multi_tensor_apply_kernelINS1_18TensorListMetadataILi2EEENS1_11CopyFunctorIN3c1015Float8_e4m3fnuzEdLi2ELi1ELi1EEEJNS0_4CopyIS7_dEEEEEvT_T0_DpT1_,"axG",@progbits,_ZN2at6native12_GLOBAL__N_125multi_tensor_apply_kernelINS1_18TensorListMetadataILi2EEENS1_11CopyFunctorIN3c1015Float8_e4m3fnuzEdLi2ELi1ELi1EEEJNS0_4CopyIS7_dEEEEEvT_T0_DpT1_,comdat
.Lfunc_end369:
	.size	_ZN2at6native12_GLOBAL__N_125multi_tensor_apply_kernelINS1_18TensorListMetadataILi2EEENS1_11CopyFunctorIN3c1015Float8_e4m3fnuzEdLi2ELi1ELi1EEEJNS0_4CopyIS7_dEEEEEvT_T0_DpT1_, .Lfunc_end369-_ZN2at6native12_GLOBAL__N_125multi_tensor_apply_kernelINS1_18TensorListMetadataILi2EEENS1_11CopyFunctorIN3c1015Float8_e4m3fnuzEdLi2ELi1ELi1EEEJNS0_4CopyIS7_dEEEEEvT_T0_DpT1_
                                        ; -- End function
	.section	.AMDGPU.csdata,"",@progbits
; Kernel info:
; codeLenInByte = 3312
; NumSgprs: 25
; NumVgprs: 41
; ScratchSize: 0
; MemoryBound: 1
; FloatMode: 240
; IeeeMode: 1
; LDSByteSize: 0 bytes/workgroup (compile time only)
; SGPRBlocks: 3
; VGPRBlocks: 5
; NumSGPRsForWavesPerEU: 25
; NumVGPRsForWavesPerEU: 41
; Occupancy: 16
; WaveLimiterHint : 0
; COMPUTE_PGM_RSRC2:SCRATCH_EN: 0
; COMPUTE_PGM_RSRC2:USER_SGPR: 15
; COMPUTE_PGM_RSRC2:TRAP_HANDLER: 0
; COMPUTE_PGM_RSRC2:TGID_X_EN: 1
; COMPUTE_PGM_RSRC2:TGID_Y_EN: 0
; COMPUTE_PGM_RSRC2:TGID_Z_EN: 0
; COMPUTE_PGM_RSRC2:TIDIG_COMP_CNT: 0
	.section	.text._ZN2at6native12_GLOBAL__N_125multi_tensor_apply_kernelINS1_18TensorListMetadataILi2EEENS1_11CopyFunctorIN3c1015Float8_e4m3fnuzEfLi2ELi1ELi1EEEJNS0_4CopyIS7_fEEEEEvT_T0_DpT1_,"axG",@progbits,_ZN2at6native12_GLOBAL__N_125multi_tensor_apply_kernelINS1_18TensorListMetadataILi2EEENS1_11CopyFunctorIN3c1015Float8_e4m3fnuzEfLi2ELi1ELi1EEEJNS0_4CopyIS7_fEEEEEvT_T0_DpT1_,comdat
	.globl	_ZN2at6native12_GLOBAL__N_125multi_tensor_apply_kernelINS1_18TensorListMetadataILi2EEENS1_11CopyFunctorIN3c1015Float8_e4m3fnuzEfLi2ELi1ELi1EEEJNS0_4CopyIS7_fEEEEEvT_T0_DpT1_ ; -- Begin function _ZN2at6native12_GLOBAL__N_125multi_tensor_apply_kernelINS1_18TensorListMetadataILi2EEENS1_11CopyFunctorIN3c1015Float8_e4m3fnuzEfLi2ELi1ELi1EEEJNS0_4CopyIS7_fEEEEEvT_T0_DpT1_
	.p2align	8
	.type	_ZN2at6native12_GLOBAL__N_125multi_tensor_apply_kernelINS1_18TensorListMetadataILi2EEENS1_11CopyFunctorIN3c1015Float8_e4m3fnuzEfLi2ELi1ELi1EEEJNS0_4CopyIS7_fEEEEEvT_T0_DpT1_,@function
_ZN2at6native12_GLOBAL__N_125multi_tensor_apply_kernelINS1_18TensorListMetadataILi2EEENS1_11CopyFunctorIN3c1015Float8_e4m3fnuzEfLi2ELi1ELi1EEEJNS0_4CopyIS7_fEEEEEvT_T0_DpT1_: ; @_ZN2at6native12_GLOBAL__N_125multi_tensor_apply_kernelINS1_18TensorListMetadataILi2EEENS1_11CopyFunctorIN3c1015Float8_e4m3fnuzEfLi2ELi1ELi1EEEJNS0_4CopyIS7_fEEEEEvT_T0_DpT1_
; %bb.0:
	v_mov_b32_e32 v1, s15
	s_add_u32 s2, s0, s15
	s_mul_i32 s4, s15, 3
	s_addc_u32 s3, s1, 0
	s_mul_hi_u32 s5, s15, 3
	global_load_u8 v1, v1, s[0:1] offset:1536
	s_add_u32 s2, s2, s4
	s_addc_u32 s3, s3, s5
	s_mov_b32 s17, 0
	s_load_b32 s10, s[2:3], 0x740
	s_waitcnt lgkmcnt(0)
	s_ashr_i32 s11, s10, 31
	s_delay_alu instid0(SALU_CYCLE_1) | instskip(SKIP_2) | instid1(VALU_DEP_1)
	s_lshl_b64 s[8:9], s[10:11], 16
	s_waitcnt vmcnt(0)
	v_readfirstlane_b32 s4, v1
	s_lshl_b32 s4, s4, 3
	s_clause 0x2
	s_load_b64 s[6:7], s[0:1], s4 offset:0x200
	s_load_b64 s[2:3], s[0:1], s4 offset:0x400
	;; [unrolled: 1-line block ×3, first 2 shown]
	s_waitcnt lgkmcnt(0)
	s_add_u32 s14, s6, s8
	s_addc_u32 s15, s7, s9
	s_delay_alu instid0(SALU_CYCLE_1) | instskip(SKIP_2) | instid1(SALU_CYCLE_1)
	s_or_b64 s[4:5], s[2:3], s[14:15]
	s_and_b32 s5, s12, 15
	s_and_b32 s4, s4, 3
	s_or_b32 s16, s4, s5
	s_sub_u32 s4, s2, s8
	s_subb_u32 s5, s3, s9
	s_cmp_eq_u64 s[16:17], 0
	s_mov_b32 s2, -1
	s_cbranch_scc0 .LBB370_37
; %bb.1:
	v_dual_mov_b32 v6, 0 :: v_dual_lshlrev_b32 v5, 2, v0
	s_mov_b32 s3, exec_lo
	s_delay_alu instid0(VALU_DEP_1)
	v_cmpx_gt_i64_e64 s[4:5], v[5:6]
	s_cbranch_execz .LBB370_36
; %bb.2:
	s_load_b32 s2, s[0:1], 0xc5c
	v_lshlrev_b32_e32 v1, 4, v0
	s_lshl_b64 s[18:19], s[10:11], 18
	s_waitcnt lgkmcnt(0)
	s_and_b32 s2, s2, 0xffff
	s_delay_alu instid0(SALU_CYCLE_1) | instskip(SKIP_3) | instid1(VALU_DEP_1)
	s_lshl_b32 s16, s2, 2
	s_add_u32 s17, s12, s18
	s_addc_u32 s18, s13, s19
	v_add_co_u32 v7, s17, s17, v1
	v_add_co_ci_u32_e64 v8, null, s18, 0, s17
	s_mov_b32 s17, 0
	s_lshl_b32 s18, s2, 4
	s_branch .LBB370_5
.LBB370_3:                              ;   in Loop: Header=BB370_5 Depth=1
	s_or_b32 exec_lo, exec_lo, s20
.LBB370_4:                              ;   in Loop: Header=BB370_5 Depth=1
	s_delay_alu instid0(SALU_CYCLE_1)
	s_or_b32 exec_lo, exec_lo, s2
	v_add_co_u32 v3, vcc_lo, s14, v5
	v_add_co_ci_u32_e32 v4, vcc_lo, s15, v6, vcc_lo
	v_add_co_u32 v5, vcc_lo, s16, v5
	v_add_co_ci_u32_e32 v6, vcc_lo, 0, v6, vcc_lo
	v_lshlrev_b32_e32 v2, 16, v2
	v_lshlrev_b32_e32 v10, 8, v10
	v_and_b32_e32 v9, 0xff, v9
	s_delay_alu instid0(VALU_DEP_4) | instskip(SKIP_3) | instid1(VALU_DEP_3)
	v_cmp_le_i64_e32 vcc_lo, s[4:5], v[5:6]
	v_cmp_lt_u64_e64 s2, 0xffff, v[5:6]
	v_perm_b32 v1, v1, v2, 0x4020c0c
	v_and_b32_e32 v2, 0xff00, v10
	s_or_b32 s2, vcc_lo, s2
	v_add_co_u32 v7, vcc_lo, v7, s18
	s_delay_alu instid0(VALU_DEP_2) | instskip(SKIP_2) | instid1(SALU_CYCLE_1)
	v_or3_b32 v1, v1, v2, v9
	v_add_co_ci_u32_e32 v8, vcc_lo, 0, v8, vcc_lo
	s_and_b32 s2, exec_lo, s2
	s_or_b32 s17, s2, s17
	global_store_b32 v[3:4], v1, off
	s_and_not1_b32 exec_lo, exec_lo, s17
	s_cbranch_execz .LBB370_36
.LBB370_5:                              ; =>This Inner Loop Header: Depth=1
	global_load_b128 v[1:4], v[7:8], off
	v_dual_mov_b32 v10, 0x80 :: v_dual_mov_b32 v9, 0x80
	s_mov_b32 s2, exec_lo
	s_waitcnt vmcnt(0)
	v_and_b32_e32 v11, 0x7fffffff, v1
	s_delay_alu instid0(VALU_DEP_1)
	v_cmpx_gt_u32_e32 0x43800000, v11
	s_cbranch_execz .LBB370_11
; %bb.6:                                ;   in Loop: Header=BB370_5 Depth=1
	v_cmp_lt_u32_e32 vcc_lo, 0x3bffffff, v11
	s_mov_b32 s19, 0
                                        ; implicit-def: $vgpr11
	s_and_saveexec_b32 s20, vcc_lo
	s_delay_alu instid0(SALU_CYCLE_1)
	s_xor_b32 s20, exec_lo, s20
	s_cbranch_execnz .LBB370_27
; %bb.7:                                ;   in Loop: Header=BB370_5 Depth=1
	s_or_saveexec_b32 s20, s20
                                        ; implicit-def: $sgpr21
	s_delay_alu instid0(SALU_CYCLE_1)
	s_xor_b32 exec_lo, exec_lo, s20
	s_cbranch_execnz .LBB370_28
.LBB370_8:                              ;   in Loop: Header=BB370_5 Depth=1
	s_or_b32 exec_lo, exec_lo, s20
	v_mov_b32_e32 v9, s21
	s_and_saveexec_b32 s20, s19
.LBB370_9:                              ;   in Loop: Header=BB370_5 Depth=1
	v_lshrrev_b32_e32 v1, 24, v1
	s_delay_alu instid0(VALU_DEP_1)
	v_and_or_b32 v9, 0x80, v1, v11
.LBB370_10:                             ;   in Loop: Header=BB370_5 Depth=1
	s_or_b32 exec_lo, exec_lo, s20
.LBB370_11:                             ;   in Loop: Header=BB370_5 Depth=1
	s_delay_alu instid0(SALU_CYCLE_1) | instskip(SKIP_2) | instid1(VALU_DEP_1)
	s_or_b32 exec_lo, exec_lo, s2
	v_and_b32_e32 v1, 0x7fffffff, v2
	s_mov_b32 s2, exec_lo
	v_cmpx_gt_u32_e32 0x43800000, v1
	s_cbranch_execz .LBB370_17
; %bb.12:                               ;   in Loop: Header=BB370_5 Depth=1
	v_cmp_lt_u32_e32 vcc_lo, 0x3bffffff, v1
	s_mov_b32 s19, 0
                                        ; implicit-def: $vgpr1
	s_and_saveexec_b32 s20, vcc_lo
	s_delay_alu instid0(SALU_CYCLE_1)
	s_xor_b32 s20, exec_lo, s20
	s_cbranch_execnz .LBB370_29
; %bb.13:                               ;   in Loop: Header=BB370_5 Depth=1
	s_or_saveexec_b32 s20, s20
                                        ; implicit-def: $sgpr21
	s_delay_alu instid0(SALU_CYCLE_1)
	s_xor_b32 exec_lo, exec_lo, s20
	s_cbranch_execnz .LBB370_30
.LBB370_14:                             ;   in Loop: Header=BB370_5 Depth=1
	s_or_b32 exec_lo, exec_lo, s20
	v_mov_b32_e32 v10, s21
	s_and_saveexec_b32 s20, s19
.LBB370_15:                             ;   in Loop: Header=BB370_5 Depth=1
	v_lshrrev_b32_e32 v2, 24, v2
	s_delay_alu instid0(VALU_DEP_1)
	v_and_or_b32 v10, 0x80, v2, v1
.LBB370_16:                             ;   in Loop: Header=BB370_5 Depth=1
	s_or_b32 exec_lo, exec_lo, s20
.LBB370_17:                             ;   in Loop: Header=BB370_5 Depth=1
	s_delay_alu instid0(SALU_CYCLE_1) | instskip(SKIP_3) | instid1(VALU_DEP_2)
	s_or_b32 exec_lo, exec_lo, s2
	v_and_b32_e32 v11, 0x7fffffff, v3
	v_dual_mov_b32 v1, 0x80 :: v_dual_mov_b32 v2, 0x80
	s_mov_b32 s2, exec_lo
	v_cmpx_gt_u32_e32 0x43800000, v11
	s_cbranch_execz .LBB370_23
; %bb.18:                               ;   in Loop: Header=BB370_5 Depth=1
	v_cmp_lt_u32_e32 vcc_lo, 0x3bffffff, v11
	s_mov_b32 s19, 0
                                        ; implicit-def: $vgpr11
	s_and_saveexec_b32 s20, vcc_lo
	s_delay_alu instid0(SALU_CYCLE_1)
	s_xor_b32 s20, exec_lo, s20
	s_cbranch_execnz .LBB370_31
; %bb.19:                               ;   in Loop: Header=BB370_5 Depth=1
	s_or_saveexec_b32 s20, s20
                                        ; implicit-def: $sgpr21
	s_delay_alu instid0(SALU_CYCLE_1)
	s_xor_b32 exec_lo, exec_lo, s20
	s_cbranch_execnz .LBB370_32
.LBB370_20:                             ;   in Loop: Header=BB370_5 Depth=1
	s_or_b32 exec_lo, exec_lo, s20
	v_mov_b32_e32 v2, s21
	s_and_saveexec_b32 s20, s19
.LBB370_21:                             ;   in Loop: Header=BB370_5 Depth=1
	v_lshrrev_b32_e32 v2, 24, v3
	s_delay_alu instid0(VALU_DEP_1)
	v_and_or_b32 v2, 0x80, v2, v11
.LBB370_22:                             ;   in Loop: Header=BB370_5 Depth=1
	s_or_b32 exec_lo, exec_lo, s20
.LBB370_23:                             ;   in Loop: Header=BB370_5 Depth=1
	s_delay_alu instid0(SALU_CYCLE_1) | instskip(SKIP_2) | instid1(VALU_DEP_1)
	s_or_b32 exec_lo, exec_lo, s2
	v_and_b32_e32 v3, 0x7fffffff, v4
	s_mov_b32 s2, exec_lo
	v_cmpx_gt_u32_e32 0x43800000, v3
	s_cbranch_execz .LBB370_4
; %bb.24:                               ;   in Loop: Header=BB370_5 Depth=1
	v_cmp_lt_u32_e32 vcc_lo, 0x3bffffff, v3
	s_mov_b32 s19, 0
                                        ; implicit-def: $vgpr3
	s_and_saveexec_b32 s20, vcc_lo
	s_delay_alu instid0(SALU_CYCLE_1)
	s_xor_b32 s20, exec_lo, s20
	s_cbranch_execnz .LBB370_33
; %bb.25:                               ;   in Loop: Header=BB370_5 Depth=1
	s_or_saveexec_b32 s20, s20
                                        ; implicit-def: $sgpr21
	s_delay_alu instid0(SALU_CYCLE_1)
	s_xor_b32 exec_lo, exec_lo, s20
	s_cbranch_execnz .LBB370_34
.LBB370_26:                             ;   in Loop: Header=BB370_5 Depth=1
	s_or_b32 exec_lo, exec_lo, s20
	v_mov_b32_e32 v1, s21
	s_and_saveexec_b32 s20, s19
	s_cbranch_execz .LBB370_3
	s_branch .LBB370_35
.LBB370_27:                             ;   in Loop: Header=BB370_5 Depth=1
	v_bfe_u32 v9, v1, 20, 1
	s_mov_b32 s19, exec_lo
	s_delay_alu instid0(VALU_DEP_1) | instskip(NEXT) | instid1(VALU_DEP_1)
	v_add3_u32 v9, v1, v9, 0x487ffff
	v_lshrrev_b32_e32 v11, 20, v9
	s_or_saveexec_b32 s20, s20
                                        ; implicit-def: $sgpr21
	s_delay_alu instid0(SALU_CYCLE_1)
	s_xor_b32 exec_lo, exec_lo, s20
	s_cbranch_execz .LBB370_8
.LBB370_28:                             ;   in Loop: Header=BB370_5 Depth=1
	v_add_f32_e64 v9, 0x46000000, |v1|
	s_and_not1_b32 s19, s19, exec_lo
	s_mov_b32 s21, 0
	s_delay_alu instid0(VALU_DEP_1) | instskip(NEXT) | instid1(VALU_DEP_1)
	v_and_b32_e32 v11, 0xff, v9
	v_cmp_ne_u32_e32 vcc_lo, 0, v11
	s_and_b32 s22, vcc_lo, exec_lo
	s_delay_alu instid0(SALU_CYCLE_1)
	s_or_b32 s19, s19, s22
	s_or_b32 exec_lo, exec_lo, s20
	v_mov_b32_e32 v9, s21
	s_and_saveexec_b32 s20, s19
	s_cbranch_execnz .LBB370_9
	s_branch .LBB370_10
.LBB370_29:                             ;   in Loop: Header=BB370_5 Depth=1
	v_bfe_u32 v1, v2, 20, 1
	s_mov_b32 s19, exec_lo
	s_delay_alu instid0(VALU_DEP_1) | instskip(NEXT) | instid1(VALU_DEP_1)
	v_add3_u32 v1, v2, v1, 0x487ffff
	v_lshrrev_b32_e32 v1, 20, v1
	s_or_saveexec_b32 s20, s20
                                        ; implicit-def: $sgpr21
	s_delay_alu instid0(SALU_CYCLE_1)
	s_xor_b32 exec_lo, exec_lo, s20
	s_cbranch_execz .LBB370_14
.LBB370_30:                             ;   in Loop: Header=BB370_5 Depth=1
	v_add_f32_e64 v1, 0x46000000, |v2|
	s_and_not1_b32 s19, s19, exec_lo
	s_mov_b32 s21, 0
	s_delay_alu instid0(VALU_DEP_1) | instskip(NEXT) | instid1(VALU_DEP_1)
	v_and_b32_e32 v1, 0xff, v1
	v_cmp_ne_u32_e32 vcc_lo, 0, v1
	s_and_b32 s22, vcc_lo, exec_lo
	s_delay_alu instid0(SALU_CYCLE_1)
	s_or_b32 s19, s19, s22
	s_or_b32 exec_lo, exec_lo, s20
	v_mov_b32_e32 v10, s21
	s_and_saveexec_b32 s20, s19
	s_cbranch_execnz .LBB370_15
	s_branch .LBB370_16
.LBB370_31:                             ;   in Loop: Header=BB370_5 Depth=1
	v_bfe_u32 v2, v3, 20, 1
	s_mov_b32 s19, exec_lo
	s_delay_alu instid0(VALU_DEP_1) | instskip(NEXT) | instid1(VALU_DEP_1)
	v_add3_u32 v2, v3, v2, 0x487ffff
	v_lshrrev_b32_e32 v11, 20, v2
	s_or_saveexec_b32 s20, s20
                                        ; implicit-def: $sgpr21
	s_delay_alu instid0(SALU_CYCLE_1)
	s_xor_b32 exec_lo, exec_lo, s20
	s_cbranch_execz .LBB370_20
.LBB370_32:                             ;   in Loop: Header=BB370_5 Depth=1
	v_add_f32_e64 v2, 0x46000000, |v3|
	s_and_not1_b32 s19, s19, exec_lo
	s_mov_b32 s21, 0
	s_delay_alu instid0(VALU_DEP_1) | instskip(NEXT) | instid1(VALU_DEP_1)
	v_and_b32_e32 v11, 0xff, v2
	v_cmp_ne_u32_e32 vcc_lo, 0, v11
	s_and_b32 s22, vcc_lo, exec_lo
	s_delay_alu instid0(SALU_CYCLE_1)
	s_or_b32 s19, s19, s22
	s_or_b32 exec_lo, exec_lo, s20
	v_mov_b32_e32 v2, s21
	s_and_saveexec_b32 s20, s19
	s_cbranch_execnz .LBB370_21
	s_branch .LBB370_22
.LBB370_33:                             ;   in Loop: Header=BB370_5 Depth=1
	v_bfe_u32 v1, v4, 20, 1
	s_mov_b32 s19, exec_lo
	s_delay_alu instid0(VALU_DEP_1) | instskip(NEXT) | instid1(VALU_DEP_1)
	v_add3_u32 v1, v4, v1, 0x487ffff
	v_lshrrev_b32_e32 v3, 20, v1
	s_or_saveexec_b32 s20, s20
                                        ; implicit-def: $sgpr21
	s_delay_alu instid0(SALU_CYCLE_1)
	s_xor_b32 exec_lo, exec_lo, s20
	s_cbranch_execz .LBB370_26
.LBB370_34:                             ;   in Loop: Header=BB370_5 Depth=1
	v_add_f32_e64 v1, 0x46000000, |v4|
	s_and_not1_b32 s19, s19, exec_lo
	s_mov_b32 s21, 0
	s_delay_alu instid0(VALU_DEP_1) | instskip(NEXT) | instid1(VALU_DEP_1)
	v_and_b32_e32 v3, 0xff, v1
	v_cmp_ne_u32_e32 vcc_lo, 0, v3
	s_and_b32 s22, vcc_lo, exec_lo
	s_delay_alu instid0(SALU_CYCLE_1)
	s_or_b32 s19, s19, s22
	s_or_b32 exec_lo, exec_lo, s20
	v_mov_b32_e32 v1, s21
	s_and_saveexec_b32 s20, s19
	s_cbranch_execz .LBB370_3
.LBB370_35:                             ;   in Loop: Header=BB370_5 Depth=1
	v_lshrrev_b32_e32 v1, 24, v4
	s_delay_alu instid0(VALU_DEP_1)
	v_and_or_b32 v1, 0x80, v1, v3
	s_branch .LBB370_3
.LBB370_36:
	s_or_b32 exec_lo, exec_lo, s3
	s_mov_b32 s2, 0
.LBB370_37:
	s_delay_alu instid0(SALU_CYCLE_1)
	s_and_not1_b32 vcc_lo, exec_lo, s2
	s_cbranch_vccnz .LBB370_89
; %bb.38:
	v_cmp_lt_i64_e64 s2, s[4:5], 1
	s_delay_alu instid0(VALU_DEP_1)
	s_and_b32 vcc_lo, exec_lo, s2
	s_cbranch_vccnz .LBB370_89
; %bb.39:
	s_load_b32 s0, s[0:1], 0xc5c
	v_cmp_gt_u64_e64 s1, 0x10000, s[4:5]
	v_add_co_u32 v5, s2, s8, v0
	v_lshlrev_b32_e32 v1, 2, v0
	v_add_co_ci_u32_e64 v6, null, s9, 0, s2
	s_delay_alu instid0(VALU_DEP_3) | instskip(NEXT) | instid1(VALU_DEP_2)
	v_add_co_u32 v13, vcc_lo, s6, v5
                                        ; implicit-def: $vgpr29
                                        ; implicit-def: $vgpr30
                                        ; implicit-def: $vgpr27
                                        ; implicit-def: $vgpr28
	v_add_co_ci_u32_e32 v14, vcc_lo, s7, v6, vcc_lo
	s_waitcnt lgkmcnt(0)
	s_and_b32 s0, s0, 0xffff
	s_and_b32 s1, s1, exec_lo
	s_cselect_b32 s3, s5, 0
	s_cselect_b32 s2, s4, 0x10000
	s_lshl_b64 s[10:11], s[10:11], 18
	s_lshl_b32 s14, s0, 1
	s_lshl_b32 s1, s0, 2
	s_add_u32 s12, s12, s10
	s_mul_i32 s15, s0, 3
	s_addc_u32 s13, s13, s11
	s_lshl_b32 s10, s0, 4
	v_add_co_u32 v1, s16, s12, v1
	s_add_u32 s11, s8, s15
	v_add_co_ci_u32_e64 v2, null, s13, 0, s16
	s_addc_u32 s16, s9, 0
	s_add_u32 s11, s6, s11
	s_addc_u32 s16, s7, s16
	v_add_co_u32 v15, s11, s11, v0
	s_delay_alu instid0(VALU_DEP_1)
	v_add_co_ci_u32_e64 v16, null, s16, 0, s11
	v_add_co_u32 v17, s11, s15, v0
	v_add_co_u32 v19, s15, v0, s0
	v_add_co_ci_u32_e64 v18, null, 0, 0, s11
	s_lshl_b32 s11, s0, 3
	s_add_u32 s8, s8, s14
	s_addc_u32 s9, s9, 0
	s_add_u32 s8, s6, s8
	v_lshlrev_b32_e32 v3, 2, v19
	s_addc_u32 s9, s7, s9
	v_add_co_u32 v20, s8, s8, v0
	s_delay_alu instid0(VALU_DEP_1)
	v_add_co_ci_u32_e64 v21, null, s9, 0, s8
	v_add_co_u32 v23, s8, s14, v0
	s_add_u32 s6, s6, s0
	v_add_co_ci_u32_e64 v24, null, 0, 0, s8
	v_add_co_u32 v3, s8, s12, v3
	s_addc_u32 s7, s7, 0
	v_add_co_u32 v25, vcc_lo, s6, v5
	v_add_co_ci_u32_e64 v22, null, 0, 0, s15
	v_add_co_ci_u32_e64 v4, null, s13, 0, s8
	v_add_co_ci_u32_e32 v26, vcc_lo, s7, v6, vcc_lo
	s_mul_i32 s8, s0, 12
	s_mov_b64 s[6:7], 0
	s_branch .LBB370_41
.LBB370_40:                             ;   in Loop: Header=BB370_41 Depth=1
	s_or_b32 exec_lo, exec_lo, s0
	s_add_u32 s6, s6, s1
	s_addc_u32 s7, s7, 0
	v_add_co_u32 v1, vcc_lo, v1, s10
	v_cmp_ge_i64_e64 s0, s[6:7], s[4:5]
	v_cmp_lt_u64_e64 s9, 0xffff, s[6:7]
	v_add_co_ci_u32_e32 v2, vcc_lo, 0, v2, vcc_lo
	v_add_co_u32 v3, vcc_lo, v3, s10
	v_add_co_ci_u32_e32 v4, vcc_lo, 0, v4, vcc_lo
	s_delay_alu instid0(VALU_DEP_4) | instskip(NEXT) | instid1(SALU_CYCLE_1)
	s_or_b32 s0, s0, s9
	s_and_b32 vcc_lo, exec_lo, s0
	s_cbranch_vccnz .LBB370_89
.LBB370_41:                             ; =>This Inner Loop Header: Depth=1
	v_add_co_u32 v5, s0, v0, s6
	s_delay_alu instid0(VALU_DEP_1) | instskip(NEXT) | instid1(VALU_DEP_1)
	v_add_co_ci_u32_e64 v6, null, 0, s7, s0
	v_cmp_gt_i64_e32 vcc_lo, s[4:5], v[5:6]
	v_cmp_gt_u64_e64 s0, 0x10000, v[5:6]
	s_delay_alu instid0(VALU_DEP_1) | instskip(NEXT) | instid1(SALU_CYCLE_1)
	s_and_b32 s9, vcc_lo, s0
	s_and_saveexec_b32 s0, s9
	s_cbranch_execz .LBB370_43
; %bb.42:                               ;   in Loop: Header=BB370_41 Depth=1
	global_load_b32 v28, v[1:2], off
.LBB370_43:                             ;   in Loop: Header=BB370_41 Depth=1
	s_or_b32 exec_lo, exec_lo, s0
	v_add_co_u32 v7, vcc_lo, v19, s6
	v_add_co_ci_u32_e32 v8, vcc_lo, s7, v22, vcc_lo
	s_delay_alu instid0(VALU_DEP_1) | instskip(SKIP_1) | instid1(VALU_DEP_1)
	v_cmp_gt_i64_e32 vcc_lo, s[4:5], v[7:8]
	v_cmp_gt_u64_e64 s0, 0x10000, v[7:8]
	s_and_b32 s9, vcc_lo, s0
	s_delay_alu instid0(SALU_CYCLE_1)
	s_and_saveexec_b32 s0, s9
	s_cbranch_execz .LBB370_45
; %bb.44:                               ;   in Loop: Header=BB370_41 Depth=1
	global_load_b32 v27, v[3:4], off
.LBB370_45:                             ;   in Loop: Header=BB370_41 Depth=1
	s_or_b32 exec_lo, exec_lo, s0
	v_add_co_u32 v9, vcc_lo, v23, s6
	v_add_co_ci_u32_e32 v10, vcc_lo, s7, v24, vcc_lo
	s_delay_alu instid0(VALU_DEP_1) | instskip(SKIP_1) | instid1(VALU_DEP_1)
	v_cmp_gt_i64_e32 vcc_lo, s[4:5], v[9:10]
	v_cmp_gt_u64_e64 s0, 0x10000, v[9:10]
	s_and_b32 s9, vcc_lo, s0
	s_delay_alu instid0(SALU_CYCLE_1)
	s_and_saveexec_b32 s0, s9
	s_cbranch_execz .LBB370_47
; %bb.46:                               ;   in Loop: Header=BB370_41 Depth=1
	v_add_co_u32 v11, vcc_lo, v1, s11
	v_add_co_ci_u32_e32 v12, vcc_lo, 0, v2, vcc_lo
	global_load_b32 v30, v[11:12], off
.LBB370_47:                             ;   in Loop: Header=BB370_41 Depth=1
	s_or_b32 exec_lo, exec_lo, s0
	v_add_co_u32 v11, vcc_lo, v17, s6
	v_add_co_ci_u32_e32 v12, vcc_lo, s7, v18, vcc_lo
	s_delay_alu instid0(VALU_DEP_1) | instskip(SKIP_1) | instid1(VALU_DEP_1)
	v_cmp_gt_i64_e32 vcc_lo, s[4:5], v[11:12]
	v_cmp_gt_u64_e64 s0, 0x10000, v[11:12]
	s_and_b32 s9, vcc_lo, s0
	s_delay_alu instid0(SALU_CYCLE_1)
	s_and_saveexec_b32 s0, s9
	s_cbranch_execz .LBB370_49
; %bb.48:                               ;   in Loop: Header=BB370_41 Depth=1
	v_add_co_u32 v31, vcc_lo, v1, s8
	v_add_co_ci_u32_e32 v32, vcc_lo, 0, v2, vcc_lo
	global_load_b32 v29, v[31:32], off
.LBB370_49:                             ;   in Loop: Header=BB370_41 Depth=1
	s_or_b32 exec_lo, exec_lo, s0
	s_waitcnt vmcnt(0)
	v_and_b32_e32 v33, 0x7fffffff, v28
	v_dual_mov_b32 v31, 0x80 :: v_dual_mov_b32 v32, 0x80
	s_mov_b32 s0, exec_lo
	s_delay_alu instid0(VALU_DEP_2)
	v_cmpx_gt_u32_e32 0x43800000, v33
	s_cbranch_execz .LBB370_55
; %bb.50:                               ;   in Loop: Header=BB370_41 Depth=1
	v_cmp_lt_u32_e32 vcc_lo, 0x3bffffff, v33
	s_mov_b32 s9, 0
                                        ; implicit-def: $vgpr33
	s_and_saveexec_b32 s12, vcc_lo
	s_delay_alu instid0(SALU_CYCLE_1)
	s_xor_b32 s12, exec_lo, s12
	s_cbranch_execnz .LBB370_81
; %bb.51:                               ;   in Loop: Header=BB370_41 Depth=1
	s_or_saveexec_b32 s12, s12
                                        ; implicit-def: $sgpr13
	s_delay_alu instid0(SALU_CYCLE_1)
	s_xor_b32 exec_lo, exec_lo, s12
	s_cbranch_execnz .LBB370_82
.LBB370_52:                             ;   in Loop: Header=BB370_41 Depth=1
	s_or_b32 exec_lo, exec_lo, s12
	v_mov_b32_e32 v32, s13
	s_and_saveexec_b32 s12, s9
.LBB370_53:                             ;   in Loop: Header=BB370_41 Depth=1
	v_lshrrev_b32_e32 v32, 24, v28
	s_delay_alu instid0(VALU_DEP_1)
	v_and_or_b32 v32, 0x80, v32, v33
.LBB370_54:                             ;   in Loop: Header=BB370_41 Depth=1
	s_or_b32 exec_lo, exec_lo, s12
.LBB370_55:                             ;   in Loop: Header=BB370_41 Depth=1
	s_delay_alu instid0(SALU_CYCLE_1) | instskip(SKIP_2) | instid1(VALU_DEP_1)
	s_or_b32 exec_lo, exec_lo, s0
	v_and_b32_e32 v33, 0x7fffffff, v27
	s_mov_b32 s0, exec_lo
	v_cmpx_gt_u32_e32 0x43800000, v33
	s_cbranch_execz .LBB370_61
; %bb.56:                               ;   in Loop: Header=BB370_41 Depth=1
	v_cmp_lt_u32_e32 vcc_lo, 0x3bffffff, v33
	s_mov_b32 s9, 0
                                        ; implicit-def: $vgpr33
	s_and_saveexec_b32 s12, vcc_lo
	s_delay_alu instid0(SALU_CYCLE_1)
	s_xor_b32 s12, exec_lo, s12
	s_cbranch_execnz .LBB370_83
; %bb.57:                               ;   in Loop: Header=BB370_41 Depth=1
	s_or_saveexec_b32 s12, s12
                                        ; implicit-def: $sgpr13
	s_delay_alu instid0(SALU_CYCLE_1)
	s_xor_b32 exec_lo, exec_lo, s12
	s_cbranch_execnz .LBB370_84
.LBB370_58:                             ;   in Loop: Header=BB370_41 Depth=1
	s_or_b32 exec_lo, exec_lo, s12
	v_mov_b32_e32 v31, s13
	s_and_saveexec_b32 s12, s9
.LBB370_59:                             ;   in Loop: Header=BB370_41 Depth=1
	v_lshrrev_b32_e32 v31, 24, v27
	s_delay_alu instid0(VALU_DEP_1)
	v_and_or_b32 v31, 0x80, v31, v33
.LBB370_60:                             ;   in Loop: Header=BB370_41 Depth=1
	s_or_b32 exec_lo, exec_lo, s12
.LBB370_61:                             ;   in Loop: Header=BB370_41 Depth=1
	s_delay_alu instid0(SALU_CYCLE_1) | instskip(SKIP_3) | instid1(VALU_DEP_2)
	s_or_b32 exec_lo, exec_lo, s0
	v_and_b32_e32 v35, 0x7fffffff, v30
	v_dual_mov_b32 v33, 0x80 :: v_dual_mov_b32 v34, 0x80
	s_mov_b32 s0, exec_lo
	v_cmpx_gt_u32_e32 0x43800000, v35
	s_cbranch_execz .LBB370_67
; %bb.62:                               ;   in Loop: Header=BB370_41 Depth=1
	v_cmp_lt_u32_e32 vcc_lo, 0x3bffffff, v35
	s_mov_b32 s9, 0
                                        ; implicit-def: $vgpr35
	s_and_saveexec_b32 s12, vcc_lo
	s_delay_alu instid0(SALU_CYCLE_1)
	s_xor_b32 s12, exec_lo, s12
	s_cbranch_execnz .LBB370_85
; %bb.63:                               ;   in Loop: Header=BB370_41 Depth=1
	s_or_saveexec_b32 s12, s12
                                        ; implicit-def: $sgpr13
	s_delay_alu instid0(SALU_CYCLE_1)
	s_xor_b32 exec_lo, exec_lo, s12
	s_cbranch_execnz .LBB370_86
.LBB370_64:                             ;   in Loop: Header=BB370_41 Depth=1
	s_or_b32 exec_lo, exec_lo, s12
	v_mov_b32_e32 v34, s13
	s_and_saveexec_b32 s12, s9
.LBB370_65:                             ;   in Loop: Header=BB370_41 Depth=1
	v_lshrrev_b32_e32 v34, 24, v30
	s_delay_alu instid0(VALU_DEP_1)
	v_and_or_b32 v34, 0x80, v34, v35
.LBB370_66:                             ;   in Loop: Header=BB370_41 Depth=1
	s_or_b32 exec_lo, exec_lo, s12
.LBB370_67:                             ;   in Loop: Header=BB370_41 Depth=1
	s_delay_alu instid0(SALU_CYCLE_1) | instskip(SKIP_2) | instid1(VALU_DEP_1)
	s_or_b32 exec_lo, exec_lo, s0
	v_and_b32_e32 v35, 0x7fffffff, v29
	s_mov_b32 s0, exec_lo
	v_cmpx_gt_u32_e32 0x43800000, v35
	s_cbranch_execz .LBB370_73
; %bb.68:                               ;   in Loop: Header=BB370_41 Depth=1
	v_cmp_lt_u32_e32 vcc_lo, 0x3bffffff, v35
	s_mov_b32 s9, 0
                                        ; implicit-def: $vgpr35
	s_and_saveexec_b32 s12, vcc_lo
	s_delay_alu instid0(SALU_CYCLE_1)
	s_xor_b32 s12, exec_lo, s12
	s_cbranch_execnz .LBB370_87
; %bb.69:                               ;   in Loop: Header=BB370_41 Depth=1
	s_or_saveexec_b32 s12, s12
                                        ; implicit-def: $sgpr13
	s_delay_alu instid0(SALU_CYCLE_1)
	s_xor_b32 exec_lo, exec_lo, s12
	s_cbranch_execnz .LBB370_88
.LBB370_70:                             ;   in Loop: Header=BB370_41 Depth=1
	s_or_b32 exec_lo, exec_lo, s12
	v_mov_b32_e32 v33, s13
	s_and_saveexec_b32 s12, s9
.LBB370_71:                             ;   in Loop: Header=BB370_41 Depth=1
	v_lshrrev_b32_e32 v33, 24, v29
	s_delay_alu instid0(VALU_DEP_1)
	v_and_or_b32 v33, 0x80, v33, v35
.LBB370_72:                             ;   in Loop: Header=BB370_41 Depth=1
	s_or_b32 exec_lo, exec_lo, s12
.LBB370_73:                             ;   in Loop: Header=BB370_41 Depth=1
	s_delay_alu instid0(SALU_CYCLE_1) | instskip(NEXT) | instid1(SALU_CYCLE_1)
	s_or_b32 exec_lo, exec_lo, s0
	s_mov_b32 s0, exec_lo
	v_cmpx_gt_u64_e64 s[2:3], v[5:6]
	s_xor_b32 s0, exec_lo, s0
	s_cbranch_execnz .LBB370_77
; %bb.74:                               ;   in Loop: Header=BB370_41 Depth=1
	s_or_b32 exec_lo, exec_lo, s0
	s_delay_alu instid0(SALU_CYCLE_1)
	s_mov_b32 s0, exec_lo
	v_cmpx_gt_u64_e64 s[2:3], v[7:8]
	s_cbranch_execnz .LBB370_78
.LBB370_75:                             ;   in Loop: Header=BB370_41 Depth=1
	s_or_b32 exec_lo, exec_lo, s0
	s_delay_alu instid0(SALU_CYCLE_1)
	s_mov_b32 s0, exec_lo
	v_cmpx_gt_u64_e64 s[2:3], v[9:10]
	s_cbranch_execnz .LBB370_79
.LBB370_76:                             ;   in Loop: Header=BB370_41 Depth=1
	s_or_b32 exec_lo, exec_lo, s0
	s_delay_alu instid0(SALU_CYCLE_1)
	s_mov_b32 s0, exec_lo
	v_cmpx_gt_u64_e64 s[2:3], v[11:12]
	s_cbranch_execz .LBB370_40
	s_branch .LBB370_80
.LBB370_77:                             ;   in Loop: Header=BB370_41 Depth=1
	v_add_co_u32 v5, vcc_lo, v13, s6
	v_add_co_ci_u32_e32 v6, vcc_lo, s7, v14, vcc_lo
	global_store_b8 v[5:6], v32, off
	s_or_b32 exec_lo, exec_lo, s0
	s_delay_alu instid0(SALU_CYCLE_1)
	s_mov_b32 s0, exec_lo
	v_cmpx_gt_u64_e64 s[2:3], v[7:8]
	s_cbranch_execz .LBB370_75
.LBB370_78:                             ;   in Loop: Header=BB370_41 Depth=1
	v_add_co_u32 v5, vcc_lo, v25, s6
	v_add_co_ci_u32_e32 v6, vcc_lo, s7, v26, vcc_lo
	global_store_b8 v[5:6], v31, off
	s_or_b32 exec_lo, exec_lo, s0
	s_delay_alu instid0(SALU_CYCLE_1)
	s_mov_b32 s0, exec_lo
	v_cmpx_gt_u64_e64 s[2:3], v[9:10]
	s_cbranch_execz .LBB370_76
.LBB370_79:                             ;   in Loop: Header=BB370_41 Depth=1
	v_add_co_u32 v5, vcc_lo, v20, s6
	v_add_co_ci_u32_e32 v6, vcc_lo, s7, v21, vcc_lo
	global_store_b8 v[5:6], v34, off
	s_or_b32 exec_lo, exec_lo, s0
	s_delay_alu instid0(SALU_CYCLE_1)
	s_mov_b32 s0, exec_lo
	v_cmpx_gt_u64_e64 s[2:3], v[11:12]
	s_cbranch_execz .LBB370_40
.LBB370_80:                             ;   in Loop: Header=BB370_41 Depth=1
	v_add_co_u32 v5, vcc_lo, v15, s6
	v_add_co_ci_u32_e32 v6, vcc_lo, s7, v16, vcc_lo
	global_store_b8 v[5:6], v33, off
	s_branch .LBB370_40
.LBB370_81:                             ;   in Loop: Header=BB370_41 Depth=1
	v_bfe_u32 v32, v28, 20, 1
	s_mov_b32 s9, exec_lo
	s_delay_alu instid0(VALU_DEP_1) | instskip(NEXT) | instid1(VALU_DEP_1)
	v_add3_u32 v32, v28, v32, 0x487ffff
	v_lshrrev_b32_e32 v33, 20, v32
	s_or_saveexec_b32 s12, s12
                                        ; implicit-def: $sgpr13
	s_delay_alu instid0(SALU_CYCLE_1)
	s_xor_b32 exec_lo, exec_lo, s12
	s_cbranch_execz .LBB370_52
.LBB370_82:                             ;   in Loop: Header=BB370_41 Depth=1
	v_add_f32_e64 v32, 0x46000000, |v28|
	s_and_not1_b32 s9, s9, exec_lo
	s_mov_b32 s13, 0
	s_delay_alu instid0(VALU_DEP_1) | instskip(NEXT) | instid1(VALU_DEP_1)
	v_and_b32_e32 v33, 0xff, v32
	v_cmp_ne_u32_e32 vcc_lo, 0, v33
	s_and_b32 s14, vcc_lo, exec_lo
	s_delay_alu instid0(SALU_CYCLE_1)
	s_or_b32 s9, s9, s14
	s_or_b32 exec_lo, exec_lo, s12
	v_mov_b32_e32 v32, s13
	s_and_saveexec_b32 s12, s9
	s_cbranch_execnz .LBB370_53
	s_branch .LBB370_54
.LBB370_83:                             ;   in Loop: Header=BB370_41 Depth=1
	v_bfe_u32 v31, v27, 20, 1
	s_mov_b32 s9, exec_lo
	s_delay_alu instid0(VALU_DEP_1) | instskip(NEXT) | instid1(VALU_DEP_1)
	v_add3_u32 v31, v27, v31, 0x487ffff
	v_lshrrev_b32_e32 v33, 20, v31
	s_or_saveexec_b32 s12, s12
                                        ; implicit-def: $sgpr13
	s_delay_alu instid0(SALU_CYCLE_1)
	s_xor_b32 exec_lo, exec_lo, s12
	s_cbranch_execz .LBB370_58
.LBB370_84:                             ;   in Loop: Header=BB370_41 Depth=1
	v_add_f32_e64 v31, 0x46000000, |v27|
	s_and_not1_b32 s9, s9, exec_lo
	s_mov_b32 s13, 0
	s_delay_alu instid0(VALU_DEP_1) | instskip(NEXT) | instid1(VALU_DEP_1)
	v_and_b32_e32 v33, 0xff, v31
	v_cmp_ne_u32_e32 vcc_lo, 0, v33
	s_and_b32 s14, vcc_lo, exec_lo
	s_delay_alu instid0(SALU_CYCLE_1)
	s_or_b32 s9, s9, s14
	s_or_b32 exec_lo, exec_lo, s12
	v_mov_b32_e32 v31, s13
	s_and_saveexec_b32 s12, s9
	s_cbranch_execnz .LBB370_59
	s_branch .LBB370_60
.LBB370_85:                             ;   in Loop: Header=BB370_41 Depth=1
	v_bfe_u32 v34, v30, 20, 1
	s_mov_b32 s9, exec_lo
	s_delay_alu instid0(VALU_DEP_1) | instskip(NEXT) | instid1(VALU_DEP_1)
	v_add3_u32 v34, v30, v34, 0x487ffff
	v_lshrrev_b32_e32 v35, 20, v34
	s_or_saveexec_b32 s12, s12
                                        ; implicit-def: $sgpr13
	s_delay_alu instid0(SALU_CYCLE_1)
	s_xor_b32 exec_lo, exec_lo, s12
	s_cbranch_execz .LBB370_64
.LBB370_86:                             ;   in Loop: Header=BB370_41 Depth=1
	v_add_f32_e64 v34, 0x46000000, |v30|
	s_and_not1_b32 s9, s9, exec_lo
	s_mov_b32 s13, 0
	s_delay_alu instid0(VALU_DEP_1) | instskip(NEXT) | instid1(VALU_DEP_1)
	v_and_b32_e32 v35, 0xff, v34
	v_cmp_ne_u32_e32 vcc_lo, 0, v35
	s_and_b32 s14, vcc_lo, exec_lo
	s_delay_alu instid0(SALU_CYCLE_1)
	s_or_b32 s9, s9, s14
	s_or_b32 exec_lo, exec_lo, s12
	v_mov_b32_e32 v34, s13
	s_and_saveexec_b32 s12, s9
	s_cbranch_execnz .LBB370_65
	s_branch .LBB370_66
.LBB370_87:                             ;   in Loop: Header=BB370_41 Depth=1
	v_bfe_u32 v33, v29, 20, 1
	s_mov_b32 s9, exec_lo
	s_delay_alu instid0(VALU_DEP_1) | instskip(NEXT) | instid1(VALU_DEP_1)
	v_add3_u32 v33, v29, v33, 0x487ffff
	v_lshrrev_b32_e32 v35, 20, v33
	s_or_saveexec_b32 s12, s12
                                        ; implicit-def: $sgpr13
	s_delay_alu instid0(SALU_CYCLE_1)
	s_xor_b32 exec_lo, exec_lo, s12
	s_cbranch_execz .LBB370_70
.LBB370_88:                             ;   in Loop: Header=BB370_41 Depth=1
	v_add_f32_e64 v33, 0x46000000, |v29|
	s_and_not1_b32 s9, s9, exec_lo
	s_mov_b32 s13, 0
	s_delay_alu instid0(VALU_DEP_1) | instskip(NEXT) | instid1(VALU_DEP_1)
	v_and_b32_e32 v35, 0xff, v33
	v_cmp_ne_u32_e32 vcc_lo, 0, v35
	s_and_b32 s14, vcc_lo, exec_lo
	s_delay_alu instid0(SALU_CYCLE_1)
	s_or_b32 s9, s9, s14
	s_or_b32 exec_lo, exec_lo, s12
	v_mov_b32_e32 v33, s13
	s_and_saveexec_b32 s12, s9
	s_cbranch_execnz .LBB370_71
	s_branch .LBB370_72
.LBB370_89:
	s_nop 0
	s_sendmsg sendmsg(MSG_DEALLOC_VGPRS)
	s_endpgm
	.section	.rodata,"a",@progbits
	.p2align	6, 0x0
	.amdhsa_kernel _ZN2at6native12_GLOBAL__N_125multi_tensor_apply_kernelINS1_18TensorListMetadataILi2EEENS1_11CopyFunctorIN3c1015Float8_e4m3fnuzEfLi2ELi1ELi1EEEJNS0_4CopyIS7_fEEEEEvT_T0_DpT1_
		.amdhsa_group_segment_fixed_size 0
		.amdhsa_private_segment_fixed_size 0
		.amdhsa_kernarg_size 3408
		.amdhsa_user_sgpr_count 15
		.amdhsa_user_sgpr_dispatch_ptr 0
		.amdhsa_user_sgpr_queue_ptr 0
		.amdhsa_user_sgpr_kernarg_segment_ptr 1
		.amdhsa_user_sgpr_dispatch_id 0
		.amdhsa_user_sgpr_private_segment_size 0
		.amdhsa_wavefront_size32 1
		.amdhsa_uses_dynamic_stack 0
		.amdhsa_enable_private_segment 0
		.amdhsa_system_sgpr_workgroup_id_x 1
		.amdhsa_system_sgpr_workgroup_id_y 0
		.amdhsa_system_sgpr_workgroup_id_z 0
		.amdhsa_system_sgpr_workgroup_info 0
		.amdhsa_system_vgpr_workitem_id 0
		.amdhsa_next_free_vgpr 36
		.amdhsa_next_free_sgpr 23
		.amdhsa_reserve_vcc 1
		.amdhsa_float_round_mode_32 0
		.amdhsa_float_round_mode_16_64 0
		.amdhsa_float_denorm_mode_32 3
		.amdhsa_float_denorm_mode_16_64 3
		.amdhsa_dx10_clamp 1
		.amdhsa_ieee_mode 1
		.amdhsa_fp16_overflow 0
		.amdhsa_workgroup_processor_mode 1
		.amdhsa_memory_ordered 1
		.amdhsa_forward_progress 0
		.amdhsa_shared_vgpr_count 0
		.amdhsa_exception_fp_ieee_invalid_op 0
		.amdhsa_exception_fp_denorm_src 0
		.amdhsa_exception_fp_ieee_div_zero 0
		.amdhsa_exception_fp_ieee_overflow 0
		.amdhsa_exception_fp_ieee_underflow 0
		.amdhsa_exception_fp_ieee_inexact 0
		.amdhsa_exception_int_div_zero 0
	.end_amdhsa_kernel
	.section	.text._ZN2at6native12_GLOBAL__N_125multi_tensor_apply_kernelINS1_18TensorListMetadataILi2EEENS1_11CopyFunctorIN3c1015Float8_e4m3fnuzEfLi2ELi1ELi1EEEJNS0_4CopyIS7_fEEEEEvT_T0_DpT1_,"axG",@progbits,_ZN2at6native12_GLOBAL__N_125multi_tensor_apply_kernelINS1_18TensorListMetadataILi2EEENS1_11CopyFunctorIN3c1015Float8_e4m3fnuzEfLi2ELi1ELi1EEEJNS0_4CopyIS7_fEEEEEvT_T0_DpT1_,comdat
.Lfunc_end370:
	.size	_ZN2at6native12_GLOBAL__N_125multi_tensor_apply_kernelINS1_18TensorListMetadataILi2EEENS1_11CopyFunctorIN3c1015Float8_e4m3fnuzEfLi2ELi1ELi1EEEJNS0_4CopyIS7_fEEEEEvT_T0_DpT1_, .Lfunc_end370-_ZN2at6native12_GLOBAL__N_125multi_tensor_apply_kernelINS1_18TensorListMetadataILi2EEENS1_11CopyFunctorIN3c1015Float8_e4m3fnuzEfLi2ELi1ELi1EEEJNS0_4CopyIS7_fEEEEEvT_T0_DpT1_
                                        ; -- End function
	.section	.AMDGPU.csdata,"",@progbits
; Kernel info:
; codeLenInByte = 3240
; NumSgprs: 25
; NumVgprs: 36
; ScratchSize: 0
; MemoryBound: 0
; FloatMode: 240
; IeeeMode: 1
; LDSByteSize: 0 bytes/workgroup (compile time only)
; SGPRBlocks: 3
; VGPRBlocks: 4
; NumSGPRsForWavesPerEU: 25
; NumVGPRsForWavesPerEU: 36
; Occupancy: 16
; WaveLimiterHint : 0
; COMPUTE_PGM_RSRC2:SCRATCH_EN: 0
; COMPUTE_PGM_RSRC2:USER_SGPR: 15
; COMPUTE_PGM_RSRC2:TRAP_HANDLER: 0
; COMPUTE_PGM_RSRC2:TGID_X_EN: 1
; COMPUTE_PGM_RSRC2:TGID_Y_EN: 0
; COMPUTE_PGM_RSRC2:TGID_Z_EN: 0
; COMPUTE_PGM_RSRC2:TIDIG_COMP_CNT: 0
	.section	.text._ZN2at6native12_GLOBAL__N_125multi_tensor_apply_kernelINS1_18TensorListMetadataILi2EEENS1_11CopyFunctorIN3c1015Float8_e4m3fnuzENS6_7complexIdEELi2ELi1ELi1EEEJNS0_4CopyIS7_S9_EEEEEvT_T0_DpT1_,"axG",@progbits,_ZN2at6native12_GLOBAL__N_125multi_tensor_apply_kernelINS1_18TensorListMetadataILi2EEENS1_11CopyFunctorIN3c1015Float8_e4m3fnuzENS6_7complexIdEELi2ELi1ELi1EEEJNS0_4CopyIS7_S9_EEEEEvT_T0_DpT1_,comdat
	.globl	_ZN2at6native12_GLOBAL__N_125multi_tensor_apply_kernelINS1_18TensorListMetadataILi2EEENS1_11CopyFunctorIN3c1015Float8_e4m3fnuzENS6_7complexIdEELi2ELi1ELi1EEEJNS0_4CopyIS7_S9_EEEEEvT_T0_DpT1_ ; -- Begin function _ZN2at6native12_GLOBAL__N_125multi_tensor_apply_kernelINS1_18TensorListMetadataILi2EEENS1_11CopyFunctorIN3c1015Float8_e4m3fnuzENS6_7complexIdEELi2ELi1ELi1EEEJNS0_4CopyIS7_S9_EEEEEvT_T0_DpT1_
	.p2align	8
	.type	_ZN2at6native12_GLOBAL__N_125multi_tensor_apply_kernelINS1_18TensorListMetadataILi2EEENS1_11CopyFunctorIN3c1015Float8_e4m3fnuzENS6_7complexIdEELi2ELi1ELi1EEEJNS0_4CopyIS7_S9_EEEEEvT_T0_DpT1_,@function
_ZN2at6native12_GLOBAL__N_125multi_tensor_apply_kernelINS1_18TensorListMetadataILi2EEENS1_11CopyFunctorIN3c1015Float8_e4m3fnuzENS6_7complexIdEELi2ELi1ELi1EEEJNS0_4CopyIS7_S9_EEEEEvT_T0_DpT1_: ; @_ZN2at6native12_GLOBAL__N_125multi_tensor_apply_kernelINS1_18TensorListMetadataILi2EEENS1_11CopyFunctorIN3c1015Float8_e4m3fnuzENS6_7complexIdEELi2ELi1ELi1EEEJNS0_4CopyIS7_S9_EEEEEvT_T0_DpT1_
; %bb.0:
	v_mov_b32_e32 v1, s15
	s_add_u32 s2, s0, s15
	s_mul_i32 s4, s15, 3
	s_addc_u32 s3, s1, 0
	s_mul_hi_u32 s5, s15, 3
	global_load_u8 v1, v1, s[0:1] offset:1536
	s_add_u32 s2, s2, s4
	s_addc_u32 s3, s3, s5
	s_mov_b32 s17, 0
	s_load_b32 s10, s[2:3], 0x740
	s_waitcnt lgkmcnt(0)
	s_ashr_i32 s11, s10, 31
	s_delay_alu instid0(SALU_CYCLE_1) | instskip(SKIP_2) | instid1(VALU_DEP_1)
	s_lshl_b64 s[8:9], s[10:11], 16
	s_waitcnt vmcnt(0)
	v_readfirstlane_b32 s4, v1
	s_lshl_b32 s4, s4, 3
	s_clause 0x2
	s_load_b64 s[6:7], s[0:1], s4 offset:0x200
	s_load_b64 s[2:3], s[0:1], s4 offset:0x400
	;; [unrolled: 1-line block ×3, first 2 shown]
	s_waitcnt lgkmcnt(0)
	s_add_u32 s14, s6, s8
	s_addc_u32 s15, s7, s9
	s_delay_alu instid0(SALU_CYCLE_1) | instskip(SKIP_2) | instid1(SALU_CYCLE_1)
	s_or_b64 s[4:5], s[2:3], s[14:15]
	s_and_b32 s5, s12, 63
	s_and_b32 s4, s4, 3
	s_or_b32 s16, s4, s5
	s_sub_u32 s4, s2, s8
	s_subb_u32 s5, s3, s9
	s_cmp_eq_u64 s[16:17], 0
	s_mov_b32 s2, -1
	s_cbranch_scc0 .LBB371_37
; %bb.1:
	v_dual_mov_b32 v2, 0 :: v_dual_lshlrev_b32 v1, 2, v0
	s_mov_b32 s3, exec_lo
	s_delay_alu instid0(VALU_DEP_1)
	v_cmpx_gt_i64_e64 s[4:5], v[1:2]
	s_cbranch_execz .LBB371_36
; %bb.2:
	s_load_b32 s2, s[0:1], 0xc5c
	v_lshlrev_b32_e32 v3, 6, v0
	s_lshl_b64 s[18:19], s[10:11], 20
	s_waitcnt lgkmcnt(0)
	s_and_b32 s2, s2, 0xffff
	s_delay_alu instid0(SALU_CYCLE_1) | instskip(SKIP_3) | instid1(VALU_DEP_1)
	s_lshl_b32 s16, s2, 2
	s_add_u32 s17, s12, s18
	s_addc_u32 s18, s13, s19
	v_add_co_u32 v3, s17, s17, v3
	v_add_co_ci_u32_e64 v4, null, s18, 0, s17
	s_mov_b32 s17, 0
	s_lshl_b32 s18, s2, 6
	s_branch .LBB371_5
.LBB371_3:                              ;   in Loop: Header=BB371_5 Depth=1
	s_or_b32 exec_lo, exec_lo, s20
.LBB371_4:                              ;   in Loop: Header=BB371_5 Depth=1
	s_delay_alu instid0(SALU_CYCLE_1)
	s_or_b32 exec_lo, exec_lo, s2
	v_add_co_u32 v5, vcc_lo, s14, v1
	v_add_co_ci_u32_e32 v6, vcc_lo, s15, v2, vcc_lo
	v_add_co_u32 v1, vcc_lo, s16, v1
	v_add_co_ci_u32_e32 v2, vcc_lo, 0, v2, vcc_lo
	v_lshlrev_b32_e32 v8, 16, v8
	v_lshlrev_b32_e32 v9, 8, v12
	s_delay_alu instid0(VALU_DEP_3) | instskip(SKIP_1) | instid1(VALU_DEP_4)
	v_cmp_le_i64_e32 vcc_lo, s[4:5], v[1:2]
	v_cmp_lt_u64_e64 s2, 0xffff, v[1:2]
	v_perm_b32 v7, v7, v8, 0x4020c0c
	s_delay_alu instid0(VALU_DEP_4) | instskip(SKIP_1) | instid1(VALU_DEP_4)
	v_and_b32_e32 v8, 0xff00, v9
	v_and_b32_e32 v9, 0xff, v11
	s_or_b32 s2, vcc_lo, s2
	v_add_co_u32 v3, vcc_lo, v3, s18
	s_delay_alu instid0(VALU_DEP_2) | instskip(SKIP_2) | instid1(SALU_CYCLE_1)
	v_or3_b32 v7, v7, v8, v9
	v_add_co_ci_u32_e32 v4, vcc_lo, 0, v4, vcc_lo
	s_and_b32 s2, exec_lo, s2
	s_or_b32 s17, s2, s17
	global_store_b32 v[5:6], v7, off
	s_and_not1_b32 exec_lo, exec_lo, s17
	s_cbranch_execz .LBB371_36
.LBB371_5:                              ; =>This Inner Loop Header: Depth=1
	s_clause 0x3
	global_load_b64 v[11:12], v[3:4], off
	global_load_b64 v[9:10], v[3:4], off offset:16
	global_load_b64 v[7:8], v[3:4], off offset:32
	global_load_b64 v[5:6], v[3:4], off offset:48
	s_mov_b32 s2, exec_lo
	s_waitcnt vmcnt(3)
	v_cvt_f32_f64_e32 v13, v[11:12]
	v_dual_mov_b32 v12, 0x80 :: v_dual_mov_b32 v11, 0x80
	s_delay_alu instid0(VALU_DEP_2) | instskip(NEXT) | instid1(VALU_DEP_1)
	v_and_b32_e32 v14, 0x7fffffff, v13
	v_cmpx_gt_u32_e32 0x43800000, v14
	s_cbranch_execz .LBB371_11
; %bb.6:                                ;   in Loop: Header=BB371_5 Depth=1
	v_cmp_lt_u32_e32 vcc_lo, 0x3bffffff, v14
	s_mov_b32 s19, 0
                                        ; implicit-def: $vgpr14
	s_and_saveexec_b32 s20, vcc_lo
	s_delay_alu instid0(SALU_CYCLE_1)
	s_xor_b32 s20, exec_lo, s20
	s_cbranch_execnz .LBB371_27
; %bb.7:                                ;   in Loop: Header=BB371_5 Depth=1
	s_or_saveexec_b32 s20, s20
                                        ; implicit-def: $sgpr21
	s_delay_alu instid0(SALU_CYCLE_1)
	s_xor_b32 exec_lo, exec_lo, s20
	s_cbranch_execnz .LBB371_28
.LBB371_8:                              ;   in Loop: Header=BB371_5 Depth=1
	s_or_b32 exec_lo, exec_lo, s20
	v_mov_b32_e32 v11, s21
	s_and_saveexec_b32 s20, s19
.LBB371_9:                              ;   in Loop: Header=BB371_5 Depth=1
	v_lshrrev_b32_e32 v11, 24, v13
	s_delay_alu instid0(VALU_DEP_1)
	v_and_or_b32 v11, 0x80, v11, v14
.LBB371_10:                             ;   in Loop: Header=BB371_5 Depth=1
	s_or_b32 exec_lo, exec_lo, s20
.LBB371_11:                             ;   in Loop: Header=BB371_5 Depth=1
	s_delay_alu instid0(SALU_CYCLE_1) | instskip(SKIP_3) | instid1(VALU_DEP_1)
	s_or_b32 exec_lo, exec_lo, s2
	s_waitcnt vmcnt(2)
	v_cvt_f32_f64_e32 v9, v[9:10]
	s_mov_b32 s2, exec_lo
	v_and_b32_e32 v10, 0x7fffffff, v9
	s_delay_alu instid0(VALU_DEP_1)
	v_cmpx_gt_u32_e32 0x43800000, v10
	s_cbranch_execz .LBB371_17
; %bb.12:                               ;   in Loop: Header=BB371_5 Depth=1
	v_cmp_lt_u32_e32 vcc_lo, 0x3bffffff, v10
	s_mov_b32 s19, 0
                                        ; implicit-def: $vgpr10
	s_and_saveexec_b32 s20, vcc_lo
	s_delay_alu instid0(SALU_CYCLE_1)
	s_xor_b32 s20, exec_lo, s20
	s_cbranch_execnz .LBB371_29
; %bb.13:                               ;   in Loop: Header=BB371_5 Depth=1
	s_or_saveexec_b32 s20, s20
                                        ; implicit-def: $sgpr21
	s_delay_alu instid0(SALU_CYCLE_1)
	s_xor_b32 exec_lo, exec_lo, s20
	s_cbranch_execnz .LBB371_30
.LBB371_14:                             ;   in Loop: Header=BB371_5 Depth=1
	s_or_b32 exec_lo, exec_lo, s20
	v_mov_b32_e32 v12, s21
	s_and_saveexec_b32 s20, s19
.LBB371_15:                             ;   in Loop: Header=BB371_5 Depth=1
	v_lshrrev_b32_e32 v9, 24, v9
	s_delay_alu instid0(VALU_DEP_1)
	v_and_or_b32 v12, 0x80, v9, v10
.LBB371_16:                             ;   in Loop: Header=BB371_5 Depth=1
	s_or_b32 exec_lo, exec_lo, s20
.LBB371_17:                             ;   in Loop: Header=BB371_5 Depth=1
	s_delay_alu instid0(SALU_CYCLE_1) | instskip(SKIP_4) | instid1(VALU_DEP_2)
	s_or_b32 exec_lo, exec_lo, s2
	s_waitcnt vmcnt(1)
	v_cvt_f32_f64_e32 v9, v[7:8]
	v_dual_mov_b32 v7, 0x80 :: v_dual_mov_b32 v8, 0x80
	s_mov_b32 s2, exec_lo
	v_and_b32_e32 v10, 0x7fffffff, v9
	s_delay_alu instid0(VALU_DEP_1)
	v_cmpx_gt_u32_e32 0x43800000, v10
	s_cbranch_execz .LBB371_23
; %bb.18:                               ;   in Loop: Header=BB371_5 Depth=1
	v_cmp_lt_u32_e32 vcc_lo, 0x3bffffff, v10
	s_mov_b32 s19, 0
                                        ; implicit-def: $vgpr10
	s_and_saveexec_b32 s20, vcc_lo
	s_delay_alu instid0(SALU_CYCLE_1)
	s_xor_b32 s20, exec_lo, s20
	s_cbranch_execnz .LBB371_31
; %bb.19:                               ;   in Loop: Header=BB371_5 Depth=1
	s_or_saveexec_b32 s20, s20
                                        ; implicit-def: $sgpr21
	s_delay_alu instid0(SALU_CYCLE_1)
	s_xor_b32 exec_lo, exec_lo, s20
	s_cbranch_execnz .LBB371_32
.LBB371_20:                             ;   in Loop: Header=BB371_5 Depth=1
	s_or_b32 exec_lo, exec_lo, s20
	v_mov_b32_e32 v8, s21
	s_and_saveexec_b32 s20, s19
.LBB371_21:                             ;   in Loop: Header=BB371_5 Depth=1
	v_lshrrev_b32_e32 v8, 24, v9
	s_delay_alu instid0(VALU_DEP_1)
	v_and_or_b32 v8, 0x80, v8, v10
.LBB371_22:                             ;   in Loop: Header=BB371_5 Depth=1
	s_or_b32 exec_lo, exec_lo, s20
.LBB371_23:                             ;   in Loop: Header=BB371_5 Depth=1
	s_delay_alu instid0(SALU_CYCLE_1) | instskip(SKIP_3) | instid1(VALU_DEP_1)
	s_or_b32 exec_lo, exec_lo, s2
	s_waitcnt vmcnt(0)
	v_cvt_f32_f64_e32 v5, v[5:6]
	s_mov_b32 s2, exec_lo
	v_and_b32_e32 v6, 0x7fffffff, v5
	s_delay_alu instid0(VALU_DEP_1)
	v_cmpx_gt_u32_e32 0x43800000, v6
	s_cbranch_execz .LBB371_4
; %bb.24:                               ;   in Loop: Header=BB371_5 Depth=1
	v_cmp_lt_u32_e32 vcc_lo, 0x3bffffff, v6
	s_mov_b32 s19, 0
                                        ; implicit-def: $vgpr6
	s_and_saveexec_b32 s20, vcc_lo
	s_delay_alu instid0(SALU_CYCLE_1)
	s_xor_b32 s20, exec_lo, s20
	s_cbranch_execnz .LBB371_33
; %bb.25:                               ;   in Loop: Header=BB371_5 Depth=1
	s_or_saveexec_b32 s20, s20
                                        ; implicit-def: $sgpr21
	s_delay_alu instid0(SALU_CYCLE_1)
	s_xor_b32 exec_lo, exec_lo, s20
	s_cbranch_execnz .LBB371_34
.LBB371_26:                             ;   in Loop: Header=BB371_5 Depth=1
	s_or_b32 exec_lo, exec_lo, s20
	v_mov_b32_e32 v7, s21
	s_and_saveexec_b32 s20, s19
	s_cbranch_execz .LBB371_3
	s_branch .LBB371_35
.LBB371_27:                             ;   in Loop: Header=BB371_5 Depth=1
	v_bfe_u32 v11, v13, 20, 1
	s_mov_b32 s19, exec_lo
	s_delay_alu instid0(VALU_DEP_1) | instskip(NEXT) | instid1(VALU_DEP_1)
	v_add3_u32 v11, v13, v11, 0x487ffff
	v_lshrrev_b32_e32 v14, 20, v11
	s_or_saveexec_b32 s20, s20
                                        ; implicit-def: $sgpr21
	s_delay_alu instid0(SALU_CYCLE_1)
	s_xor_b32 exec_lo, exec_lo, s20
	s_cbranch_execz .LBB371_8
.LBB371_28:                             ;   in Loop: Header=BB371_5 Depth=1
	v_add_f32_e64 v11, 0x46000000, |v13|
	s_and_not1_b32 s19, s19, exec_lo
	s_mov_b32 s21, 0
	s_delay_alu instid0(VALU_DEP_1) | instskip(NEXT) | instid1(VALU_DEP_1)
	v_and_b32_e32 v14, 0xff, v11
	v_cmp_ne_u32_e32 vcc_lo, 0, v14
	s_and_b32 s22, vcc_lo, exec_lo
	s_delay_alu instid0(SALU_CYCLE_1)
	s_or_b32 s19, s19, s22
	s_or_b32 exec_lo, exec_lo, s20
	v_mov_b32_e32 v11, s21
	s_and_saveexec_b32 s20, s19
	s_cbranch_execnz .LBB371_9
	s_branch .LBB371_10
.LBB371_29:                             ;   in Loop: Header=BB371_5 Depth=1
	v_bfe_u32 v10, v9, 20, 1
	s_mov_b32 s19, exec_lo
	s_delay_alu instid0(VALU_DEP_1) | instskip(NEXT) | instid1(VALU_DEP_1)
	v_add3_u32 v10, v9, v10, 0x487ffff
	v_lshrrev_b32_e32 v10, 20, v10
	s_or_saveexec_b32 s20, s20
                                        ; implicit-def: $sgpr21
	s_delay_alu instid0(SALU_CYCLE_1)
	s_xor_b32 exec_lo, exec_lo, s20
	s_cbranch_execz .LBB371_14
.LBB371_30:                             ;   in Loop: Header=BB371_5 Depth=1
	v_add_f32_e64 v10, 0x46000000, |v9|
	s_and_not1_b32 s19, s19, exec_lo
	s_mov_b32 s21, 0
	s_delay_alu instid0(VALU_DEP_1) | instskip(NEXT) | instid1(VALU_DEP_1)
	v_and_b32_e32 v10, 0xff, v10
	v_cmp_ne_u32_e32 vcc_lo, 0, v10
	s_and_b32 s22, vcc_lo, exec_lo
	s_delay_alu instid0(SALU_CYCLE_1)
	s_or_b32 s19, s19, s22
	s_or_b32 exec_lo, exec_lo, s20
	v_mov_b32_e32 v12, s21
	s_and_saveexec_b32 s20, s19
	s_cbranch_execnz .LBB371_15
	s_branch .LBB371_16
.LBB371_31:                             ;   in Loop: Header=BB371_5 Depth=1
	v_bfe_u32 v8, v9, 20, 1
	s_mov_b32 s19, exec_lo
	s_delay_alu instid0(VALU_DEP_1) | instskip(NEXT) | instid1(VALU_DEP_1)
	v_add3_u32 v8, v9, v8, 0x487ffff
	v_lshrrev_b32_e32 v10, 20, v8
	s_or_saveexec_b32 s20, s20
                                        ; implicit-def: $sgpr21
	s_delay_alu instid0(SALU_CYCLE_1)
	s_xor_b32 exec_lo, exec_lo, s20
	s_cbranch_execz .LBB371_20
.LBB371_32:                             ;   in Loop: Header=BB371_5 Depth=1
	v_add_f32_e64 v8, 0x46000000, |v9|
	s_and_not1_b32 s19, s19, exec_lo
	s_mov_b32 s21, 0
	s_delay_alu instid0(VALU_DEP_1) | instskip(NEXT) | instid1(VALU_DEP_1)
	v_and_b32_e32 v10, 0xff, v8
	v_cmp_ne_u32_e32 vcc_lo, 0, v10
	s_and_b32 s22, vcc_lo, exec_lo
	s_delay_alu instid0(SALU_CYCLE_1)
	s_or_b32 s19, s19, s22
	s_or_b32 exec_lo, exec_lo, s20
	v_mov_b32_e32 v8, s21
	s_and_saveexec_b32 s20, s19
	s_cbranch_execnz .LBB371_21
	s_branch .LBB371_22
.LBB371_33:                             ;   in Loop: Header=BB371_5 Depth=1
	v_bfe_u32 v6, v5, 20, 1
	s_mov_b32 s19, exec_lo
	s_delay_alu instid0(VALU_DEP_1) | instskip(NEXT) | instid1(VALU_DEP_1)
	v_add3_u32 v6, v5, v6, 0x487ffff
	v_lshrrev_b32_e32 v6, 20, v6
	s_or_saveexec_b32 s20, s20
                                        ; implicit-def: $sgpr21
	s_delay_alu instid0(SALU_CYCLE_1)
	s_xor_b32 exec_lo, exec_lo, s20
	s_cbranch_execz .LBB371_26
.LBB371_34:                             ;   in Loop: Header=BB371_5 Depth=1
	v_add_f32_e64 v6, 0x46000000, |v5|
	s_and_not1_b32 s19, s19, exec_lo
	s_mov_b32 s21, 0
	s_delay_alu instid0(VALU_DEP_1) | instskip(NEXT) | instid1(VALU_DEP_1)
	v_and_b32_e32 v6, 0xff, v6
	v_cmp_ne_u32_e32 vcc_lo, 0, v6
	s_and_b32 s22, vcc_lo, exec_lo
	s_delay_alu instid0(SALU_CYCLE_1)
	s_or_b32 s19, s19, s22
	s_or_b32 exec_lo, exec_lo, s20
	v_mov_b32_e32 v7, s21
	s_and_saveexec_b32 s20, s19
	s_cbranch_execz .LBB371_3
.LBB371_35:                             ;   in Loop: Header=BB371_5 Depth=1
	v_lshrrev_b32_e32 v5, 24, v5
	s_delay_alu instid0(VALU_DEP_1)
	v_and_or_b32 v7, 0x80, v5, v6
	s_branch .LBB371_3
.LBB371_36:
	s_or_b32 exec_lo, exec_lo, s3
	s_mov_b32 s2, 0
.LBB371_37:
	s_delay_alu instid0(SALU_CYCLE_1)
	s_and_not1_b32 vcc_lo, exec_lo, s2
	s_cbranch_vccnz .LBB371_89
; %bb.38:
	v_cmp_lt_i64_e64 s2, s[4:5], 1
	s_delay_alu instid0(VALU_DEP_1)
	s_and_b32 vcc_lo, exec_lo, s2
	s_cbranch_vccnz .LBB371_89
; %bb.39:
	s_load_b32 s0, s[0:1], 0xc5c
	v_cmp_gt_u64_e64 s1, 0x10000, s[4:5]
	v_add_co_u32 v7, s2, s8, v0
	v_lshlrev_b32_e32 v1, 4, v0
	v_add_co_ci_u32_e64 v8, null, s9, 0, s2
	v_mov_b32_e32 v5, 0
	v_mov_b32_e32 v6, 0
	v_add_co_u32 v21, vcc_lo, s6, v7
	s_delay_alu instid0(VALU_DEP_4) | instskip(NEXT) | instid1(VALU_DEP_3)
	v_add_co_ci_u32_e32 v22, vcc_lo, s7, v8, vcc_lo
	v_dual_mov_b32 v12, v6 :: v_dual_mov_b32 v11, v5
	v_dual_mov_b32 v10, v6 :: v_dual_mov_b32 v9, v5
	s_waitcnt lgkmcnt(0)
	s_and_b32 s0, s0, 0xffff
	s_and_b32 s1, s1, exec_lo
	s_cselect_b32 s3, s5, 0
	s_cselect_b32 s2, s4, 0x10000
	s_lshl_b64 s[10:11], s[10:11], 20
	s_lshl_b32 s14, s0, 1
	s_lshl_b32 s1, s0, 2
	s_add_u32 s12, s12, s10
	s_mul_i32 s15, s0, 3
	s_addc_u32 s13, s13, s11
	s_lshl_b32 s10, s0, 6
	v_add_co_u32 v1, s16, s12, v1
	s_add_u32 s11, s8, s15
	v_add_co_ci_u32_e64 v2, null, s13, 0, s16
	s_addc_u32 s16, s9, 0
	s_add_u32 s11, s6, s11
	s_addc_u32 s16, s7, s16
	v_add_co_u32 v23, s11, s11, v0
	s_delay_alu instid0(VALU_DEP_1)
	v_add_co_ci_u32_e64 v24, null, s16, 0, s11
	v_add_co_u32 v25, s11, s15, v0
	v_add_co_u32 v27, s15, v0, s0
	v_add_co_ci_u32_e64 v26, null, 0, 0, s11
	s_lshl_b32 s11, s0, 5
	s_add_u32 s8, s8, s14
	s_addc_u32 s9, s9, 0
	s_add_u32 s8, s6, s8
	s_addc_u32 s9, s7, s9
	v_lshlrev_b32_e32 v3, 4, v27
	v_add_co_u32 v28, s8, s8, v0
	s_add_u32 s6, s6, s0
	v_add_co_ci_u32_e64 v29, null, s9, 0, s8
	v_add_co_u32 v31, s8, s14, v0
	s_addc_u32 s7, s7, 0
	v_add_co_u32 v33, vcc_lo, s6, v7
	v_add_co_ci_u32_e64 v32, null, 0, 0, s8
	v_add_co_u32 v3, s8, s12, v3
	v_add_co_ci_u32_e32 v34, vcc_lo, s7, v8, vcc_lo
	v_dual_mov_b32 v8, v6 :: v_dual_mov_b32 v7, v5
	v_add_co_ci_u32_e64 v30, null, 0, 0, s15
	v_add_co_ci_u32_e64 v4, null, s13, 0, s8
	s_mul_i32 s8, s0, 48
	s_mov_b64 s[6:7], 0
	s_branch .LBB371_41
.LBB371_40:                             ;   in Loop: Header=BB371_41 Depth=1
	s_or_b32 exec_lo, exec_lo, s0
	s_add_u32 s6, s6, s1
	s_addc_u32 s7, s7, 0
	v_add_co_u32 v1, vcc_lo, v1, s10
	v_cmp_ge_i64_e64 s0, s[6:7], s[4:5]
	v_cmp_lt_u64_e64 s9, 0xffff, s[6:7]
	v_add_co_ci_u32_e32 v2, vcc_lo, 0, v2, vcc_lo
	v_add_co_u32 v3, vcc_lo, v3, s10
	v_add_co_ci_u32_e32 v4, vcc_lo, 0, v4, vcc_lo
	s_delay_alu instid0(VALU_DEP_4) | instskip(NEXT) | instid1(SALU_CYCLE_1)
	s_or_b32 s0, s0, s9
	s_and_b32 vcc_lo, exec_lo, s0
	s_cbranch_vccnz .LBB371_89
.LBB371_41:                             ; =>This Inner Loop Header: Depth=1
	v_add_co_u32 v13, s0, v0, s6
	s_delay_alu instid0(VALU_DEP_1) | instskip(NEXT) | instid1(VALU_DEP_1)
	v_add_co_ci_u32_e64 v14, null, 0, s7, s0
	v_cmp_gt_i64_e32 vcc_lo, s[4:5], v[13:14]
	v_cmp_gt_u64_e64 s0, 0x10000, v[13:14]
	s_delay_alu instid0(VALU_DEP_1) | instskip(NEXT) | instid1(SALU_CYCLE_1)
	s_and_b32 s9, vcc_lo, s0
	s_and_saveexec_b32 s0, s9
	s_cbranch_execz .LBB371_43
; %bb.42:                               ;   in Loop: Header=BB371_41 Depth=1
	global_load_b64 v[9:10], v[1:2], off
.LBB371_43:                             ;   in Loop: Header=BB371_41 Depth=1
	s_or_b32 exec_lo, exec_lo, s0
	v_add_co_u32 v15, vcc_lo, v27, s6
	v_add_co_ci_u32_e32 v16, vcc_lo, s7, v30, vcc_lo
	s_delay_alu instid0(VALU_DEP_1) | instskip(SKIP_1) | instid1(VALU_DEP_1)
	v_cmp_gt_i64_e32 vcc_lo, s[4:5], v[15:16]
	v_cmp_gt_u64_e64 s0, 0x10000, v[15:16]
	s_and_b32 s9, vcc_lo, s0
	s_delay_alu instid0(SALU_CYCLE_1)
	s_and_saveexec_b32 s0, s9
	s_cbranch_execz .LBB371_45
; %bb.44:                               ;   in Loop: Header=BB371_41 Depth=1
	global_load_b64 v[7:8], v[3:4], off
.LBB371_45:                             ;   in Loop: Header=BB371_41 Depth=1
	s_or_b32 exec_lo, exec_lo, s0
	v_add_co_u32 v17, vcc_lo, v31, s6
	v_add_co_ci_u32_e32 v18, vcc_lo, s7, v32, vcc_lo
	s_delay_alu instid0(VALU_DEP_1) | instskip(SKIP_1) | instid1(VALU_DEP_1)
	v_cmp_gt_i64_e32 vcc_lo, s[4:5], v[17:18]
	v_cmp_gt_u64_e64 s0, 0x10000, v[17:18]
	s_and_b32 s9, vcc_lo, s0
	s_delay_alu instid0(SALU_CYCLE_1)
	s_and_saveexec_b32 s0, s9
	s_cbranch_execz .LBB371_47
; %bb.46:                               ;   in Loop: Header=BB371_41 Depth=1
	v_add_co_u32 v11, vcc_lo, v1, s11
	v_add_co_ci_u32_e32 v12, vcc_lo, 0, v2, vcc_lo
	global_load_b64 v[11:12], v[11:12], off
.LBB371_47:                             ;   in Loop: Header=BB371_41 Depth=1
	s_or_b32 exec_lo, exec_lo, s0
	v_add_co_u32 v19, vcc_lo, v25, s6
	v_add_co_ci_u32_e32 v20, vcc_lo, s7, v26, vcc_lo
	s_delay_alu instid0(VALU_DEP_1) | instskip(SKIP_1) | instid1(VALU_DEP_1)
	v_cmp_gt_i64_e32 vcc_lo, s[4:5], v[19:20]
	v_cmp_gt_u64_e64 s0, 0x10000, v[19:20]
	s_and_b32 s9, vcc_lo, s0
	s_delay_alu instid0(SALU_CYCLE_1)
	s_and_saveexec_b32 s0, s9
	s_cbranch_execz .LBB371_49
; %bb.48:                               ;   in Loop: Header=BB371_41 Depth=1
	v_add_co_u32 v5, vcc_lo, v1, s8
	v_add_co_ci_u32_e32 v6, vcc_lo, 0, v2, vcc_lo
	global_load_b64 v[5:6], v[5:6], off
.LBB371_49:                             ;   in Loop: Header=BB371_41 Depth=1
	s_or_b32 exec_lo, exec_lo, s0
	s_waitcnt vmcnt(0)
	v_cvt_f32_f64_e32 v37, v[9:10]
	v_dual_mov_b32 v35, 0x80 :: v_dual_mov_b32 v36, 0x80
	s_mov_b32 s0, exec_lo
	s_delay_alu instid0(VALU_DEP_2) | instskip(NEXT) | instid1(VALU_DEP_1)
	v_and_b32_e32 v38, 0x7fffffff, v37
	v_cmpx_gt_u32_e32 0x43800000, v38
	s_cbranch_execz .LBB371_55
; %bb.50:                               ;   in Loop: Header=BB371_41 Depth=1
	v_cmp_lt_u32_e32 vcc_lo, 0x3bffffff, v38
	s_mov_b32 s9, 0
                                        ; implicit-def: $vgpr38
	s_and_saveexec_b32 s12, vcc_lo
	s_delay_alu instid0(SALU_CYCLE_1)
	s_xor_b32 s12, exec_lo, s12
	s_cbranch_execnz .LBB371_81
; %bb.51:                               ;   in Loop: Header=BB371_41 Depth=1
	s_or_saveexec_b32 s12, s12
                                        ; implicit-def: $sgpr13
	s_delay_alu instid0(SALU_CYCLE_1)
	s_xor_b32 exec_lo, exec_lo, s12
	s_cbranch_execnz .LBB371_82
.LBB371_52:                             ;   in Loop: Header=BB371_41 Depth=1
	s_or_b32 exec_lo, exec_lo, s12
	v_mov_b32_e32 v36, s13
	s_and_saveexec_b32 s12, s9
.LBB371_53:                             ;   in Loop: Header=BB371_41 Depth=1
	v_lshrrev_b32_e32 v36, 24, v37
	s_delay_alu instid0(VALU_DEP_1)
	v_and_or_b32 v36, 0x80, v36, v38
.LBB371_54:                             ;   in Loop: Header=BB371_41 Depth=1
	s_or_b32 exec_lo, exec_lo, s12
.LBB371_55:                             ;   in Loop: Header=BB371_41 Depth=1
	s_delay_alu instid0(SALU_CYCLE_1) | instskip(SKIP_2) | instid1(VALU_DEP_1)
	s_or_b32 exec_lo, exec_lo, s0
	v_cvt_f32_f64_e32 v37, v[7:8]
	s_mov_b32 s0, exec_lo
	v_and_b32_e32 v38, 0x7fffffff, v37
	s_delay_alu instid0(VALU_DEP_1)
	v_cmpx_gt_u32_e32 0x43800000, v38
	s_cbranch_execz .LBB371_61
; %bb.56:                               ;   in Loop: Header=BB371_41 Depth=1
	v_cmp_lt_u32_e32 vcc_lo, 0x3bffffff, v38
	s_mov_b32 s9, 0
                                        ; implicit-def: $vgpr38
	s_and_saveexec_b32 s12, vcc_lo
	s_delay_alu instid0(SALU_CYCLE_1)
	s_xor_b32 s12, exec_lo, s12
	s_cbranch_execnz .LBB371_83
; %bb.57:                               ;   in Loop: Header=BB371_41 Depth=1
	s_or_saveexec_b32 s12, s12
                                        ; implicit-def: $sgpr13
	s_delay_alu instid0(SALU_CYCLE_1)
	s_xor_b32 exec_lo, exec_lo, s12
	s_cbranch_execnz .LBB371_84
.LBB371_58:                             ;   in Loop: Header=BB371_41 Depth=1
	s_or_b32 exec_lo, exec_lo, s12
	v_mov_b32_e32 v35, s13
	s_and_saveexec_b32 s12, s9
.LBB371_59:                             ;   in Loop: Header=BB371_41 Depth=1
	v_lshrrev_b32_e32 v35, 24, v37
	s_delay_alu instid0(VALU_DEP_1)
	v_and_or_b32 v35, 0x80, v35, v38
.LBB371_60:                             ;   in Loop: Header=BB371_41 Depth=1
	s_or_b32 exec_lo, exec_lo, s12
.LBB371_61:                             ;   in Loop: Header=BB371_41 Depth=1
	s_delay_alu instid0(SALU_CYCLE_1) | instskip(SKIP_3) | instid1(VALU_DEP_2)
	s_or_b32 exec_lo, exec_lo, s0
	v_cvt_f32_f64_e32 v39, v[11:12]
	v_dual_mov_b32 v37, 0x80 :: v_dual_mov_b32 v38, 0x80
	s_mov_b32 s0, exec_lo
	v_and_b32_e32 v40, 0x7fffffff, v39
	s_delay_alu instid0(VALU_DEP_1)
	v_cmpx_gt_u32_e32 0x43800000, v40
	s_cbranch_execz .LBB371_67
; %bb.62:                               ;   in Loop: Header=BB371_41 Depth=1
	v_cmp_lt_u32_e32 vcc_lo, 0x3bffffff, v40
	s_mov_b32 s9, 0
                                        ; implicit-def: $vgpr40
	s_and_saveexec_b32 s12, vcc_lo
	s_delay_alu instid0(SALU_CYCLE_1)
	s_xor_b32 s12, exec_lo, s12
	s_cbranch_execnz .LBB371_85
; %bb.63:                               ;   in Loop: Header=BB371_41 Depth=1
	s_or_saveexec_b32 s12, s12
                                        ; implicit-def: $sgpr13
	s_delay_alu instid0(SALU_CYCLE_1)
	s_xor_b32 exec_lo, exec_lo, s12
	s_cbranch_execnz .LBB371_86
.LBB371_64:                             ;   in Loop: Header=BB371_41 Depth=1
	s_or_b32 exec_lo, exec_lo, s12
	v_mov_b32_e32 v38, s13
	s_and_saveexec_b32 s12, s9
.LBB371_65:                             ;   in Loop: Header=BB371_41 Depth=1
	v_lshrrev_b32_e32 v38, 24, v39
	s_delay_alu instid0(VALU_DEP_1)
	v_and_or_b32 v38, 0x80, v38, v40
.LBB371_66:                             ;   in Loop: Header=BB371_41 Depth=1
	s_or_b32 exec_lo, exec_lo, s12
.LBB371_67:                             ;   in Loop: Header=BB371_41 Depth=1
	s_delay_alu instid0(SALU_CYCLE_1) | instskip(SKIP_2) | instid1(VALU_DEP_1)
	s_or_b32 exec_lo, exec_lo, s0
	v_cvt_f32_f64_e32 v39, v[5:6]
	s_mov_b32 s0, exec_lo
	v_and_b32_e32 v40, 0x7fffffff, v39
	s_delay_alu instid0(VALU_DEP_1)
	v_cmpx_gt_u32_e32 0x43800000, v40
	s_cbranch_execz .LBB371_73
; %bb.68:                               ;   in Loop: Header=BB371_41 Depth=1
	v_cmp_lt_u32_e32 vcc_lo, 0x3bffffff, v40
	s_mov_b32 s9, 0
                                        ; implicit-def: $vgpr40
	s_and_saveexec_b32 s12, vcc_lo
	s_delay_alu instid0(SALU_CYCLE_1)
	s_xor_b32 s12, exec_lo, s12
	s_cbranch_execnz .LBB371_87
; %bb.69:                               ;   in Loop: Header=BB371_41 Depth=1
	s_or_saveexec_b32 s12, s12
                                        ; implicit-def: $sgpr13
	s_delay_alu instid0(SALU_CYCLE_1)
	s_xor_b32 exec_lo, exec_lo, s12
	s_cbranch_execnz .LBB371_88
.LBB371_70:                             ;   in Loop: Header=BB371_41 Depth=1
	s_or_b32 exec_lo, exec_lo, s12
	v_mov_b32_e32 v37, s13
	s_and_saveexec_b32 s12, s9
.LBB371_71:                             ;   in Loop: Header=BB371_41 Depth=1
	v_lshrrev_b32_e32 v37, 24, v39
	s_delay_alu instid0(VALU_DEP_1)
	v_and_or_b32 v37, 0x80, v37, v40
.LBB371_72:                             ;   in Loop: Header=BB371_41 Depth=1
	s_or_b32 exec_lo, exec_lo, s12
.LBB371_73:                             ;   in Loop: Header=BB371_41 Depth=1
	s_delay_alu instid0(SALU_CYCLE_1) | instskip(NEXT) | instid1(SALU_CYCLE_1)
	s_or_b32 exec_lo, exec_lo, s0
	s_mov_b32 s0, exec_lo
	v_cmpx_gt_u64_e64 s[2:3], v[13:14]
	s_xor_b32 s0, exec_lo, s0
	s_cbranch_execnz .LBB371_77
; %bb.74:                               ;   in Loop: Header=BB371_41 Depth=1
	s_or_b32 exec_lo, exec_lo, s0
	s_delay_alu instid0(SALU_CYCLE_1)
	s_mov_b32 s0, exec_lo
	v_cmpx_gt_u64_e64 s[2:3], v[15:16]
	s_cbranch_execnz .LBB371_78
.LBB371_75:                             ;   in Loop: Header=BB371_41 Depth=1
	s_or_b32 exec_lo, exec_lo, s0
	s_delay_alu instid0(SALU_CYCLE_1)
	s_mov_b32 s0, exec_lo
	v_cmpx_gt_u64_e64 s[2:3], v[17:18]
	s_cbranch_execnz .LBB371_79
.LBB371_76:                             ;   in Loop: Header=BB371_41 Depth=1
	s_or_b32 exec_lo, exec_lo, s0
	s_delay_alu instid0(SALU_CYCLE_1)
	s_mov_b32 s0, exec_lo
	v_cmpx_gt_u64_e64 s[2:3], v[19:20]
	s_cbranch_execz .LBB371_40
	s_branch .LBB371_80
.LBB371_77:                             ;   in Loop: Header=BB371_41 Depth=1
	v_add_co_u32 v13, vcc_lo, v21, s6
	v_add_co_ci_u32_e32 v14, vcc_lo, s7, v22, vcc_lo
	global_store_b8 v[13:14], v36, off
	s_or_b32 exec_lo, exec_lo, s0
	s_delay_alu instid0(SALU_CYCLE_1)
	s_mov_b32 s0, exec_lo
	v_cmpx_gt_u64_e64 s[2:3], v[15:16]
	s_cbranch_execz .LBB371_75
.LBB371_78:                             ;   in Loop: Header=BB371_41 Depth=1
	v_add_co_u32 v13, vcc_lo, v33, s6
	v_add_co_ci_u32_e32 v14, vcc_lo, s7, v34, vcc_lo
	global_store_b8 v[13:14], v35, off
	s_or_b32 exec_lo, exec_lo, s0
	s_delay_alu instid0(SALU_CYCLE_1)
	s_mov_b32 s0, exec_lo
	v_cmpx_gt_u64_e64 s[2:3], v[17:18]
	s_cbranch_execz .LBB371_76
.LBB371_79:                             ;   in Loop: Header=BB371_41 Depth=1
	v_add_co_u32 v13, vcc_lo, v28, s6
	v_add_co_ci_u32_e32 v14, vcc_lo, s7, v29, vcc_lo
	global_store_b8 v[13:14], v38, off
	s_or_b32 exec_lo, exec_lo, s0
	s_delay_alu instid0(SALU_CYCLE_1)
	s_mov_b32 s0, exec_lo
	v_cmpx_gt_u64_e64 s[2:3], v[19:20]
	s_cbranch_execz .LBB371_40
.LBB371_80:                             ;   in Loop: Header=BB371_41 Depth=1
	v_add_co_u32 v13, vcc_lo, v23, s6
	v_add_co_ci_u32_e32 v14, vcc_lo, s7, v24, vcc_lo
	global_store_b8 v[13:14], v37, off
	s_branch .LBB371_40
.LBB371_81:                             ;   in Loop: Header=BB371_41 Depth=1
	v_bfe_u32 v36, v37, 20, 1
	s_mov_b32 s9, exec_lo
	s_delay_alu instid0(VALU_DEP_1) | instskip(NEXT) | instid1(VALU_DEP_1)
	v_add3_u32 v36, v37, v36, 0x487ffff
	v_lshrrev_b32_e32 v38, 20, v36
	s_or_saveexec_b32 s12, s12
                                        ; implicit-def: $sgpr13
	s_delay_alu instid0(SALU_CYCLE_1)
	s_xor_b32 exec_lo, exec_lo, s12
	s_cbranch_execz .LBB371_52
.LBB371_82:                             ;   in Loop: Header=BB371_41 Depth=1
	v_add_f32_e64 v36, 0x46000000, |v37|
	s_and_not1_b32 s9, s9, exec_lo
	s_mov_b32 s13, 0
	s_delay_alu instid0(VALU_DEP_1) | instskip(NEXT) | instid1(VALU_DEP_1)
	v_and_b32_e32 v38, 0xff, v36
	v_cmp_ne_u32_e32 vcc_lo, 0, v38
	s_and_b32 s14, vcc_lo, exec_lo
	s_delay_alu instid0(SALU_CYCLE_1)
	s_or_b32 s9, s9, s14
	s_or_b32 exec_lo, exec_lo, s12
	v_mov_b32_e32 v36, s13
	s_and_saveexec_b32 s12, s9
	s_cbranch_execnz .LBB371_53
	s_branch .LBB371_54
.LBB371_83:                             ;   in Loop: Header=BB371_41 Depth=1
	v_bfe_u32 v35, v37, 20, 1
	s_mov_b32 s9, exec_lo
	s_delay_alu instid0(VALU_DEP_1) | instskip(NEXT) | instid1(VALU_DEP_1)
	v_add3_u32 v35, v37, v35, 0x487ffff
	v_lshrrev_b32_e32 v38, 20, v35
	s_or_saveexec_b32 s12, s12
                                        ; implicit-def: $sgpr13
	s_delay_alu instid0(SALU_CYCLE_1)
	s_xor_b32 exec_lo, exec_lo, s12
	s_cbranch_execz .LBB371_58
.LBB371_84:                             ;   in Loop: Header=BB371_41 Depth=1
	v_add_f32_e64 v35, 0x46000000, |v37|
	s_and_not1_b32 s9, s9, exec_lo
	s_mov_b32 s13, 0
	s_delay_alu instid0(VALU_DEP_1) | instskip(NEXT) | instid1(VALU_DEP_1)
	v_and_b32_e32 v38, 0xff, v35
	v_cmp_ne_u32_e32 vcc_lo, 0, v38
	s_and_b32 s14, vcc_lo, exec_lo
	s_delay_alu instid0(SALU_CYCLE_1)
	s_or_b32 s9, s9, s14
	s_or_b32 exec_lo, exec_lo, s12
	v_mov_b32_e32 v35, s13
	s_and_saveexec_b32 s12, s9
	s_cbranch_execnz .LBB371_59
	s_branch .LBB371_60
.LBB371_85:                             ;   in Loop: Header=BB371_41 Depth=1
	v_bfe_u32 v38, v39, 20, 1
	s_mov_b32 s9, exec_lo
	s_delay_alu instid0(VALU_DEP_1) | instskip(NEXT) | instid1(VALU_DEP_1)
	v_add3_u32 v38, v39, v38, 0x487ffff
	v_lshrrev_b32_e32 v40, 20, v38
	s_or_saveexec_b32 s12, s12
                                        ; implicit-def: $sgpr13
	s_delay_alu instid0(SALU_CYCLE_1)
	s_xor_b32 exec_lo, exec_lo, s12
	s_cbranch_execz .LBB371_64
.LBB371_86:                             ;   in Loop: Header=BB371_41 Depth=1
	v_add_f32_e64 v38, 0x46000000, |v39|
	s_and_not1_b32 s9, s9, exec_lo
	s_mov_b32 s13, 0
	s_delay_alu instid0(VALU_DEP_1) | instskip(NEXT) | instid1(VALU_DEP_1)
	v_and_b32_e32 v40, 0xff, v38
	v_cmp_ne_u32_e32 vcc_lo, 0, v40
	s_and_b32 s14, vcc_lo, exec_lo
	s_delay_alu instid0(SALU_CYCLE_1)
	s_or_b32 s9, s9, s14
	s_or_b32 exec_lo, exec_lo, s12
	v_mov_b32_e32 v38, s13
	s_and_saveexec_b32 s12, s9
	s_cbranch_execnz .LBB371_65
	s_branch .LBB371_66
.LBB371_87:                             ;   in Loop: Header=BB371_41 Depth=1
	v_bfe_u32 v37, v39, 20, 1
	s_mov_b32 s9, exec_lo
	s_delay_alu instid0(VALU_DEP_1) | instskip(NEXT) | instid1(VALU_DEP_1)
	v_add3_u32 v37, v39, v37, 0x487ffff
	v_lshrrev_b32_e32 v40, 20, v37
	s_or_saveexec_b32 s12, s12
                                        ; implicit-def: $sgpr13
	s_delay_alu instid0(SALU_CYCLE_1)
	s_xor_b32 exec_lo, exec_lo, s12
	s_cbranch_execz .LBB371_70
.LBB371_88:                             ;   in Loop: Header=BB371_41 Depth=1
	v_add_f32_e64 v37, 0x46000000, |v39|
	s_and_not1_b32 s9, s9, exec_lo
	s_mov_b32 s13, 0
	s_delay_alu instid0(VALU_DEP_1) | instskip(NEXT) | instid1(VALU_DEP_1)
	v_and_b32_e32 v40, 0xff, v37
	v_cmp_ne_u32_e32 vcc_lo, 0, v40
	s_and_b32 s14, vcc_lo, exec_lo
	s_delay_alu instid0(SALU_CYCLE_1)
	s_or_b32 s9, s9, s14
	s_or_b32 exec_lo, exec_lo, s12
	v_mov_b32_e32 v37, s13
	s_and_saveexec_b32 s12, s9
	s_cbranch_execnz .LBB371_71
	s_branch .LBB371_72
.LBB371_89:
	s_nop 0
	s_sendmsg sendmsg(MSG_DEALLOC_VGPRS)
	s_endpgm
	.section	.rodata,"a",@progbits
	.p2align	6, 0x0
	.amdhsa_kernel _ZN2at6native12_GLOBAL__N_125multi_tensor_apply_kernelINS1_18TensorListMetadataILi2EEENS1_11CopyFunctorIN3c1015Float8_e4m3fnuzENS6_7complexIdEELi2ELi1ELi1EEEJNS0_4CopyIS7_S9_EEEEEvT_T0_DpT1_
		.amdhsa_group_segment_fixed_size 0
		.amdhsa_private_segment_fixed_size 0
		.amdhsa_kernarg_size 3408
		.amdhsa_user_sgpr_count 15
		.amdhsa_user_sgpr_dispatch_ptr 0
		.amdhsa_user_sgpr_queue_ptr 0
		.amdhsa_user_sgpr_kernarg_segment_ptr 1
		.amdhsa_user_sgpr_dispatch_id 0
		.amdhsa_user_sgpr_private_segment_size 0
		.amdhsa_wavefront_size32 1
		.amdhsa_uses_dynamic_stack 0
		.amdhsa_enable_private_segment 0
		.amdhsa_system_sgpr_workgroup_id_x 1
		.amdhsa_system_sgpr_workgroup_id_y 0
		.amdhsa_system_sgpr_workgroup_id_z 0
		.amdhsa_system_sgpr_workgroup_info 0
		.amdhsa_system_vgpr_workitem_id 0
		.amdhsa_next_free_vgpr 41
		.amdhsa_next_free_sgpr 23
		.amdhsa_reserve_vcc 1
		.amdhsa_float_round_mode_32 0
		.amdhsa_float_round_mode_16_64 0
		.amdhsa_float_denorm_mode_32 3
		.amdhsa_float_denorm_mode_16_64 3
		.amdhsa_dx10_clamp 1
		.amdhsa_ieee_mode 1
		.amdhsa_fp16_overflow 0
		.amdhsa_workgroup_processor_mode 1
		.amdhsa_memory_ordered 1
		.amdhsa_forward_progress 0
		.amdhsa_shared_vgpr_count 0
		.amdhsa_exception_fp_ieee_invalid_op 0
		.amdhsa_exception_fp_denorm_src 0
		.amdhsa_exception_fp_ieee_div_zero 0
		.amdhsa_exception_fp_ieee_overflow 0
		.amdhsa_exception_fp_ieee_underflow 0
		.amdhsa_exception_fp_ieee_inexact 0
		.amdhsa_exception_int_div_zero 0
	.end_amdhsa_kernel
	.section	.text._ZN2at6native12_GLOBAL__N_125multi_tensor_apply_kernelINS1_18TensorListMetadataILi2EEENS1_11CopyFunctorIN3c1015Float8_e4m3fnuzENS6_7complexIdEELi2ELi1ELi1EEEJNS0_4CopyIS7_S9_EEEEEvT_T0_DpT1_,"axG",@progbits,_ZN2at6native12_GLOBAL__N_125multi_tensor_apply_kernelINS1_18TensorListMetadataILi2EEENS1_11CopyFunctorIN3c1015Float8_e4m3fnuzENS6_7complexIdEELi2ELi1ELi1EEEJNS0_4CopyIS7_S9_EEEEEvT_T0_DpT1_,comdat
.Lfunc_end371:
	.size	_ZN2at6native12_GLOBAL__N_125multi_tensor_apply_kernelINS1_18TensorListMetadataILi2EEENS1_11CopyFunctorIN3c1015Float8_e4m3fnuzENS6_7complexIdEELi2ELi1ELi1EEEJNS0_4CopyIS7_S9_EEEEEvT_T0_DpT1_, .Lfunc_end371-_ZN2at6native12_GLOBAL__N_125multi_tensor_apply_kernelINS1_18TensorListMetadataILi2EEENS1_11CopyFunctorIN3c1015Float8_e4m3fnuzENS6_7complexIdEELi2ELi1ELi1EEEJNS0_4CopyIS7_S9_EEEEEvT_T0_DpT1_
                                        ; -- End function
	.section	.AMDGPU.csdata,"",@progbits
; Kernel info:
; codeLenInByte = 3368
; NumSgprs: 25
; NumVgprs: 41
; ScratchSize: 0
; MemoryBound: 0
; FloatMode: 240
; IeeeMode: 1
; LDSByteSize: 0 bytes/workgroup (compile time only)
; SGPRBlocks: 3
; VGPRBlocks: 5
; NumSGPRsForWavesPerEU: 25
; NumVGPRsForWavesPerEU: 41
; Occupancy: 16
; WaveLimiterHint : 0
; COMPUTE_PGM_RSRC2:SCRATCH_EN: 0
; COMPUTE_PGM_RSRC2:USER_SGPR: 15
; COMPUTE_PGM_RSRC2:TRAP_HANDLER: 0
; COMPUTE_PGM_RSRC2:TGID_X_EN: 1
; COMPUTE_PGM_RSRC2:TGID_Y_EN: 0
; COMPUTE_PGM_RSRC2:TGID_Z_EN: 0
; COMPUTE_PGM_RSRC2:TIDIG_COMP_CNT: 0
	.section	.text._ZN2at6native12_GLOBAL__N_125multi_tensor_apply_kernelINS1_18TensorListMetadataILi2EEENS1_11CopyFunctorIN3c1015Float8_e4m3fnuzENS6_7complexIfEELi2ELi1ELi1EEEJNS0_4CopyIS7_S9_EEEEEvT_T0_DpT1_,"axG",@progbits,_ZN2at6native12_GLOBAL__N_125multi_tensor_apply_kernelINS1_18TensorListMetadataILi2EEENS1_11CopyFunctorIN3c1015Float8_e4m3fnuzENS6_7complexIfEELi2ELi1ELi1EEEJNS0_4CopyIS7_S9_EEEEEvT_T0_DpT1_,comdat
	.globl	_ZN2at6native12_GLOBAL__N_125multi_tensor_apply_kernelINS1_18TensorListMetadataILi2EEENS1_11CopyFunctorIN3c1015Float8_e4m3fnuzENS6_7complexIfEELi2ELi1ELi1EEEJNS0_4CopyIS7_S9_EEEEEvT_T0_DpT1_ ; -- Begin function _ZN2at6native12_GLOBAL__N_125multi_tensor_apply_kernelINS1_18TensorListMetadataILi2EEENS1_11CopyFunctorIN3c1015Float8_e4m3fnuzENS6_7complexIfEELi2ELi1ELi1EEEJNS0_4CopyIS7_S9_EEEEEvT_T0_DpT1_
	.p2align	8
	.type	_ZN2at6native12_GLOBAL__N_125multi_tensor_apply_kernelINS1_18TensorListMetadataILi2EEENS1_11CopyFunctorIN3c1015Float8_e4m3fnuzENS6_7complexIfEELi2ELi1ELi1EEEJNS0_4CopyIS7_S9_EEEEEvT_T0_DpT1_,@function
_ZN2at6native12_GLOBAL__N_125multi_tensor_apply_kernelINS1_18TensorListMetadataILi2EEENS1_11CopyFunctorIN3c1015Float8_e4m3fnuzENS6_7complexIfEELi2ELi1ELi1EEEJNS0_4CopyIS7_S9_EEEEEvT_T0_DpT1_: ; @_ZN2at6native12_GLOBAL__N_125multi_tensor_apply_kernelINS1_18TensorListMetadataILi2EEENS1_11CopyFunctorIN3c1015Float8_e4m3fnuzENS6_7complexIfEELi2ELi1ELi1EEEJNS0_4CopyIS7_S9_EEEEEvT_T0_DpT1_
; %bb.0:
	v_mov_b32_e32 v1, s15
	s_add_u32 s2, s0, s15
	s_mul_i32 s4, s15, 3
	s_addc_u32 s3, s1, 0
	s_mul_hi_u32 s5, s15, 3
	global_load_u8 v1, v1, s[0:1] offset:1536
	s_add_u32 s2, s2, s4
	s_addc_u32 s3, s3, s5
	s_mov_b32 s17, 0
	s_load_b32 s10, s[2:3], 0x740
	s_waitcnt lgkmcnt(0)
	s_ashr_i32 s11, s10, 31
	s_delay_alu instid0(SALU_CYCLE_1) | instskip(SKIP_2) | instid1(VALU_DEP_1)
	s_lshl_b64 s[8:9], s[10:11], 16
	s_waitcnt vmcnt(0)
	v_readfirstlane_b32 s4, v1
	s_lshl_b32 s4, s4, 3
	s_clause 0x2
	s_load_b64 s[6:7], s[0:1], s4 offset:0x200
	s_load_b64 s[2:3], s[0:1], s4 offset:0x400
	;; [unrolled: 1-line block ×3, first 2 shown]
	s_waitcnt lgkmcnt(0)
	s_add_u32 s14, s6, s8
	s_addc_u32 s15, s7, s9
	s_delay_alu instid0(SALU_CYCLE_1) | instskip(SKIP_2) | instid1(SALU_CYCLE_1)
	s_or_b64 s[4:5], s[2:3], s[14:15]
	s_and_b32 s5, s12, 31
	s_and_b32 s4, s4, 3
	s_or_b32 s16, s4, s5
	s_sub_u32 s4, s2, s8
	s_subb_u32 s5, s3, s9
	s_cmp_eq_u64 s[16:17], 0
	s_mov_b32 s2, -1
	s_cbranch_scc0 .LBB372_37
; %bb.1:
	v_dual_mov_b32 v2, 0 :: v_dual_lshlrev_b32 v1, 2, v0
	s_mov_b32 s3, exec_lo
	s_delay_alu instid0(VALU_DEP_1)
	v_cmpx_gt_i64_e64 s[4:5], v[1:2]
	s_cbranch_execz .LBB372_36
; %bb.2:
	s_load_b32 s2, s[0:1], 0xc5c
	v_lshlrev_b32_e32 v3, 5, v0
	s_lshl_b64 s[18:19], s[10:11], 19
	s_waitcnt lgkmcnt(0)
	s_and_b32 s2, s2, 0xffff
	s_delay_alu instid0(SALU_CYCLE_1) | instskip(SKIP_3) | instid1(VALU_DEP_1)
	s_lshl_b32 s16, s2, 2
	s_add_u32 s17, s12, s18
	s_addc_u32 s18, s13, s19
	v_add_co_u32 v3, s17, s17, v3
	v_add_co_ci_u32_e64 v4, null, s18, 0, s17
	s_mov_b32 s17, 0
	s_lshl_b32 s18, s2, 5
	s_branch .LBB372_5
.LBB372_3:                              ;   in Loop: Header=BB372_5 Depth=1
	s_or_b32 exec_lo, exec_lo, s20
.LBB372_4:                              ;   in Loop: Header=BB372_5 Depth=1
	s_delay_alu instid0(SALU_CYCLE_1)
	s_or_b32 exec_lo, exec_lo, s2
	v_add_co_u32 v11, vcc_lo, s14, v1
	v_add_co_ci_u32_e32 v12, vcc_lo, s15, v2, vcc_lo
	v_add_co_u32 v1, vcc_lo, s16, v1
	v_add_co_ci_u32_e32 v2, vcc_lo, 0, v2, vcc_lo
	v_lshlrev_b32_e32 v5, 16, v10
	v_lshlrev_b32_e32 v7, 8, v7
	v_and_b32_e32 v6, 0xff, v6
	s_delay_alu instid0(VALU_DEP_4) | instskip(SKIP_3) | instid1(VALU_DEP_3)
	v_cmp_le_i64_e32 vcc_lo, s[4:5], v[1:2]
	v_cmp_lt_u64_e64 s2, 0xffff, v[1:2]
	v_perm_b32 v5, v9, v5, 0x4020c0c
	v_and_b32_e32 v7, 0xff00, v7
	s_or_b32 s2, vcc_lo, s2
	v_add_co_u32 v3, vcc_lo, v3, s18
	s_delay_alu instid0(VALU_DEP_2) | instskip(SKIP_2) | instid1(SALU_CYCLE_1)
	v_or3_b32 v5, v5, v7, v6
	v_add_co_ci_u32_e32 v4, vcc_lo, 0, v4, vcc_lo
	s_and_b32 s2, exec_lo, s2
	s_or_b32 s17, s2, s17
	global_store_b32 v[11:12], v5, off
	s_and_not1_b32 exec_lo, exec_lo, s17
	s_cbranch_execz .LBB372_36
.LBB372_5:                              ; =>This Inner Loop Header: Depth=1
	s_clause 0x3
	global_load_b32 v10, v[3:4], off
	global_load_b32 v9, v[3:4], off offset:8
	global_load_b32 v8, v[3:4], off offset:16
	;; [unrolled: 1-line block ×3, first 2 shown]
	v_dual_mov_b32 v7, 0x80 :: v_dual_mov_b32 v6, 0x80
	s_mov_b32 s2, exec_lo
	s_waitcnt vmcnt(3)
	v_and_b32_e32 v11, 0x7fffffff, v10
	s_delay_alu instid0(VALU_DEP_1)
	v_cmpx_gt_u32_e32 0x43800000, v11
	s_cbranch_execz .LBB372_11
; %bb.6:                                ;   in Loop: Header=BB372_5 Depth=1
	v_cmp_lt_u32_e32 vcc_lo, 0x3bffffff, v11
	s_mov_b32 s19, 0
                                        ; implicit-def: $vgpr11
	s_and_saveexec_b32 s20, vcc_lo
	s_delay_alu instid0(SALU_CYCLE_1)
	s_xor_b32 s20, exec_lo, s20
	s_cbranch_execnz .LBB372_27
; %bb.7:                                ;   in Loop: Header=BB372_5 Depth=1
	s_or_saveexec_b32 s20, s20
                                        ; implicit-def: $sgpr21
	s_delay_alu instid0(SALU_CYCLE_1)
	s_xor_b32 exec_lo, exec_lo, s20
	s_cbranch_execnz .LBB372_28
.LBB372_8:                              ;   in Loop: Header=BB372_5 Depth=1
	s_or_b32 exec_lo, exec_lo, s20
	v_mov_b32_e32 v6, s21
	s_and_saveexec_b32 s20, s19
.LBB372_9:                              ;   in Loop: Header=BB372_5 Depth=1
	v_lshrrev_b32_e32 v6, 24, v10
	s_delay_alu instid0(VALU_DEP_1)
	v_and_or_b32 v6, 0x80, v6, v11
.LBB372_10:                             ;   in Loop: Header=BB372_5 Depth=1
	s_or_b32 exec_lo, exec_lo, s20
.LBB372_11:                             ;   in Loop: Header=BB372_5 Depth=1
	s_delay_alu instid0(SALU_CYCLE_1) | instskip(SKIP_3) | instid1(VALU_DEP_1)
	s_or_b32 exec_lo, exec_lo, s2
	s_waitcnt vmcnt(2)
	v_and_b32_e32 v10, 0x7fffffff, v9
	s_mov_b32 s2, exec_lo
	v_cmpx_gt_u32_e32 0x43800000, v10
	s_cbranch_execz .LBB372_17
; %bb.12:                               ;   in Loop: Header=BB372_5 Depth=1
	v_cmp_lt_u32_e32 vcc_lo, 0x3bffffff, v10
	s_mov_b32 s19, 0
                                        ; implicit-def: $vgpr10
	s_and_saveexec_b32 s20, vcc_lo
	s_delay_alu instid0(SALU_CYCLE_1)
	s_xor_b32 s20, exec_lo, s20
	s_cbranch_execnz .LBB372_29
; %bb.13:                               ;   in Loop: Header=BB372_5 Depth=1
	s_or_saveexec_b32 s20, s20
                                        ; implicit-def: $sgpr21
	s_delay_alu instid0(SALU_CYCLE_1)
	s_xor_b32 exec_lo, exec_lo, s20
	s_cbranch_execnz .LBB372_30
.LBB372_14:                             ;   in Loop: Header=BB372_5 Depth=1
	s_or_b32 exec_lo, exec_lo, s20
	v_mov_b32_e32 v7, s21
	s_and_saveexec_b32 s20, s19
.LBB372_15:                             ;   in Loop: Header=BB372_5 Depth=1
	v_lshrrev_b32_e32 v7, 24, v9
	s_delay_alu instid0(VALU_DEP_1)
	v_and_or_b32 v7, 0x80, v7, v10
.LBB372_16:                             ;   in Loop: Header=BB372_5 Depth=1
	s_or_b32 exec_lo, exec_lo, s20
.LBB372_17:                             ;   in Loop: Header=BB372_5 Depth=1
	s_delay_alu instid0(SALU_CYCLE_1) | instskip(SKIP_4) | instid1(VALU_DEP_2)
	s_or_b32 exec_lo, exec_lo, s2
	s_waitcnt vmcnt(1)
	v_and_b32_e32 v11, 0x7fffffff, v8
	v_dual_mov_b32 v9, 0x80 :: v_dual_mov_b32 v10, 0x80
	s_mov_b32 s2, exec_lo
	v_cmpx_gt_u32_e32 0x43800000, v11
	s_cbranch_execz .LBB372_23
; %bb.18:                               ;   in Loop: Header=BB372_5 Depth=1
	v_cmp_lt_u32_e32 vcc_lo, 0x3bffffff, v11
	s_mov_b32 s19, 0
                                        ; implicit-def: $vgpr11
	s_and_saveexec_b32 s20, vcc_lo
	s_delay_alu instid0(SALU_CYCLE_1)
	s_xor_b32 s20, exec_lo, s20
	s_cbranch_execnz .LBB372_31
; %bb.19:                               ;   in Loop: Header=BB372_5 Depth=1
	s_or_saveexec_b32 s20, s20
                                        ; implicit-def: $sgpr21
	s_delay_alu instid0(SALU_CYCLE_1)
	s_xor_b32 exec_lo, exec_lo, s20
	s_cbranch_execnz .LBB372_32
.LBB372_20:                             ;   in Loop: Header=BB372_5 Depth=1
	s_or_b32 exec_lo, exec_lo, s20
	v_mov_b32_e32 v10, s21
	s_and_saveexec_b32 s20, s19
.LBB372_21:                             ;   in Loop: Header=BB372_5 Depth=1
	v_lshrrev_b32_e32 v8, 24, v8
	s_delay_alu instid0(VALU_DEP_1)
	v_and_or_b32 v10, 0x80, v8, v11
.LBB372_22:                             ;   in Loop: Header=BB372_5 Depth=1
	s_or_b32 exec_lo, exec_lo, s20
.LBB372_23:                             ;   in Loop: Header=BB372_5 Depth=1
	s_delay_alu instid0(SALU_CYCLE_1) | instskip(SKIP_3) | instid1(VALU_DEP_1)
	s_or_b32 exec_lo, exec_lo, s2
	s_waitcnt vmcnt(0)
	v_and_b32_e32 v8, 0x7fffffff, v5
	s_mov_b32 s2, exec_lo
	v_cmpx_gt_u32_e32 0x43800000, v8
	s_cbranch_execz .LBB372_4
; %bb.24:                               ;   in Loop: Header=BB372_5 Depth=1
	v_cmp_lt_u32_e32 vcc_lo, 0x3bffffff, v8
	s_mov_b32 s19, 0
                                        ; implicit-def: $vgpr8
	s_and_saveexec_b32 s20, vcc_lo
	s_delay_alu instid0(SALU_CYCLE_1)
	s_xor_b32 s20, exec_lo, s20
	s_cbranch_execnz .LBB372_33
; %bb.25:                               ;   in Loop: Header=BB372_5 Depth=1
	s_or_saveexec_b32 s20, s20
                                        ; implicit-def: $sgpr21
	s_delay_alu instid0(SALU_CYCLE_1)
	s_xor_b32 exec_lo, exec_lo, s20
	s_cbranch_execnz .LBB372_34
.LBB372_26:                             ;   in Loop: Header=BB372_5 Depth=1
	s_or_b32 exec_lo, exec_lo, s20
	v_mov_b32_e32 v9, s21
	s_and_saveexec_b32 s20, s19
	s_cbranch_execz .LBB372_3
	s_branch .LBB372_35
.LBB372_27:                             ;   in Loop: Header=BB372_5 Depth=1
	v_bfe_u32 v6, v10, 20, 1
	s_mov_b32 s19, exec_lo
	s_delay_alu instid0(VALU_DEP_1) | instskip(NEXT) | instid1(VALU_DEP_1)
	v_add3_u32 v6, v10, v6, 0x487ffff
	v_lshrrev_b32_e32 v11, 20, v6
	s_or_saveexec_b32 s20, s20
                                        ; implicit-def: $sgpr21
	s_delay_alu instid0(SALU_CYCLE_1)
	s_xor_b32 exec_lo, exec_lo, s20
	s_cbranch_execz .LBB372_8
.LBB372_28:                             ;   in Loop: Header=BB372_5 Depth=1
	v_add_f32_e64 v6, 0x46000000, |v10|
	s_and_not1_b32 s19, s19, exec_lo
	s_mov_b32 s21, 0
	s_delay_alu instid0(VALU_DEP_1) | instskip(NEXT) | instid1(VALU_DEP_1)
	v_and_b32_e32 v11, 0xff, v6
	v_cmp_ne_u32_e32 vcc_lo, 0, v11
	s_and_b32 s22, vcc_lo, exec_lo
	s_delay_alu instid0(SALU_CYCLE_1)
	s_or_b32 s19, s19, s22
	s_or_b32 exec_lo, exec_lo, s20
	v_mov_b32_e32 v6, s21
	s_and_saveexec_b32 s20, s19
	s_cbranch_execnz .LBB372_9
	s_branch .LBB372_10
.LBB372_29:                             ;   in Loop: Header=BB372_5 Depth=1
	v_bfe_u32 v7, v9, 20, 1
	s_mov_b32 s19, exec_lo
	s_delay_alu instid0(VALU_DEP_1) | instskip(NEXT) | instid1(VALU_DEP_1)
	v_add3_u32 v7, v9, v7, 0x487ffff
	v_lshrrev_b32_e32 v10, 20, v7
	s_or_saveexec_b32 s20, s20
                                        ; implicit-def: $sgpr21
	s_delay_alu instid0(SALU_CYCLE_1)
	s_xor_b32 exec_lo, exec_lo, s20
	s_cbranch_execz .LBB372_14
.LBB372_30:                             ;   in Loop: Header=BB372_5 Depth=1
	v_add_f32_e64 v7, 0x46000000, |v9|
	s_and_not1_b32 s19, s19, exec_lo
	s_mov_b32 s21, 0
	s_delay_alu instid0(VALU_DEP_1) | instskip(NEXT) | instid1(VALU_DEP_1)
	v_and_b32_e32 v10, 0xff, v7
	v_cmp_ne_u32_e32 vcc_lo, 0, v10
	s_and_b32 s22, vcc_lo, exec_lo
	s_delay_alu instid0(SALU_CYCLE_1)
	s_or_b32 s19, s19, s22
	s_or_b32 exec_lo, exec_lo, s20
	v_mov_b32_e32 v7, s21
	s_and_saveexec_b32 s20, s19
	s_cbranch_execnz .LBB372_15
	s_branch .LBB372_16
.LBB372_31:                             ;   in Loop: Header=BB372_5 Depth=1
	v_bfe_u32 v10, v8, 20, 1
	s_mov_b32 s19, exec_lo
	s_delay_alu instid0(VALU_DEP_1) | instskip(NEXT) | instid1(VALU_DEP_1)
	v_add3_u32 v10, v8, v10, 0x487ffff
	v_lshrrev_b32_e32 v11, 20, v10
	s_or_saveexec_b32 s20, s20
                                        ; implicit-def: $sgpr21
	s_delay_alu instid0(SALU_CYCLE_1)
	s_xor_b32 exec_lo, exec_lo, s20
	s_cbranch_execz .LBB372_20
.LBB372_32:                             ;   in Loop: Header=BB372_5 Depth=1
	v_add_f32_e64 v10, 0x46000000, |v8|
	s_and_not1_b32 s19, s19, exec_lo
	s_mov_b32 s21, 0
	s_delay_alu instid0(VALU_DEP_1) | instskip(NEXT) | instid1(VALU_DEP_1)
	v_and_b32_e32 v11, 0xff, v10
	v_cmp_ne_u32_e32 vcc_lo, 0, v11
	s_and_b32 s22, vcc_lo, exec_lo
	s_delay_alu instid0(SALU_CYCLE_1)
	s_or_b32 s19, s19, s22
	s_or_b32 exec_lo, exec_lo, s20
	v_mov_b32_e32 v10, s21
	s_and_saveexec_b32 s20, s19
	s_cbranch_execnz .LBB372_21
	s_branch .LBB372_22
.LBB372_33:                             ;   in Loop: Header=BB372_5 Depth=1
	v_bfe_u32 v8, v5, 20, 1
	s_mov_b32 s19, exec_lo
	s_delay_alu instid0(VALU_DEP_1) | instskip(NEXT) | instid1(VALU_DEP_1)
	v_add3_u32 v8, v5, v8, 0x487ffff
	v_lshrrev_b32_e32 v8, 20, v8
	s_or_saveexec_b32 s20, s20
                                        ; implicit-def: $sgpr21
	s_delay_alu instid0(SALU_CYCLE_1)
	s_xor_b32 exec_lo, exec_lo, s20
	s_cbranch_execz .LBB372_26
.LBB372_34:                             ;   in Loop: Header=BB372_5 Depth=1
	v_add_f32_e64 v8, 0x46000000, |v5|
	s_and_not1_b32 s19, s19, exec_lo
	s_mov_b32 s21, 0
	s_delay_alu instid0(VALU_DEP_1) | instskip(NEXT) | instid1(VALU_DEP_1)
	v_and_b32_e32 v8, 0xff, v8
	v_cmp_ne_u32_e32 vcc_lo, 0, v8
	s_and_b32 s22, vcc_lo, exec_lo
	s_delay_alu instid0(SALU_CYCLE_1)
	s_or_b32 s19, s19, s22
	s_or_b32 exec_lo, exec_lo, s20
	v_mov_b32_e32 v9, s21
	s_and_saveexec_b32 s20, s19
	s_cbranch_execz .LBB372_3
.LBB372_35:                             ;   in Loop: Header=BB372_5 Depth=1
	v_lshrrev_b32_e32 v5, 24, v5
	s_delay_alu instid0(VALU_DEP_1)
	v_and_or_b32 v9, 0x80, v5, v8
	s_branch .LBB372_3
.LBB372_36:
	s_or_b32 exec_lo, exec_lo, s3
	s_mov_b32 s2, 0
.LBB372_37:
	s_delay_alu instid0(SALU_CYCLE_1)
	s_and_not1_b32 vcc_lo, exec_lo, s2
	s_cbranch_vccnz .LBB372_89
; %bb.38:
	v_cmp_lt_i64_e64 s2, s[4:5], 1
	s_delay_alu instid0(VALU_DEP_1)
	s_and_b32 vcc_lo, exec_lo, s2
	s_cbranch_vccnz .LBB372_89
; %bb.39:
	s_load_b32 s0, s[0:1], 0xc5c
	v_cmp_gt_u64_e64 s1, 0x10000, s[4:5]
	v_add_co_u32 v5, s2, s8, v0
	v_dual_mov_b32 v28, 0 :: v_dual_lshlrev_b32 v1, 3, v0
	v_add_co_ci_u32_e64 v6, null, s9, 0, s2
	s_delay_alu instid0(VALU_DEP_3) | instskip(SKIP_1) | instid1(VALU_DEP_3)
	v_add_co_u32 v14, vcc_lo, s6, v5
	v_dual_mov_b32 v13, 0 :: v_dual_mov_b32 v30, 0
	v_add_co_ci_u32_e32 v15, vcc_lo, s7, v6, vcc_lo
	v_mov_b32_e32 v29, 0
	s_waitcnt lgkmcnt(0)
	s_and_b32 s0, s0, 0xffff
	s_and_b32 s1, s1, exec_lo
	s_cselect_b32 s3, s5, 0
	s_cselect_b32 s2, s4, 0x10000
	s_lshl_b64 s[10:11], s[10:11], 19
	s_lshl_b32 s14, s0, 1
	s_lshl_b32 s1, s0, 2
	s_add_u32 s12, s12, s10
	s_mul_i32 s15, s0, 3
	s_addc_u32 s13, s13, s11
	s_lshl_b32 s10, s0, 5
	v_add_co_u32 v1, s16, s12, v1
	s_add_u32 s11, s8, s15
	v_add_co_ci_u32_e64 v2, null, s13, 0, s16
	s_addc_u32 s16, s9, 0
	s_add_u32 s11, s6, s11
	s_addc_u32 s16, s7, s16
	v_add_co_u32 v16, s11, s11, v0
	s_delay_alu instid0(VALU_DEP_1)
	v_add_co_ci_u32_e64 v17, null, s16, 0, s11
	v_add_co_u32 v18, s11, s15, v0
	v_add_co_u32 v20, s15, v0, s0
	v_add_co_ci_u32_e64 v19, null, 0, 0, s11
	s_lshl_b32 s11, s0, 4
	s_add_u32 s8, s8, s14
	s_addc_u32 s9, s9, 0
	s_add_u32 s8, s6, s8
	v_lshlrev_b32_e32 v3, 3, v20
	s_addc_u32 s9, s7, s9
	v_add_co_u32 v21, s8, s8, v0
	s_delay_alu instid0(VALU_DEP_1)
	v_add_co_ci_u32_e64 v22, null, s9, 0, s8
	v_add_co_u32 v24, s8, s14, v0
	s_add_u32 s6, s6, s0
	v_add_co_ci_u32_e64 v25, null, 0, 0, s8
	v_add_co_u32 v3, s8, s12, v3
	s_addc_u32 s7, s7, 0
	v_add_co_u32 v26, vcc_lo, s6, v5
	v_add_co_ci_u32_e64 v23, null, 0, 0, s15
	v_add_co_ci_u32_e64 v4, null, s13, 0, s8
	v_add_co_ci_u32_e32 v27, vcc_lo, s7, v6, vcc_lo
	s_mul_i32 s8, s0, 24
	s_mov_b64 s[6:7], 0
	s_branch .LBB372_41
.LBB372_40:                             ;   in Loop: Header=BB372_41 Depth=1
	s_or_b32 exec_lo, exec_lo, s0
	s_add_u32 s6, s6, s1
	s_addc_u32 s7, s7, 0
	v_add_co_u32 v1, vcc_lo, v1, s10
	v_cmp_ge_i64_e64 s0, s[6:7], s[4:5]
	v_cmp_lt_u64_e64 s9, 0xffff, s[6:7]
	v_add_co_ci_u32_e32 v2, vcc_lo, 0, v2, vcc_lo
	v_add_co_u32 v3, vcc_lo, v3, s10
	v_add_co_ci_u32_e32 v4, vcc_lo, 0, v4, vcc_lo
	s_delay_alu instid0(VALU_DEP_4) | instskip(NEXT) | instid1(SALU_CYCLE_1)
	s_or_b32 s0, s0, s9
	s_and_b32 vcc_lo, exec_lo, s0
	s_cbranch_vccnz .LBB372_89
.LBB372_41:                             ; =>This Inner Loop Header: Depth=1
	v_add_co_u32 v5, s0, v0, s6
	s_delay_alu instid0(VALU_DEP_1) | instskip(NEXT) | instid1(VALU_DEP_1)
	v_add_co_ci_u32_e64 v6, null, 0, s7, s0
	v_cmp_gt_i64_e32 vcc_lo, s[4:5], v[5:6]
	v_cmp_gt_u64_e64 s0, 0x10000, v[5:6]
	s_delay_alu instid0(VALU_DEP_1) | instskip(NEXT) | instid1(SALU_CYCLE_1)
	s_and_b32 s9, vcc_lo, s0
	s_and_saveexec_b32 s0, s9
	s_cbranch_execz .LBB372_43
; %bb.42:                               ;   in Loop: Header=BB372_41 Depth=1
	global_load_b32 v29, v[1:2], off
.LBB372_43:                             ;   in Loop: Header=BB372_41 Depth=1
	s_or_b32 exec_lo, exec_lo, s0
	v_add_co_u32 v7, vcc_lo, v20, s6
	v_add_co_ci_u32_e32 v8, vcc_lo, s7, v23, vcc_lo
	s_delay_alu instid0(VALU_DEP_1) | instskip(SKIP_1) | instid1(VALU_DEP_1)
	v_cmp_gt_i64_e32 vcc_lo, s[4:5], v[7:8]
	v_cmp_gt_u64_e64 s0, 0x10000, v[7:8]
	s_and_b32 s9, vcc_lo, s0
	s_delay_alu instid0(SALU_CYCLE_1)
	s_and_saveexec_b32 s0, s9
	s_cbranch_execz .LBB372_45
; %bb.44:                               ;   in Loop: Header=BB372_41 Depth=1
	global_load_b32 v28, v[3:4], off
.LBB372_45:                             ;   in Loop: Header=BB372_41 Depth=1
	s_or_b32 exec_lo, exec_lo, s0
	v_add_co_u32 v9, vcc_lo, v24, s6
	v_add_co_ci_u32_e32 v10, vcc_lo, s7, v25, vcc_lo
	s_delay_alu instid0(VALU_DEP_1) | instskip(SKIP_1) | instid1(VALU_DEP_1)
	v_cmp_gt_i64_e32 vcc_lo, s[4:5], v[9:10]
	v_cmp_gt_u64_e64 s0, 0x10000, v[9:10]
	s_and_b32 s9, vcc_lo, s0
	s_delay_alu instid0(SALU_CYCLE_1)
	s_and_saveexec_b32 s0, s9
	s_cbranch_execz .LBB372_47
; %bb.46:                               ;   in Loop: Header=BB372_41 Depth=1
	v_add_co_u32 v11, vcc_lo, v1, s11
	v_add_co_ci_u32_e32 v12, vcc_lo, 0, v2, vcc_lo
	global_load_b32 v30, v[11:12], off
.LBB372_47:                             ;   in Loop: Header=BB372_41 Depth=1
	s_or_b32 exec_lo, exec_lo, s0
	v_add_co_u32 v11, vcc_lo, v18, s6
	v_add_co_ci_u32_e32 v12, vcc_lo, s7, v19, vcc_lo
	s_delay_alu instid0(VALU_DEP_1) | instskip(SKIP_1) | instid1(VALU_DEP_1)
	v_cmp_gt_i64_e32 vcc_lo, s[4:5], v[11:12]
	v_cmp_gt_u64_e64 s0, 0x10000, v[11:12]
	s_and_b32 s9, vcc_lo, s0
	s_delay_alu instid0(SALU_CYCLE_1)
	s_and_saveexec_b32 s0, s9
	s_cbranch_execz .LBB372_49
; %bb.48:                               ;   in Loop: Header=BB372_41 Depth=1
	v_add_co_u32 v31, vcc_lo, v1, s8
	v_add_co_ci_u32_e32 v32, vcc_lo, 0, v2, vcc_lo
	global_load_b32 v13, v[31:32], off
.LBB372_49:                             ;   in Loop: Header=BB372_41 Depth=1
	s_or_b32 exec_lo, exec_lo, s0
	s_waitcnt vmcnt(0)
	v_and_b32_e32 v33, 0x7fffffff, v29
	v_dual_mov_b32 v31, 0x80 :: v_dual_mov_b32 v32, 0x80
	s_mov_b32 s0, exec_lo
	s_delay_alu instid0(VALU_DEP_2)
	v_cmpx_gt_u32_e32 0x43800000, v33
	s_cbranch_execz .LBB372_55
; %bb.50:                               ;   in Loop: Header=BB372_41 Depth=1
	v_cmp_lt_u32_e32 vcc_lo, 0x3bffffff, v33
	s_mov_b32 s9, 0
                                        ; implicit-def: $vgpr33
	s_and_saveexec_b32 s12, vcc_lo
	s_delay_alu instid0(SALU_CYCLE_1)
	s_xor_b32 s12, exec_lo, s12
	s_cbranch_execnz .LBB372_81
; %bb.51:                               ;   in Loop: Header=BB372_41 Depth=1
	s_or_saveexec_b32 s12, s12
                                        ; implicit-def: $sgpr13
	s_delay_alu instid0(SALU_CYCLE_1)
	s_xor_b32 exec_lo, exec_lo, s12
	s_cbranch_execnz .LBB372_82
.LBB372_52:                             ;   in Loop: Header=BB372_41 Depth=1
	s_or_b32 exec_lo, exec_lo, s12
	v_mov_b32_e32 v32, s13
	s_and_saveexec_b32 s12, s9
.LBB372_53:                             ;   in Loop: Header=BB372_41 Depth=1
	v_lshrrev_b32_e32 v32, 24, v29
	s_delay_alu instid0(VALU_DEP_1)
	v_and_or_b32 v32, 0x80, v32, v33
.LBB372_54:                             ;   in Loop: Header=BB372_41 Depth=1
	s_or_b32 exec_lo, exec_lo, s12
.LBB372_55:                             ;   in Loop: Header=BB372_41 Depth=1
	s_delay_alu instid0(SALU_CYCLE_1) | instskip(SKIP_2) | instid1(VALU_DEP_1)
	s_or_b32 exec_lo, exec_lo, s0
	v_and_b32_e32 v33, 0x7fffffff, v28
	s_mov_b32 s0, exec_lo
	v_cmpx_gt_u32_e32 0x43800000, v33
	s_cbranch_execz .LBB372_61
; %bb.56:                               ;   in Loop: Header=BB372_41 Depth=1
	v_cmp_lt_u32_e32 vcc_lo, 0x3bffffff, v33
	s_mov_b32 s9, 0
                                        ; implicit-def: $vgpr33
	s_and_saveexec_b32 s12, vcc_lo
	s_delay_alu instid0(SALU_CYCLE_1)
	s_xor_b32 s12, exec_lo, s12
	s_cbranch_execnz .LBB372_83
; %bb.57:                               ;   in Loop: Header=BB372_41 Depth=1
	s_or_saveexec_b32 s12, s12
                                        ; implicit-def: $sgpr13
	s_delay_alu instid0(SALU_CYCLE_1)
	s_xor_b32 exec_lo, exec_lo, s12
	s_cbranch_execnz .LBB372_84
.LBB372_58:                             ;   in Loop: Header=BB372_41 Depth=1
	s_or_b32 exec_lo, exec_lo, s12
	v_mov_b32_e32 v31, s13
	s_and_saveexec_b32 s12, s9
.LBB372_59:                             ;   in Loop: Header=BB372_41 Depth=1
	v_lshrrev_b32_e32 v31, 24, v28
	s_delay_alu instid0(VALU_DEP_1)
	v_and_or_b32 v31, 0x80, v31, v33
.LBB372_60:                             ;   in Loop: Header=BB372_41 Depth=1
	s_or_b32 exec_lo, exec_lo, s12
.LBB372_61:                             ;   in Loop: Header=BB372_41 Depth=1
	s_delay_alu instid0(SALU_CYCLE_1) | instskip(SKIP_3) | instid1(VALU_DEP_2)
	s_or_b32 exec_lo, exec_lo, s0
	v_and_b32_e32 v35, 0x7fffffff, v30
	v_dual_mov_b32 v33, 0x80 :: v_dual_mov_b32 v34, 0x80
	s_mov_b32 s0, exec_lo
	v_cmpx_gt_u32_e32 0x43800000, v35
	s_cbranch_execz .LBB372_67
; %bb.62:                               ;   in Loop: Header=BB372_41 Depth=1
	v_cmp_lt_u32_e32 vcc_lo, 0x3bffffff, v35
	s_mov_b32 s9, 0
                                        ; implicit-def: $vgpr35
	s_and_saveexec_b32 s12, vcc_lo
	s_delay_alu instid0(SALU_CYCLE_1)
	s_xor_b32 s12, exec_lo, s12
	s_cbranch_execnz .LBB372_85
; %bb.63:                               ;   in Loop: Header=BB372_41 Depth=1
	s_or_saveexec_b32 s12, s12
                                        ; implicit-def: $sgpr13
	s_delay_alu instid0(SALU_CYCLE_1)
	s_xor_b32 exec_lo, exec_lo, s12
	s_cbranch_execnz .LBB372_86
.LBB372_64:                             ;   in Loop: Header=BB372_41 Depth=1
	s_or_b32 exec_lo, exec_lo, s12
	v_mov_b32_e32 v34, s13
	s_and_saveexec_b32 s12, s9
.LBB372_65:                             ;   in Loop: Header=BB372_41 Depth=1
	v_lshrrev_b32_e32 v34, 24, v30
	s_delay_alu instid0(VALU_DEP_1)
	v_and_or_b32 v34, 0x80, v34, v35
.LBB372_66:                             ;   in Loop: Header=BB372_41 Depth=1
	s_or_b32 exec_lo, exec_lo, s12
.LBB372_67:                             ;   in Loop: Header=BB372_41 Depth=1
	s_delay_alu instid0(SALU_CYCLE_1) | instskip(SKIP_2) | instid1(VALU_DEP_1)
	s_or_b32 exec_lo, exec_lo, s0
	v_and_b32_e32 v35, 0x7fffffff, v13
	s_mov_b32 s0, exec_lo
	v_cmpx_gt_u32_e32 0x43800000, v35
	s_cbranch_execz .LBB372_73
; %bb.68:                               ;   in Loop: Header=BB372_41 Depth=1
	v_cmp_lt_u32_e32 vcc_lo, 0x3bffffff, v35
	s_mov_b32 s9, 0
                                        ; implicit-def: $vgpr35
	s_and_saveexec_b32 s12, vcc_lo
	s_delay_alu instid0(SALU_CYCLE_1)
	s_xor_b32 s12, exec_lo, s12
	s_cbranch_execnz .LBB372_87
; %bb.69:                               ;   in Loop: Header=BB372_41 Depth=1
	s_or_saveexec_b32 s12, s12
                                        ; implicit-def: $sgpr13
	s_delay_alu instid0(SALU_CYCLE_1)
	s_xor_b32 exec_lo, exec_lo, s12
	s_cbranch_execnz .LBB372_88
.LBB372_70:                             ;   in Loop: Header=BB372_41 Depth=1
	s_or_b32 exec_lo, exec_lo, s12
	v_mov_b32_e32 v33, s13
	s_and_saveexec_b32 s12, s9
.LBB372_71:                             ;   in Loop: Header=BB372_41 Depth=1
	v_lshrrev_b32_e32 v33, 24, v13
	s_delay_alu instid0(VALU_DEP_1)
	v_and_or_b32 v33, 0x80, v33, v35
.LBB372_72:                             ;   in Loop: Header=BB372_41 Depth=1
	s_or_b32 exec_lo, exec_lo, s12
.LBB372_73:                             ;   in Loop: Header=BB372_41 Depth=1
	s_delay_alu instid0(SALU_CYCLE_1) | instskip(NEXT) | instid1(SALU_CYCLE_1)
	s_or_b32 exec_lo, exec_lo, s0
	s_mov_b32 s0, exec_lo
	v_cmpx_gt_u64_e64 s[2:3], v[5:6]
	s_xor_b32 s0, exec_lo, s0
	s_cbranch_execnz .LBB372_77
; %bb.74:                               ;   in Loop: Header=BB372_41 Depth=1
	s_or_b32 exec_lo, exec_lo, s0
	s_delay_alu instid0(SALU_CYCLE_1)
	s_mov_b32 s0, exec_lo
	v_cmpx_gt_u64_e64 s[2:3], v[7:8]
	s_cbranch_execnz .LBB372_78
.LBB372_75:                             ;   in Loop: Header=BB372_41 Depth=1
	s_or_b32 exec_lo, exec_lo, s0
	s_delay_alu instid0(SALU_CYCLE_1)
	s_mov_b32 s0, exec_lo
	v_cmpx_gt_u64_e64 s[2:3], v[9:10]
	s_cbranch_execnz .LBB372_79
.LBB372_76:                             ;   in Loop: Header=BB372_41 Depth=1
	s_or_b32 exec_lo, exec_lo, s0
	s_delay_alu instid0(SALU_CYCLE_1)
	s_mov_b32 s0, exec_lo
	v_cmpx_gt_u64_e64 s[2:3], v[11:12]
	s_cbranch_execz .LBB372_40
	s_branch .LBB372_80
.LBB372_77:                             ;   in Loop: Header=BB372_41 Depth=1
	v_add_co_u32 v5, vcc_lo, v14, s6
	v_add_co_ci_u32_e32 v6, vcc_lo, s7, v15, vcc_lo
	global_store_b8 v[5:6], v32, off
	s_or_b32 exec_lo, exec_lo, s0
	s_delay_alu instid0(SALU_CYCLE_1)
	s_mov_b32 s0, exec_lo
	v_cmpx_gt_u64_e64 s[2:3], v[7:8]
	s_cbranch_execz .LBB372_75
.LBB372_78:                             ;   in Loop: Header=BB372_41 Depth=1
	v_add_co_u32 v5, vcc_lo, v26, s6
	v_add_co_ci_u32_e32 v6, vcc_lo, s7, v27, vcc_lo
	global_store_b8 v[5:6], v31, off
	s_or_b32 exec_lo, exec_lo, s0
	s_delay_alu instid0(SALU_CYCLE_1)
	s_mov_b32 s0, exec_lo
	v_cmpx_gt_u64_e64 s[2:3], v[9:10]
	s_cbranch_execz .LBB372_76
.LBB372_79:                             ;   in Loop: Header=BB372_41 Depth=1
	v_add_co_u32 v5, vcc_lo, v21, s6
	v_add_co_ci_u32_e32 v6, vcc_lo, s7, v22, vcc_lo
	global_store_b8 v[5:6], v34, off
	s_or_b32 exec_lo, exec_lo, s0
	s_delay_alu instid0(SALU_CYCLE_1)
	s_mov_b32 s0, exec_lo
	v_cmpx_gt_u64_e64 s[2:3], v[11:12]
	s_cbranch_execz .LBB372_40
.LBB372_80:                             ;   in Loop: Header=BB372_41 Depth=1
	v_add_co_u32 v5, vcc_lo, v16, s6
	v_add_co_ci_u32_e32 v6, vcc_lo, s7, v17, vcc_lo
	global_store_b8 v[5:6], v33, off
	s_branch .LBB372_40
.LBB372_81:                             ;   in Loop: Header=BB372_41 Depth=1
	v_bfe_u32 v32, v29, 20, 1
	s_mov_b32 s9, exec_lo
	s_delay_alu instid0(VALU_DEP_1) | instskip(NEXT) | instid1(VALU_DEP_1)
	v_add3_u32 v32, v29, v32, 0x487ffff
	v_lshrrev_b32_e32 v33, 20, v32
	s_or_saveexec_b32 s12, s12
                                        ; implicit-def: $sgpr13
	s_delay_alu instid0(SALU_CYCLE_1)
	s_xor_b32 exec_lo, exec_lo, s12
	s_cbranch_execz .LBB372_52
.LBB372_82:                             ;   in Loop: Header=BB372_41 Depth=1
	v_add_f32_e64 v32, 0x46000000, |v29|
	s_and_not1_b32 s9, s9, exec_lo
	s_mov_b32 s13, 0
	s_delay_alu instid0(VALU_DEP_1) | instskip(NEXT) | instid1(VALU_DEP_1)
	v_and_b32_e32 v33, 0xff, v32
	v_cmp_ne_u32_e32 vcc_lo, 0, v33
	s_and_b32 s14, vcc_lo, exec_lo
	s_delay_alu instid0(SALU_CYCLE_1)
	s_or_b32 s9, s9, s14
	s_or_b32 exec_lo, exec_lo, s12
	v_mov_b32_e32 v32, s13
	s_and_saveexec_b32 s12, s9
	s_cbranch_execnz .LBB372_53
	s_branch .LBB372_54
.LBB372_83:                             ;   in Loop: Header=BB372_41 Depth=1
	v_bfe_u32 v31, v28, 20, 1
	s_mov_b32 s9, exec_lo
	s_delay_alu instid0(VALU_DEP_1) | instskip(NEXT) | instid1(VALU_DEP_1)
	v_add3_u32 v31, v28, v31, 0x487ffff
	v_lshrrev_b32_e32 v33, 20, v31
	s_or_saveexec_b32 s12, s12
                                        ; implicit-def: $sgpr13
	s_delay_alu instid0(SALU_CYCLE_1)
	s_xor_b32 exec_lo, exec_lo, s12
	s_cbranch_execz .LBB372_58
.LBB372_84:                             ;   in Loop: Header=BB372_41 Depth=1
	v_add_f32_e64 v31, 0x46000000, |v28|
	s_and_not1_b32 s9, s9, exec_lo
	s_mov_b32 s13, 0
	s_delay_alu instid0(VALU_DEP_1) | instskip(NEXT) | instid1(VALU_DEP_1)
	v_and_b32_e32 v33, 0xff, v31
	v_cmp_ne_u32_e32 vcc_lo, 0, v33
	s_and_b32 s14, vcc_lo, exec_lo
	s_delay_alu instid0(SALU_CYCLE_1)
	s_or_b32 s9, s9, s14
	s_or_b32 exec_lo, exec_lo, s12
	v_mov_b32_e32 v31, s13
	s_and_saveexec_b32 s12, s9
	s_cbranch_execnz .LBB372_59
	s_branch .LBB372_60
.LBB372_85:                             ;   in Loop: Header=BB372_41 Depth=1
	v_bfe_u32 v34, v30, 20, 1
	s_mov_b32 s9, exec_lo
	s_delay_alu instid0(VALU_DEP_1) | instskip(NEXT) | instid1(VALU_DEP_1)
	v_add3_u32 v34, v30, v34, 0x487ffff
	v_lshrrev_b32_e32 v35, 20, v34
	s_or_saveexec_b32 s12, s12
                                        ; implicit-def: $sgpr13
	s_delay_alu instid0(SALU_CYCLE_1)
	s_xor_b32 exec_lo, exec_lo, s12
	s_cbranch_execz .LBB372_64
.LBB372_86:                             ;   in Loop: Header=BB372_41 Depth=1
	v_add_f32_e64 v34, 0x46000000, |v30|
	s_and_not1_b32 s9, s9, exec_lo
	s_mov_b32 s13, 0
	s_delay_alu instid0(VALU_DEP_1) | instskip(NEXT) | instid1(VALU_DEP_1)
	v_and_b32_e32 v35, 0xff, v34
	v_cmp_ne_u32_e32 vcc_lo, 0, v35
	s_and_b32 s14, vcc_lo, exec_lo
	s_delay_alu instid0(SALU_CYCLE_1)
	s_or_b32 s9, s9, s14
	s_or_b32 exec_lo, exec_lo, s12
	v_mov_b32_e32 v34, s13
	s_and_saveexec_b32 s12, s9
	s_cbranch_execnz .LBB372_65
	s_branch .LBB372_66
.LBB372_87:                             ;   in Loop: Header=BB372_41 Depth=1
	v_bfe_u32 v33, v13, 20, 1
	s_mov_b32 s9, exec_lo
	s_delay_alu instid0(VALU_DEP_1) | instskip(NEXT) | instid1(VALU_DEP_1)
	v_add3_u32 v33, v13, v33, 0x487ffff
	v_lshrrev_b32_e32 v35, 20, v33
	s_or_saveexec_b32 s12, s12
                                        ; implicit-def: $sgpr13
	s_delay_alu instid0(SALU_CYCLE_1)
	s_xor_b32 exec_lo, exec_lo, s12
	s_cbranch_execz .LBB372_70
.LBB372_88:                             ;   in Loop: Header=BB372_41 Depth=1
	v_add_f32_e64 v33, 0x46000000, |v13|
	s_and_not1_b32 s9, s9, exec_lo
	s_mov_b32 s13, 0
	s_delay_alu instid0(VALU_DEP_1) | instskip(NEXT) | instid1(VALU_DEP_1)
	v_and_b32_e32 v35, 0xff, v33
	v_cmp_ne_u32_e32 vcc_lo, 0, v35
	s_and_b32 s14, vcc_lo, exec_lo
	s_delay_alu instid0(SALU_CYCLE_1)
	s_or_b32 s9, s9, s14
	s_or_b32 exec_lo, exec_lo, s12
	v_mov_b32_e32 v33, s13
	s_and_saveexec_b32 s12, s9
	s_cbranch_execnz .LBB372_71
	s_branch .LBB372_72
.LBB372_89:
	s_nop 0
	s_sendmsg sendmsg(MSG_DEALLOC_VGPRS)
	s_endpgm
	.section	.rodata,"a",@progbits
	.p2align	6, 0x0
	.amdhsa_kernel _ZN2at6native12_GLOBAL__N_125multi_tensor_apply_kernelINS1_18TensorListMetadataILi2EEENS1_11CopyFunctorIN3c1015Float8_e4m3fnuzENS6_7complexIfEELi2ELi1ELi1EEEJNS0_4CopyIS7_S9_EEEEEvT_T0_DpT1_
		.amdhsa_group_segment_fixed_size 0
		.amdhsa_private_segment_fixed_size 0
		.amdhsa_kernarg_size 3408
		.amdhsa_user_sgpr_count 15
		.amdhsa_user_sgpr_dispatch_ptr 0
		.amdhsa_user_sgpr_queue_ptr 0
		.amdhsa_user_sgpr_kernarg_segment_ptr 1
		.amdhsa_user_sgpr_dispatch_id 0
		.amdhsa_user_sgpr_private_segment_size 0
		.amdhsa_wavefront_size32 1
		.amdhsa_uses_dynamic_stack 0
		.amdhsa_enable_private_segment 0
		.amdhsa_system_sgpr_workgroup_id_x 1
		.amdhsa_system_sgpr_workgroup_id_y 0
		.amdhsa_system_sgpr_workgroup_id_z 0
		.amdhsa_system_sgpr_workgroup_info 0
		.amdhsa_system_vgpr_workitem_id 0
		.amdhsa_next_free_vgpr 36
		.amdhsa_next_free_sgpr 23
		.amdhsa_reserve_vcc 1
		.amdhsa_float_round_mode_32 0
		.amdhsa_float_round_mode_16_64 0
		.amdhsa_float_denorm_mode_32 3
		.amdhsa_float_denorm_mode_16_64 3
		.amdhsa_dx10_clamp 1
		.amdhsa_ieee_mode 1
		.amdhsa_fp16_overflow 0
		.amdhsa_workgroup_processor_mode 1
		.amdhsa_memory_ordered 1
		.amdhsa_forward_progress 0
		.amdhsa_shared_vgpr_count 0
		.amdhsa_exception_fp_ieee_invalid_op 0
		.amdhsa_exception_fp_denorm_src 0
		.amdhsa_exception_fp_ieee_div_zero 0
		.amdhsa_exception_fp_ieee_overflow 0
		.amdhsa_exception_fp_ieee_underflow 0
		.amdhsa_exception_fp_ieee_inexact 0
		.amdhsa_exception_int_div_zero 0
	.end_amdhsa_kernel
	.section	.text._ZN2at6native12_GLOBAL__N_125multi_tensor_apply_kernelINS1_18TensorListMetadataILi2EEENS1_11CopyFunctorIN3c1015Float8_e4m3fnuzENS6_7complexIfEELi2ELi1ELi1EEEJNS0_4CopyIS7_S9_EEEEEvT_T0_DpT1_,"axG",@progbits,_ZN2at6native12_GLOBAL__N_125multi_tensor_apply_kernelINS1_18TensorListMetadataILi2EEENS1_11CopyFunctorIN3c1015Float8_e4m3fnuzENS6_7complexIfEELi2ELi1ELi1EEEJNS0_4CopyIS7_S9_EEEEEvT_T0_DpT1_,comdat
.Lfunc_end372:
	.size	_ZN2at6native12_GLOBAL__N_125multi_tensor_apply_kernelINS1_18TensorListMetadataILi2EEENS1_11CopyFunctorIN3c1015Float8_e4m3fnuzENS6_7complexIfEELi2ELi1ELi1EEEJNS0_4CopyIS7_S9_EEEEEvT_T0_DpT1_, .Lfunc_end372-_ZN2at6native12_GLOBAL__N_125multi_tensor_apply_kernelINS1_18TensorListMetadataILi2EEENS1_11CopyFunctorIN3c1015Float8_e4m3fnuzENS6_7complexIfEELi2ELi1ELi1EEEJNS0_4CopyIS7_S9_EEEEEvT_T0_DpT1_
                                        ; -- End function
	.section	.AMDGPU.csdata,"",@progbits
; Kernel info:
; codeLenInByte = 3296
; NumSgprs: 25
; NumVgprs: 36
; ScratchSize: 0
; MemoryBound: 0
; FloatMode: 240
; IeeeMode: 1
; LDSByteSize: 0 bytes/workgroup (compile time only)
; SGPRBlocks: 3
; VGPRBlocks: 4
; NumSGPRsForWavesPerEU: 25
; NumVGPRsForWavesPerEU: 36
; Occupancy: 16
; WaveLimiterHint : 0
; COMPUTE_PGM_RSRC2:SCRATCH_EN: 0
; COMPUTE_PGM_RSRC2:USER_SGPR: 15
; COMPUTE_PGM_RSRC2:TRAP_HANDLER: 0
; COMPUTE_PGM_RSRC2:TGID_X_EN: 1
; COMPUTE_PGM_RSRC2:TGID_Y_EN: 0
; COMPUTE_PGM_RSRC2:TGID_Z_EN: 0
; COMPUTE_PGM_RSRC2:TIDIG_COMP_CNT: 0
	.section	.text._ZN2at6native12_GLOBAL__N_125multi_tensor_apply_kernelINS1_18TensorListMetadataILi2EEENS1_11CopyFunctorIN3c1015Float8_e4m3fnuzENS6_4HalfELi2ELi1ELi1EEEJNS0_4CopyIS7_S8_EEEEEvT_T0_DpT1_,"axG",@progbits,_ZN2at6native12_GLOBAL__N_125multi_tensor_apply_kernelINS1_18TensorListMetadataILi2EEENS1_11CopyFunctorIN3c1015Float8_e4m3fnuzENS6_4HalfELi2ELi1ELi1EEEJNS0_4CopyIS7_S8_EEEEEvT_T0_DpT1_,comdat
	.globl	_ZN2at6native12_GLOBAL__N_125multi_tensor_apply_kernelINS1_18TensorListMetadataILi2EEENS1_11CopyFunctorIN3c1015Float8_e4m3fnuzENS6_4HalfELi2ELi1ELi1EEEJNS0_4CopyIS7_S8_EEEEEvT_T0_DpT1_ ; -- Begin function _ZN2at6native12_GLOBAL__N_125multi_tensor_apply_kernelINS1_18TensorListMetadataILi2EEENS1_11CopyFunctorIN3c1015Float8_e4m3fnuzENS6_4HalfELi2ELi1ELi1EEEJNS0_4CopyIS7_S8_EEEEEvT_T0_DpT1_
	.p2align	8
	.type	_ZN2at6native12_GLOBAL__N_125multi_tensor_apply_kernelINS1_18TensorListMetadataILi2EEENS1_11CopyFunctorIN3c1015Float8_e4m3fnuzENS6_4HalfELi2ELi1ELi1EEEJNS0_4CopyIS7_S8_EEEEEvT_T0_DpT1_,@function
_ZN2at6native12_GLOBAL__N_125multi_tensor_apply_kernelINS1_18TensorListMetadataILi2EEENS1_11CopyFunctorIN3c1015Float8_e4m3fnuzENS6_4HalfELi2ELi1ELi1EEEJNS0_4CopyIS7_S8_EEEEEvT_T0_DpT1_: ; @_ZN2at6native12_GLOBAL__N_125multi_tensor_apply_kernelINS1_18TensorListMetadataILi2EEENS1_11CopyFunctorIN3c1015Float8_e4m3fnuzENS6_4HalfELi2ELi1ELi1EEEJNS0_4CopyIS7_S8_EEEEEvT_T0_DpT1_
; %bb.0:
	v_mov_b32_e32 v1, s15
	s_add_u32 s2, s0, s15
	s_mul_i32 s4, s15, 3
	s_addc_u32 s3, s1, 0
	s_mul_hi_u32 s5, s15, 3
	global_load_u8 v1, v1, s[0:1] offset:1536
	s_add_u32 s2, s2, s4
	s_addc_u32 s3, s3, s5
	s_mov_b32 s17, 0
	s_load_b32 s10, s[2:3], 0x740
	s_waitcnt lgkmcnt(0)
	s_ashr_i32 s11, s10, 31
	s_delay_alu instid0(SALU_CYCLE_1) | instskip(SKIP_2) | instid1(VALU_DEP_1)
	s_lshl_b64 s[8:9], s[10:11], 16
	s_waitcnt vmcnt(0)
	v_readfirstlane_b32 s4, v1
	s_lshl_b32 s4, s4, 3
	s_clause 0x2
	s_load_b64 s[6:7], s[0:1], s4 offset:0x200
	s_load_b64 s[2:3], s[0:1], s4 offset:0x400
	;; [unrolled: 1-line block ×3, first 2 shown]
	s_waitcnt lgkmcnt(0)
	s_add_u32 s14, s6, s8
	s_addc_u32 s15, s7, s9
	s_delay_alu instid0(SALU_CYCLE_1) | instskip(SKIP_2) | instid1(SALU_CYCLE_1)
	s_or_b64 s[4:5], s[2:3], s[14:15]
	s_and_b32 s5, s12, 7
	s_and_b32 s4, s4, 3
	s_or_b32 s16, s4, s5
	s_sub_u32 s4, s2, s8
	s_subb_u32 s5, s3, s9
	s_cmp_eq_u64 s[16:17], 0
	s_mov_b32 s2, -1
	s_cbranch_scc0 .LBB373_37
; %bb.1:
	v_dual_mov_b32 v2, 0 :: v_dual_lshlrev_b32 v1, 2, v0
	s_mov_b32 s3, exec_lo
	s_delay_alu instid0(VALU_DEP_1)
	v_cmpx_gt_i64_e64 s[4:5], v[1:2]
	s_cbranch_execz .LBB373_36
; %bb.2:
	s_load_b32 s2, s[0:1], 0xc5c
	v_lshlrev_b32_e32 v3, 3, v0
	s_lshl_b64 s[18:19], s[10:11], 17
	s_waitcnt lgkmcnt(0)
	s_and_b32 s2, s2, 0xffff
	s_delay_alu instid0(SALU_CYCLE_1) | instskip(SKIP_3) | instid1(VALU_DEP_1)
	s_lshl_b32 s16, s2, 2
	s_add_u32 s17, s12, s18
	s_addc_u32 s18, s13, s19
	v_add_co_u32 v3, s17, s17, v3
	v_add_co_ci_u32_e64 v4, null, s18, 0, s17
	s_mov_b32 s17, 0
	s_lshl_b32 s18, s2, 3
	s_branch .LBB373_5
.LBB373_3:                              ;   in Loop: Header=BB373_5 Depth=1
	s_or_b32 exec_lo, exec_lo, s20
.LBB373_4:                              ;   in Loop: Header=BB373_5 Depth=1
	s_delay_alu instid0(SALU_CYCLE_1)
	s_or_b32 exec_lo, exec_lo, s2
	v_add_co_u32 v10, vcc_lo, s14, v1
	v_add_co_ci_u32_e32 v11, vcc_lo, s15, v2, vcc_lo
	v_add_co_u32 v1, vcc_lo, s16, v1
	v_add_co_ci_u32_e32 v2, vcc_lo, 0, v2, vcc_lo
	v_lshlrev_b32_e32 v6, 16, v9
	v_lshlrev_b32_e32 v8, 8, v8
	v_and_b32_e32 v7, 0xff, v7
	s_delay_alu instid0(VALU_DEP_4) | instskip(SKIP_3) | instid1(VALU_DEP_3)
	v_cmp_le_i64_e32 vcc_lo, s[4:5], v[1:2]
	v_cmp_lt_u64_e64 s2, 0xffff, v[1:2]
	v_perm_b32 v5, v5, v6, 0x4020c0c
	v_and_b32_e32 v6, 0xff00, v8
	s_or_b32 s2, vcc_lo, s2
	v_add_co_u32 v3, vcc_lo, v3, s18
	s_delay_alu instid0(VALU_DEP_2) | instskip(SKIP_2) | instid1(SALU_CYCLE_1)
	v_or3_b32 v5, v5, v6, v7
	v_add_co_ci_u32_e32 v4, vcc_lo, 0, v4, vcc_lo
	s_and_b32 s2, exec_lo, s2
	s_or_b32 s17, s2, s17
	global_store_b32 v[10:11], v5, off
	s_and_not1_b32 exec_lo, exec_lo, s17
	s_cbranch_execz .LBB373_36
.LBB373_5:                              ; =>This Inner Loop Header: Depth=1
	global_load_b64 v[5:6], v[3:4], off
	v_dual_mov_b32 v8, 0x80 :: v_dual_mov_b32 v7, 0x80
	s_mov_b32 s2, exec_lo
	s_waitcnt vmcnt(0)
	v_cvt_f32_f16_e32 v9, v5
	s_delay_alu instid0(VALU_DEP_1) | instskip(NEXT) | instid1(VALU_DEP_1)
	v_and_b32_e32 v10, 0x7fffffff, v9
	v_cmpx_gt_u32_e32 0x43800000, v10
	s_cbranch_execz .LBB373_11
; %bb.6:                                ;   in Loop: Header=BB373_5 Depth=1
	v_cmp_lt_u32_e32 vcc_lo, 0x3bffffff, v10
	s_mov_b32 s19, 0
                                        ; implicit-def: $vgpr10
	s_and_saveexec_b32 s20, vcc_lo
	s_delay_alu instid0(SALU_CYCLE_1)
	s_xor_b32 s20, exec_lo, s20
	s_cbranch_execnz .LBB373_27
; %bb.7:                                ;   in Loop: Header=BB373_5 Depth=1
	s_or_saveexec_b32 s20, s20
                                        ; implicit-def: $sgpr21
	s_delay_alu instid0(SALU_CYCLE_1)
	s_xor_b32 exec_lo, exec_lo, s20
	s_cbranch_execnz .LBB373_28
.LBB373_8:                              ;   in Loop: Header=BB373_5 Depth=1
	s_or_b32 exec_lo, exec_lo, s20
	v_mov_b32_e32 v7, s21
	s_and_saveexec_b32 s20, s19
.LBB373_9:                              ;   in Loop: Header=BB373_5 Depth=1
	v_lshrrev_b32_e32 v7, 24, v9
	s_delay_alu instid0(VALU_DEP_1)
	v_and_or_b32 v7, 0x80, v7, v10
.LBB373_10:                             ;   in Loop: Header=BB373_5 Depth=1
	s_or_b32 exec_lo, exec_lo, s20
.LBB373_11:                             ;   in Loop: Header=BB373_5 Depth=1
	s_delay_alu instid0(SALU_CYCLE_1) | instskip(SKIP_2) | instid1(VALU_DEP_1)
	s_or_b32 exec_lo, exec_lo, s2
	v_lshrrev_b32_e32 v5, 16, v5
	s_mov_b32 s2, exec_lo
	v_cvt_f32_f16_e32 v5, v5
	s_delay_alu instid0(VALU_DEP_1) | instskip(NEXT) | instid1(VALU_DEP_1)
	v_and_b32_e32 v9, 0x7fffffff, v5
	v_cmpx_gt_u32_e32 0x43800000, v9
	s_cbranch_execz .LBB373_17
; %bb.12:                               ;   in Loop: Header=BB373_5 Depth=1
	v_cmp_lt_u32_e32 vcc_lo, 0x3bffffff, v9
	s_mov_b32 s19, 0
                                        ; implicit-def: $vgpr9
	s_and_saveexec_b32 s20, vcc_lo
	s_delay_alu instid0(SALU_CYCLE_1)
	s_xor_b32 s20, exec_lo, s20
	s_cbranch_execnz .LBB373_29
; %bb.13:                               ;   in Loop: Header=BB373_5 Depth=1
	s_or_saveexec_b32 s20, s20
                                        ; implicit-def: $sgpr21
	s_delay_alu instid0(SALU_CYCLE_1)
	s_xor_b32 exec_lo, exec_lo, s20
	s_cbranch_execnz .LBB373_30
.LBB373_14:                             ;   in Loop: Header=BB373_5 Depth=1
	s_or_b32 exec_lo, exec_lo, s20
	v_mov_b32_e32 v8, s21
	s_and_saveexec_b32 s20, s19
.LBB373_15:                             ;   in Loop: Header=BB373_5 Depth=1
	v_lshrrev_b32_e32 v5, 24, v5
	s_delay_alu instid0(VALU_DEP_1)
	v_and_or_b32 v8, 0x80, v5, v9
.LBB373_16:                             ;   in Loop: Header=BB373_5 Depth=1
	s_or_b32 exec_lo, exec_lo, s20
.LBB373_17:                             ;   in Loop: Header=BB373_5 Depth=1
	s_delay_alu instid0(SALU_CYCLE_1) | instskip(SKIP_4) | instid1(VALU_DEP_3)
	s_or_b32 exec_lo, exec_lo, s2
	v_cvt_f32_f16_e32 v10, v6
	v_mov_b32_e32 v5, 0x80
	v_mov_b32_e32 v9, 0x80
	s_mov_b32 s2, exec_lo
	v_and_b32_e32 v11, 0x7fffffff, v10
	s_delay_alu instid0(VALU_DEP_1)
	v_cmpx_gt_u32_e32 0x43800000, v11
	s_cbranch_execz .LBB373_23
; %bb.18:                               ;   in Loop: Header=BB373_5 Depth=1
	v_cmp_lt_u32_e32 vcc_lo, 0x3bffffff, v11
	s_mov_b32 s19, 0
                                        ; implicit-def: $vgpr11
	s_and_saveexec_b32 s20, vcc_lo
	s_delay_alu instid0(SALU_CYCLE_1)
	s_xor_b32 s20, exec_lo, s20
	s_cbranch_execnz .LBB373_31
; %bb.19:                               ;   in Loop: Header=BB373_5 Depth=1
	s_or_saveexec_b32 s20, s20
                                        ; implicit-def: $sgpr21
	s_delay_alu instid0(SALU_CYCLE_1)
	s_xor_b32 exec_lo, exec_lo, s20
	s_cbranch_execnz .LBB373_32
.LBB373_20:                             ;   in Loop: Header=BB373_5 Depth=1
	s_or_b32 exec_lo, exec_lo, s20
	v_mov_b32_e32 v9, s21
	s_and_saveexec_b32 s20, s19
.LBB373_21:                             ;   in Loop: Header=BB373_5 Depth=1
	v_lshrrev_b32_e32 v9, 24, v10
	s_delay_alu instid0(VALU_DEP_1)
	v_and_or_b32 v9, 0x80, v9, v11
.LBB373_22:                             ;   in Loop: Header=BB373_5 Depth=1
	s_or_b32 exec_lo, exec_lo, s20
.LBB373_23:                             ;   in Loop: Header=BB373_5 Depth=1
	s_delay_alu instid0(SALU_CYCLE_1) | instskip(SKIP_2) | instid1(VALU_DEP_1)
	s_or_b32 exec_lo, exec_lo, s2
	v_lshrrev_b32_e32 v6, 16, v6
	s_mov_b32 s2, exec_lo
	v_cvt_f32_f16_e32 v6, v6
	s_delay_alu instid0(VALU_DEP_1) | instskip(NEXT) | instid1(VALU_DEP_1)
	v_and_b32_e32 v10, 0x7fffffff, v6
	v_cmpx_gt_u32_e32 0x43800000, v10
	s_cbranch_execz .LBB373_4
; %bb.24:                               ;   in Loop: Header=BB373_5 Depth=1
	v_cmp_lt_u32_e32 vcc_lo, 0x3bffffff, v10
	s_mov_b32 s19, 0
                                        ; implicit-def: $vgpr10
	s_and_saveexec_b32 s20, vcc_lo
	s_delay_alu instid0(SALU_CYCLE_1)
	s_xor_b32 s20, exec_lo, s20
	s_cbranch_execnz .LBB373_33
; %bb.25:                               ;   in Loop: Header=BB373_5 Depth=1
	s_or_saveexec_b32 s20, s20
                                        ; implicit-def: $sgpr21
	s_delay_alu instid0(SALU_CYCLE_1)
	s_xor_b32 exec_lo, exec_lo, s20
	s_cbranch_execnz .LBB373_34
.LBB373_26:                             ;   in Loop: Header=BB373_5 Depth=1
	s_or_b32 exec_lo, exec_lo, s20
	v_mov_b32_e32 v5, s21
	s_and_saveexec_b32 s20, s19
	s_cbranch_execz .LBB373_3
	s_branch .LBB373_35
.LBB373_27:                             ;   in Loop: Header=BB373_5 Depth=1
	v_bfe_u32 v7, v9, 20, 1
	s_mov_b32 s19, exec_lo
	s_delay_alu instid0(VALU_DEP_1) | instskip(NEXT) | instid1(VALU_DEP_1)
	v_add3_u32 v7, v9, v7, 0x487ffff
	v_lshrrev_b32_e32 v10, 20, v7
	s_or_saveexec_b32 s20, s20
                                        ; implicit-def: $sgpr21
	s_delay_alu instid0(SALU_CYCLE_1)
	s_xor_b32 exec_lo, exec_lo, s20
	s_cbranch_execz .LBB373_8
.LBB373_28:                             ;   in Loop: Header=BB373_5 Depth=1
	v_add_f32_e64 v7, 0x46000000, |v9|
	s_and_not1_b32 s19, s19, exec_lo
	s_mov_b32 s21, 0
	s_delay_alu instid0(VALU_DEP_1) | instskip(NEXT) | instid1(VALU_DEP_1)
	v_and_b32_e32 v10, 0xff, v7
	v_cmp_ne_u32_e32 vcc_lo, 0, v10
	s_and_b32 s22, vcc_lo, exec_lo
	s_delay_alu instid0(SALU_CYCLE_1)
	s_or_b32 s19, s19, s22
	s_or_b32 exec_lo, exec_lo, s20
	v_mov_b32_e32 v7, s21
	s_and_saveexec_b32 s20, s19
	s_cbranch_execnz .LBB373_9
	s_branch .LBB373_10
.LBB373_29:                             ;   in Loop: Header=BB373_5 Depth=1
	v_bfe_u32 v8, v5, 20, 1
	s_mov_b32 s19, exec_lo
	s_delay_alu instid0(VALU_DEP_1) | instskip(NEXT) | instid1(VALU_DEP_1)
	v_add3_u32 v8, v5, v8, 0x487ffff
	v_lshrrev_b32_e32 v9, 20, v8
	s_or_saveexec_b32 s20, s20
                                        ; implicit-def: $sgpr21
	s_delay_alu instid0(SALU_CYCLE_1)
	s_xor_b32 exec_lo, exec_lo, s20
	s_cbranch_execz .LBB373_14
.LBB373_30:                             ;   in Loop: Header=BB373_5 Depth=1
	v_add_f32_e64 v8, 0x46000000, |v5|
	s_and_not1_b32 s19, s19, exec_lo
	s_mov_b32 s21, 0
	s_delay_alu instid0(VALU_DEP_1) | instskip(NEXT) | instid1(VALU_DEP_1)
	v_and_b32_e32 v9, 0xff, v8
	v_cmp_ne_u32_e32 vcc_lo, 0, v9
	s_and_b32 s22, vcc_lo, exec_lo
	s_delay_alu instid0(SALU_CYCLE_1)
	s_or_b32 s19, s19, s22
	s_or_b32 exec_lo, exec_lo, s20
	v_mov_b32_e32 v8, s21
	s_and_saveexec_b32 s20, s19
	s_cbranch_execnz .LBB373_15
	s_branch .LBB373_16
.LBB373_31:                             ;   in Loop: Header=BB373_5 Depth=1
	v_bfe_u32 v9, v10, 20, 1
	s_mov_b32 s19, exec_lo
	s_delay_alu instid0(VALU_DEP_1) | instskip(NEXT) | instid1(VALU_DEP_1)
	v_add3_u32 v9, v10, v9, 0x487ffff
	v_lshrrev_b32_e32 v11, 20, v9
	s_or_saveexec_b32 s20, s20
                                        ; implicit-def: $sgpr21
	s_delay_alu instid0(SALU_CYCLE_1)
	s_xor_b32 exec_lo, exec_lo, s20
	s_cbranch_execz .LBB373_20
.LBB373_32:                             ;   in Loop: Header=BB373_5 Depth=1
	v_add_f32_e64 v9, 0x46000000, |v10|
	s_and_not1_b32 s19, s19, exec_lo
	s_mov_b32 s21, 0
	s_delay_alu instid0(VALU_DEP_1) | instskip(NEXT) | instid1(VALU_DEP_1)
	v_and_b32_e32 v11, 0xff, v9
	v_cmp_ne_u32_e32 vcc_lo, 0, v11
	s_and_b32 s22, vcc_lo, exec_lo
	s_delay_alu instid0(SALU_CYCLE_1)
	s_or_b32 s19, s19, s22
	s_or_b32 exec_lo, exec_lo, s20
	v_mov_b32_e32 v9, s21
	s_and_saveexec_b32 s20, s19
	s_cbranch_execnz .LBB373_21
	s_branch .LBB373_22
.LBB373_33:                             ;   in Loop: Header=BB373_5 Depth=1
	v_bfe_u32 v5, v6, 20, 1
	s_mov_b32 s19, exec_lo
	s_delay_alu instid0(VALU_DEP_1) | instskip(NEXT) | instid1(VALU_DEP_1)
	v_add3_u32 v5, v6, v5, 0x487ffff
	v_lshrrev_b32_e32 v10, 20, v5
	s_or_saveexec_b32 s20, s20
                                        ; implicit-def: $sgpr21
	s_delay_alu instid0(SALU_CYCLE_1)
	s_xor_b32 exec_lo, exec_lo, s20
	s_cbranch_execz .LBB373_26
.LBB373_34:                             ;   in Loop: Header=BB373_5 Depth=1
	v_add_f32_e64 v5, 0x46000000, |v6|
	s_and_not1_b32 s19, s19, exec_lo
	s_mov_b32 s21, 0
	s_delay_alu instid0(VALU_DEP_1) | instskip(NEXT) | instid1(VALU_DEP_1)
	v_and_b32_e32 v10, 0xff, v5
	v_cmp_ne_u32_e32 vcc_lo, 0, v10
	s_and_b32 s22, vcc_lo, exec_lo
	s_delay_alu instid0(SALU_CYCLE_1)
	s_or_b32 s19, s19, s22
	s_or_b32 exec_lo, exec_lo, s20
	v_mov_b32_e32 v5, s21
	s_and_saveexec_b32 s20, s19
	s_cbranch_execz .LBB373_3
.LBB373_35:                             ;   in Loop: Header=BB373_5 Depth=1
	v_lshrrev_b32_e32 v5, 24, v6
	s_delay_alu instid0(VALU_DEP_1)
	v_and_or_b32 v5, 0x80, v5, v10
	s_branch .LBB373_3
.LBB373_36:
	s_or_b32 exec_lo, exec_lo, s3
	s_mov_b32 s2, 0
.LBB373_37:
	s_delay_alu instid0(SALU_CYCLE_1)
	s_and_not1_b32 vcc_lo, exec_lo, s2
	s_cbranch_vccnz .LBB373_89
; %bb.38:
	v_cmp_lt_i64_e64 s2, s[4:5], 1
	s_delay_alu instid0(VALU_DEP_1)
	s_and_b32 vcc_lo, exec_lo, s2
	s_cbranch_vccnz .LBB373_89
; %bb.39:
	s_load_b32 s0, s[0:1], 0xc5c
	v_cmp_gt_u64_e64 s1, 0x10000, s[4:5]
	v_add_co_u32 v5, s2, s8, v0
	v_lshlrev_b32_e32 v1, 1, v0
	v_add_co_ci_u32_e64 v6, null, s9, 0, s2
	s_delay_alu instid0(VALU_DEP_3) | instskip(NEXT) | instid1(VALU_DEP_2)
	v_add_co_u32 v13, vcc_lo, s6, v5
                                        ; implicit-def: $vgpr29
                                        ; implicit-def: $vgpr30
                                        ; implicit-def: $vgpr27
                                        ; implicit-def: $vgpr28
	v_add_co_ci_u32_e32 v14, vcc_lo, s7, v6, vcc_lo
	s_waitcnt lgkmcnt(0)
	s_and_b32 s0, s0, 0xffff
	s_and_b32 s1, s1, exec_lo
	s_cselect_b32 s3, s5, 0
	s_cselect_b32 s2, s4, 0x10000
	s_lshl_b64 s[10:11], s[10:11], 17
	s_lshl_b32 s14, s0, 1
	s_lshl_b32 s1, s0, 2
	s_add_u32 s12, s12, s10
	s_mul_i32 s15, s0, 3
	s_addc_u32 s11, s13, s11
	s_lshl_b32 s10, s0, 3
	v_add_co_u32 v1, s16, s12, v1
	s_add_u32 s13, s8, s15
	v_add_co_ci_u32_e64 v2, null, s11, 0, s16
	s_addc_u32 s16, s9, 0
	s_add_u32 s13, s6, s13
	s_addc_u32 s16, s7, s16
	v_add_co_u32 v15, s13, s13, v0
	s_delay_alu instid0(VALU_DEP_1) | instskip(SKIP_1) | instid1(VALU_DEP_1)
	v_add_co_ci_u32_e64 v16, null, s16, 0, s13
	v_add_co_u32 v17, s13, s15, v0
	v_add_co_ci_u32_e64 v18, null, 0, 0, s13
	v_add_co_u32 v19, s13, v0, s0
	s_add_u32 s8, s8, s14
	s_addc_u32 s9, s9, 0
	s_add_u32 s8, s6, s8
	s_delay_alu instid0(VALU_DEP_1) | instskip(SKIP_2) | instid1(VALU_DEP_1)
	v_lshlrev_b32_e32 v3, 1, v19
	s_addc_u32 s9, s7, s9
	v_add_co_u32 v20, s8, s8, v0
	v_add_co_ci_u32_e64 v21, null, s9, 0, s8
	v_add_co_u32 v23, s8, s14, v0
	s_add_u32 s6, s6, s0
	v_add_co_ci_u32_e64 v24, null, 0, 0, s8
	v_add_co_u32 v3, s8, s12, v3
	s_addc_u32 s7, s7, 0
	v_add_co_u32 v25, vcc_lo, s6, v5
	v_add_co_ci_u32_e64 v22, null, 0, 0, s13
	v_add_co_ci_u32_e64 v4, null, s11, 0, s8
	v_add_co_ci_u32_e32 v26, vcc_lo, s7, v6, vcc_lo
	s_mul_i32 s8, s0, 6
	s_mov_b64 s[6:7], 0
	s_branch .LBB373_41
.LBB373_40:                             ;   in Loop: Header=BB373_41 Depth=1
	s_or_b32 exec_lo, exec_lo, s0
	s_add_u32 s6, s6, s1
	s_addc_u32 s7, s7, 0
	v_add_co_u32 v1, vcc_lo, v1, s10
	v_cmp_ge_i64_e64 s0, s[6:7], s[4:5]
	v_cmp_lt_u64_e64 s9, 0xffff, s[6:7]
	v_add_co_ci_u32_e32 v2, vcc_lo, 0, v2, vcc_lo
	v_add_co_u32 v3, vcc_lo, v3, s10
	v_add_co_ci_u32_e32 v4, vcc_lo, 0, v4, vcc_lo
	s_delay_alu instid0(VALU_DEP_4) | instskip(NEXT) | instid1(SALU_CYCLE_1)
	s_or_b32 s0, s0, s9
	s_and_b32 vcc_lo, exec_lo, s0
	s_cbranch_vccnz .LBB373_89
.LBB373_41:                             ; =>This Inner Loop Header: Depth=1
	v_add_co_u32 v5, s0, v0, s6
	s_delay_alu instid0(VALU_DEP_1) | instskip(NEXT) | instid1(VALU_DEP_1)
	v_add_co_ci_u32_e64 v6, null, 0, s7, s0
	v_cmp_gt_i64_e32 vcc_lo, s[4:5], v[5:6]
	v_cmp_gt_u64_e64 s0, 0x10000, v[5:6]
	s_delay_alu instid0(VALU_DEP_1) | instskip(NEXT) | instid1(SALU_CYCLE_1)
	s_and_b32 s9, vcc_lo, s0
	s_and_saveexec_b32 s0, s9
	s_cbranch_execz .LBB373_43
; %bb.42:                               ;   in Loop: Header=BB373_41 Depth=1
	global_load_u16 v28, v[1:2], off
.LBB373_43:                             ;   in Loop: Header=BB373_41 Depth=1
	s_or_b32 exec_lo, exec_lo, s0
	v_add_co_u32 v7, vcc_lo, v19, s6
	v_add_co_ci_u32_e32 v8, vcc_lo, s7, v22, vcc_lo
	s_delay_alu instid0(VALU_DEP_1) | instskip(SKIP_1) | instid1(VALU_DEP_1)
	v_cmp_gt_i64_e32 vcc_lo, s[4:5], v[7:8]
	v_cmp_gt_u64_e64 s0, 0x10000, v[7:8]
	s_and_b32 s9, vcc_lo, s0
	s_delay_alu instid0(SALU_CYCLE_1)
	s_and_saveexec_b32 s0, s9
	s_cbranch_execz .LBB373_45
; %bb.44:                               ;   in Loop: Header=BB373_41 Depth=1
	global_load_u16 v27, v[3:4], off
.LBB373_45:                             ;   in Loop: Header=BB373_41 Depth=1
	s_or_b32 exec_lo, exec_lo, s0
	v_add_co_u32 v9, vcc_lo, v23, s6
	v_add_co_ci_u32_e32 v10, vcc_lo, s7, v24, vcc_lo
	s_delay_alu instid0(VALU_DEP_1) | instskip(SKIP_1) | instid1(VALU_DEP_1)
	v_cmp_gt_i64_e32 vcc_lo, s[4:5], v[9:10]
	v_cmp_gt_u64_e64 s0, 0x10000, v[9:10]
	s_and_b32 s9, vcc_lo, s0
	s_delay_alu instid0(SALU_CYCLE_1)
	s_and_saveexec_b32 s0, s9
	s_cbranch_execz .LBB373_47
; %bb.46:                               ;   in Loop: Header=BB373_41 Depth=1
	v_add_co_u32 v11, vcc_lo, v1, s1
	v_add_co_ci_u32_e32 v12, vcc_lo, 0, v2, vcc_lo
	global_load_u16 v30, v[11:12], off
.LBB373_47:                             ;   in Loop: Header=BB373_41 Depth=1
	s_or_b32 exec_lo, exec_lo, s0
	v_add_co_u32 v11, vcc_lo, v17, s6
	v_add_co_ci_u32_e32 v12, vcc_lo, s7, v18, vcc_lo
	s_delay_alu instid0(VALU_DEP_1) | instskip(SKIP_1) | instid1(VALU_DEP_1)
	v_cmp_gt_i64_e32 vcc_lo, s[4:5], v[11:12]
	v_cmp_gt_u64_e64 s0, 0x10000, v[11:12]
	s_and_b32 s9, vcc_lo, s0
	s_delay_alu instid0(SALU_CYCLE_1)
	s_and_saveexec_b32 s0, s9
	s_cbranch_execz .LBB373_49
; %bb.48:                               ;   in Loop: Header=BB373_41 Depth=1
	v_add_co_u32 v31, vcc_lo, v1, s8
	v_add_co_ci_u32_e32 v32, vcc_lo, 0, v2, vcc_lo
	global_load_u16 v29, v[31:32], off
.LBB373_49:                             ;   in Loop: Header=BB373_41 Depth=1
	s_or_b32 exec_lo, exec_lo, s0
	s_waitcnt vmcnt(0)
	v_cvt_f32_f16_e32 v33, v28
	v_dual_mov_b32 v31, 0x80 :: v_dual_mov_b32 v32, 0x80
	s_mov_b32 s0, exec_lo
	s_delay_alu instid0(VALU_DEP_2) | instskip(NEXT) | instid1(VALU_DEP_1)
	v_and_b32_e32 v34, 0x7fffffff, v33
	v_cmpx_gt_u32_e32 0x43800000, v34
	s_cbranch_execz .LBB373_55
; %bb.50:                               ;   in Loop: Header=BB373_41 Depth=1
	v_cmp_lt_u32_e32 vcc_lo, 0x3bffffff, v34
	s_mov_b32 s9, 0
                                        ; implicit-def: $vgpr34
	s_and_saveexec_b32 s11, vcc_lo
	s_delay_alu instid0(SALU_CYCLE_1)
	s_xor_b32 s11, exec_lo, s11
	s_cbranch_execnz .LBB373_81
; %bb.51:                               ;   in Loop: Header=BB373_41 Depth=1
	s_or_saveexec_b32 s11, s11
                                        ; implicit-def: $sgpr12
	s_delay_alu instid0(SALU_CYCLE_1)
	s_xor_b32 exec_lo, exec_lo, s11
	s_cbranch_execnz .LBB373_82
.LBB373_52:                             ;   in Loop: Header=BB373_41 Depth=1
	s_or_b32 exec_lo, exec_lo, s11
	v_mov_b32_e32 v32, s12
	s_and_saveexec_b32 s11, s9
.LBB373_53:                             ;   in Loop: Header=BB373_41 Depth=1
	v_lshrrev_b32_e32 v32, 24, v33
	s_delay_alu instid0(VALU_DEP_1)
	v_and_or_b32 v32, 0x80, v32, v34
.LBB373_54:                             ;   in Loop: Header=BB373_41 Depth=1
	s_or_b32 exec_lo, exec_lo, s11
.LBB373_55:                             ;   in Loop: Header=BB373_41 Depth=1
	s_delay_alu instid0(SALU_CYCLE_1) | instskip(SKIP_2) | instid1(VALU_DEP_1)
	s_or_b32 exec_lo, exec_lo, s0
	v_cvt_f32_f16_e32 v33, v27
	s_mov_b32 s0, exec_lo
	v_and_b32_e32 v34, 0x7fffffff, v33
	s_delay_alu instid0(VALU_DEP_1)
	v_cmpx_gt_u32_e32 0x43800000, v34
	s_cbranch_execz .LBB373_61
; %bb.56:                               ;   in Loop: Header=BB373_41 Depth=1
	v_cmp_lt_u32_e32 vcc_lo, 0x3bffffff, v34
	s_mov_b32 s9, 0
                                        ; implicit-def: $vgpr34
	s_and_saveexec_b32 s11, vcc_lo
	s_delay_alu instid0(SALU_CYCLE_1)
	s_xor_b32 s11, exec_lo, s11
	s_cbranch_execnz .LBB373_83
; %bb.57:                               ;   in Loop: Header=BB373_41 Depth=1
	s_or_saveexec_b32 s11, s11
                                        ; implicit-def: $sgpr12
	s_delay_alu instid0(SALU_CYCLE_1)
	s_xor_b32 exec_lo, exec_lo, s11
	s_cbranch_execnz .LBB373_84
.LBB373_58:                             ;   in Loop: Header=BB373_41 Depth=1
	s_or_b32 exec_lo, exec_lo, s11
	v_mov_b32_e32 v31, s12
	s_and_saveexec_b32 s11, s9
.LBB373_59:                             ;   in Loop: Header=BB373_41 Depth=1
	v_lshrrev_b32_e32 v31, 24, v33
	s_delay_alu instid0(VALU_DEP_1)
	v_and_or_b32 v31, 0x80, v31, v34
.LBB373_60:                             ;   in Loop: Header=BB373_41 Depth=1
	s_or_b32 exec_lo, exec_lo, s11
.LBB373_61:                             ;   in Loop: Header=BB373_41 Depth=1
	s_delay_alu instid0(SALU_CYCLE_1) | instskip(SKIP_3) | instid1(VALU_DEP_2)
	s_or_b32 exec_lo, exec_lo, s0
	v_cvt_f32_f16_e32 v35, v30
	v_dual_mov_b32 v33, 0x80 :: v_dual_mov_b32 v34, 0x80
	s_mov_b32 s0, exec_lo
	v_and_b32_e32 v36, 0x7fffffff, v35
	s_delay_alu instid0(VALU_DEP_1)
	v_cmpx_gt_u32_e32 0x43800000, v36
	s_cbranch_execz .LBB373_67
; %bb.62:                               ;   in Loop: Header=BB373_41 Depth=1
	v_cmp_lt_u32_e32 vcc_lo, 0x3bffffff, v36
	s_mov_b32 s9, 0
                                        ; implicit-def: $vgpr36
	s_and_saveexec_b32 s11, vcc_lo
	s_delay_alu instid0(SALU_CYCLE_1)
	s_xor_b32 s11, exec_lo, s11
	s_cbranch_execnz .LBB373_85
; %bb.63:                               ;   in Loop: Header=BB373_41 Depth=1
	s_or_saveexec_b32 s11, s11
                                        ; implicit-def: $sgpr12
	s_delay_alu instid0(SALU_CYCLE_1)
	s_xor_b32 exec_lo, exec_lo, s11
	s_cbranch_execnz .LBB373_86
.LBB373_64:                             ;   in Loop: Header=BB373_41 Depth=1
	s_or_b32 exec_lo, exec_lo, s11
	v_mov_b32_e32 v34, s12
	s_and_saveexec_b32 s11, s9
.LBB373_65:                             ;   in Loop: Header=BB373_41 Depth=1
	v_lshrrev_b32_e32 v34, 24, v35
	s_delay_alu instid0(VALU_DEP_1)
	v_and_or_b32 v34, 0x80, v34, v36
.LBB373_66:                             ;   in Loop: Header=BB373_41 Depth=1
	s_or_b32 exec_lo, exec_lo, s11
.LBB373_67:                             ;   in Loop: Header=BB373_41 Depth=1
	s_delay_alu instid0(SALU_CYCLE_1) | instskip(SKIP_2) | instid1(VALU_DEP_1)
	s_or_b32 exec_lo, exec_lo, s0
	v_cvt_f32_f16_e32 v35, v29
	s_mov_b32 s0, exec_lo
	v_and_b32_e32 v36, 0x7fffffff, v35
	s_delay_alu instid0(VALU_DEP_1)
	v_cmpx_gt_u32_e32 0x43800000, v36
	s_cbranch_execz .LBB373_73
; %bb.68:                               ;   in Loop: Header=BB373_41 Depth=1
	v_cmp_lt_u32_e32 vcc_lo, 0x3bffffff, v36
	s_mov_b32 s9, 0
                                        ; implicit-def: $vgpr36
	s_and_saveexec_b32 s11, vcc_lo
	s_delay_alu instid0(SALU_CYCLE_1)
	s_xor_b32 s11, exec_lo, s11
	s_cbranch_execnz .LBB373_87
; %bb.69:                               ;   in Loop: Header=BB373_41 Depth=1
	s_or_saveexec_b32 s11, s11
                                        ; implicit-def: $sgpr12
	s_delay_alu instid0(SALU_CYCLE_1)
	s_xor_b32 exec_lo, exec_lo, s11
	s_cbranch_execnz .LBB373_88
.LBB373_70:                             ;   in Loop: Header=BB373_41 Depth=1
	s_or_b32 exec_lo, exec_lo, s11
	v_mov_b32_e32 v33, s12
	s_and_saveexec_b32 s11, s9
.LBB373_71:                             ;   in Loop: Header=BB373_41 Depth=1
	v_lshrrev_b32_e32 v33, 24, v35
	s_delay_alu instid0(VALU_DEP_1)
	v_and_or_b32 v33, 0x80, v33, v36
.LBB373_72:                             ;   in Loop: Header=BB373_41 Depth=1
	s_or_b32 exec_lo, exec_lo, s11
.LBB373_73:                             ;   in Loop: Header=BB373_41 Depth=1
	s_delay_alu instid0(SALU_CYCLE_1) | instskip(NEXT) | instid1(SALU_CYCLE_1)
	s_or_b32 exec_lo, exec_lo, s0
	s_mov_b32 s0, exec_lo
	v_cmpx_gt_u64_e64 s[2:3], v[5:6]
	s_xor_b32 s0, exec_lo, s0
	s_cbranch_execnz .LBB373_77
; %bb.74:                               ;   in Loop: Header=BB373_41 Depth=1
	s_or_b32 exec_lo, exec_lo, s0
	s_delay_alu instid0(SALU_CYCLE_1)
	s_mov_b32 s0, exec_lo
	v_cmpx_gt_u64_e64 s[2:3], v[7:8]
	s_cbranch_execnz .LBB373_78
.LBB373_75:                             ;   in Loop: Header=BB373_41 Depth=1
	s_or_b32 exec_lo, exec_lo, s0
	s_delay_alu instid0(SALU_CYCLE_1)
	s_mov_b32 s0, exec_lo
	v_cmpx_gt_u64_e64 s[2:3], v[9:10]
	s_cbranch_execnz .LBB373_79
.LBB373_76:                             ;   in Loop: Header=BB373_41 Depth=1
	s_or_b32 exec_lo, exec_lo, s0
	s_delay_alu instid0(SALU_CYCLE_1)
	s_mov_b32 s0, exec_lo
	v_cmpx_gt_u64_e64 s[2:3], v[11:12]
	s_cbranch_execz .LBB373_40
	s_branch .LBB373_80
.LBB373_77:                             ;   in Loop: Header=BB373_41 Depth=1
	v_add_co_u32 v5, vcc_lo, v13, s6
	v_add_co_ci_u32_e32 v6, vcc_lo, s7, v14, vcc_lo
	global_store_b8 v[5:6], v32, off
	s_or_b32 exec_lo, exec_lo, s0
	s_delay_alu instid0(SALU_CYCLE_1)
	s_mov_b32 s0, exec_lo
	v_cmpx_gt_u64_e64 s[2:3], v[7:8]
	s_cbranch_execz .LBB373_75
.LBB373_78:                             ;   in Loop: Header=BB373_41 Depth=1
	v_add_co_u32 v5, vcc_lo, v25, s6
	v_add_co_ci_u32_e32 v6, vcc_lo, s7, v26, vcc_lo
	global_store_b8 v[5:6], v31, off
	s_or_b32 exec_lo, exec_lo, s0
	s_delay_alu instid0(SALU_CYCLE_1)
	s_mov_b32 s0, exec_lo
	v_cmpx_gt_u64_e64 s[2:3], v[9:10]
	s_cbranch_execz .LBB373_76
.LBB373_79:                             ;   in Loop: Header=BB373_41 Depth=1
	v_add_co_u32 v5, vcc_lo, v20, s6
	v_add_co_ci_u32_e32 v6, vcc_lo, s7, v21, vcc_lo
	global_store_b8 v[5:6], v34, off
	s_or_b32 exec_lo, exec_lo, s0
	s_delay_alu instid0(SALU_CYCLE_1)
	s_mov_b32 s0, exec_lo
	v_cmpx_gt_u64_e64 s[2:3], v[11:12]
	s_cbranch_execz .LBB373_40
.LBB373_80:                             ;   in Loop: Header=BB373_41 Depth=1
	v_add_co_u32 v5, vcc_lo, v15, s6
	v_add_co_ci_u32_e32 v6, vcc_lo, s7, v16, vcc_lo
	global_store_b8 v[5:6], v33, off
	s_branch .LBB373_40
.LBB373_81:                             ;   in Loop: Header=BB373_41 Depth=1
	v_bfe_u32 v32, v33, 20, 1
	s_mov_b32 s9, exec_lo
	s_delay_alu instid0(VALU_DEP_1) | instskip(NEXT) | instid1(VALU_DEP_1)
	v_add3_u32 v32, v33, v32, 0x487ffff
	v_lshrrev_b32_e32 v34, 20, v32
	s_or_saveexec_b32 s11, s11
                                        ; implicit-def: $sgpr12
	s_delay_alu instid0(SALU_CYCLE_1)
	s_xor_b32 exec_lo, exec_lo, s11
	s_cbranch_execz .LBB373_52
.LBB373_82:                             ;   in Loop: Header=BB373_41 Depth=1
	v_add_f32_e64 v32, 0x46000000, |v33|
	s_and_not1_b32 s9, s9, exec_lo
	s_mov_b32 s12, 0
	s_delay_alu instid0(VALU_DEP_1) | instskip(NEXT) | instid1(VALU_DEP_1)
	v_and_b32_e32 v34, 0xff, v32
	v_cmp_ne_u32_e32 vcc_lo, 0, v34
	s_and_b32 s13, vcc_lo, exec_lo
	s_delay_alu instid0(SALU_CYCLE_1)
	s_or_b32 s9, s9, s13
	s_or_b32 exec_lo, exec_lo, s11
	v_mov_b32_e32 v32, s12
	s_and_saveexec_b32 s11, s9
	s_cbranch_execnz .LBB373_53
	s_branch .LBB373_54
.LBB373_83:                             ;   in Loop: Header=BB373_41 Depth=1
	v_bfe_u32 v31, v33, 20, 1
	s_mov_b32 s9, exec_lo
	s_delay_alu instid0(VALU_DEP_1) | instskip(NEXT) | instid1(VALU_DEP_1)
	v_add3_u32 v31, v33, v31, 0x487ffff
	v_lshrrev_b32_e32 v34, 20, v31
	s_or_saveexec_b32 s11, s11
                                        ; implicit-def: $sgpr12
	s_delay_alu instid0(SALU_CYCLE_1)
	s_xor_b32 exec_lo, exec_lo, s11
	s_cbranch_execz .LBB373_58
.LBB373_84:                             ;   in Loop: Header=BB373_41 Depth=1
	v_add_f32_e64 v31, 0x46000000, |v33|
	s_and_not1_b32 s9, s9, exec_lo
	s_mov_b32 s12, 0
	s_delay_alu instid0(VALU_DEP_1) | instskip(NEXT) | instid1(VALU_DEP_1)
	v_and_b32_e32 v34, 0xff, v31
	v_cmp_ne_u32_e32 vcc_lo, 0, v34
	s_and_b32 s13, vcc_lo, exec_lo
	s_delay_alu instid0(SALU_CYCLE_1)
	s_or_b32 s9, s9, s13
	s_or_b32 exec_lo, exec_lo, s11
	v_mov_b32_e32 v31, s12
	s_and_saveexec_b32 s11, s9
	s_cbranch_execnz .LBB373_59
	s_branch .LBB373_60
.LBB373_85:                             ;   in Loop: Header=BB373_41 Depth=1
	v_bfe_u32 v34, v35, 20, 1
	s_mov_b32 s9, exec_lo
	s_delay_alu instid0(VALU_DEP_1) | instskip(NEXT) | instid1(VALU_DEP_1)
	v_add3_u32 v34, v35, v34, 0x487ffff
	v_lshrrev_b32_e32 v36, 20, v34
	s_or_saveexec_b32 s11, s11
                                        ; implicit-def: $sgpr12
	s_delay_alu instid0(SALU_CYCLE_1)
	s_xor_b32 exec_lo, exec_lo, s11
	s_cbranch_execz .LBB373_64
.LBB373_86:                             ;   in Loop: Header=BB373_41 Depth=1
	v_add_f32_e64 v34, 0x46000000, |v35|
	s_and_not1_b32 s9, s9, exec_lo
	s_mov_b32 s12, 0
	s_delay_alu instid0(VALU_DEP_1) | instskip(NEXT) | instid1(VALU_DEP_1)
	v_and_b32_e32 v36, 0xff, v34
	v_cmp_ne_u32_e32 vcc_lo, 0, v36
	s_and_b32 s13, vcc_lo, exec_lo
	s_delay_alu instid0(SALU_CYCLE_1)
	s_or_b32 s9, s9, s13
	s_or_b32 exec_lo, exec_lo, s11
	v_mov_b32_e32 v34, s12
	s_and_saveexec_b32 s11, s9
	s_cbranch_execnz .LBB373_65
	s_branch .LBB373_66
.LBB373_87:                             ;   in Loop: Header=BB373_41 Depth=1
	v_bfe_u32 v33, v35, 20, 1
	s_mov_b32 s9, exec_lo
	s_delay_alu instid0(VALU_DEP_1) | instskip(NEXT) | instid1(VALU_DEP_1)
	v_add3_u32 v33, v35, v33, 0x487ffff
	v_lshrrev_b32_e32 v36, 20, v33
	s_or_saveexec_b32 s11, s11
                                        ; implicit-def: $sgpr12
	s_delay_alu instid0(SALU_CYCLE_1)
	s_xor_b32 exec_lo, exec_lo, s11
	s_cbranch_execz .LBB373_70
.LBB373_88:                             ;   in Loop: Header=BB373_41 Depth=1
	v_add_f32_e64 v33, 0x46000000, |v35|
	s_and_not1_b32 s9, s9, exec_lo
	s_mov_b32 s12, 0
	s_delay_alu instid0(VALU_DEP_1) | instskip(NEXT) | instid1(VALU_DEP_1)
	v_and_b32_e32 v36, 0xff, v33
	v_cmp_ne_u32_e32 vcc_lo, 0, v36
	s_and_b32 s13, vcc_lo, exec_lo
	s_delay_alu instid0(SALU_CYCLE_1)
	s_or_b32 s9, s9, s13
	s_or_b32 exec_lo, exec_lo, s11
	v_mov_b32_e32 v33, s12
	s_and_saveexec_b32 s11, s9
	s_cbranch_execnz .LBB373_71
	s_branch .LBB373_72
.LBB373_89:
	s_nop 0
	s_sendmsg sendmsg(MSG_DEALLOC_VGPRS)
	s_endpgm
	.section	.rodata,"a",@progbits
	.p2align	6, 0x0
	.amdhsa_kernel _ZN2at6native12_GLOBAL__N_125multi_tensor_apply_kernelINS1_18TensorListMetadataILi2EEENS1_11CopyFunctorIN3c1015Float8_e4m3fnuzENS6_4HalfELi2ELi1ELi1EEEJNS0_4CopyIS7_S8_EEEEEvT_T0_DpT1_
		.amdhsa_group_segment_fixed_size 0
		.amdhsa_private_segment_fixed_size 0
		.amdhsa_kernarg_size 3408
		.amdhsa_user_sgpr_count 15
		.amdhsa_user_sgpr_dispatch_ptr 0
		.amdhsa_user_sgpr_queue_ptr 0
		.amdhsa_user_sgpr_kernarg_segment_ptr 1
		.amdhsa_user_sgpr_dispatch_id 0
		.amdhsa_user_sgpr_private_segment_size 0
		.amdhsa_wavefront_size32 1
		.amdhsa_uses_dynamic_stack 0
		.amdhsa_enable_private_segment 0
		.amdhsa_system_sgpr_workgroup_id_x 1
		.amdhsa_system_sgpr_workgroup_id_y 0
		.amdhsa_system_sgpr_workgroup_id_z 0
		.amdhsa_system_sgpr_workgroup_info 0
		.amdhsa_system_vgpr_workitem_id 0
		.amdhsa_next_free_vgpr 37
		.amdhsa_next_free_sgpr 23
		.amdhsa_reserve_vcc 1
		.amdhsa_float_round_mode_32 0
		.amdhsa_float_round_mode_16_64 0
		.amdhsa_float_denorm_mode_32 3
		.amdhsa_float_denorm_mode_16_64 3
		.amdhsa_dx10_clamp 1
		.amdhsa_ieee_mode 1
		.amdhsa_fp16_overflow 0
		.amdhsa_workgroup_processor_mode 1
		.amdhsa_memory_ordered 1
		.amdhsa_forward_progress 0
		.amdhsa_shared_vgpr_count 0
		.amdhsa_exception_fp_ieee_invalid_op 0
		.amdhsa_exception_fp_denorm_src 0
		.amdhsa_exception_fp_ieee_div_zero 0
		.amdhsa_exception_fp_ieee_overflow 0
		.amdhsa_exception_fp_ieee_underflow 0
		.amdhsa_exception_fp_ieee_inexact 0
		.amdhsa_exception_int_div_zero 0
	.end_amdhsa_kernel
	.section	.text._ZN2at6native12_GLOBAL__N_125multi_tensor_apply_kernelINS1_18TensorListMetadataILi2EEENS1_11CopyFunctorIN3c1015Float8_e4m3fnuzENS6_4HalfELi2ELi1ELi1EEEJNS0_4CopyIS7_S8_EEEEEvT_T0_DpT1_,"axG",@progbits,_ZN2at6native12_GLOBAL__N_125multi_tensor_apply_kernelINS1_18TensorListMetadataILi2EEENS1_11CopyFunctorIN3c1015Float8_e4m3fnuzENS6_4HalfELi2ELi1ELi1EEEJNS0_4CopyIS7_S8_EEEEEvT_T0_DpT1_,comdat
.Lfunc_end373:
	.size	_ZN2at6native12_GLOBAL__N_125multi_tensor_apply_kernelINS1_18TensorListMetadataILi2EEENS1_11CopyFunctorIN3c1015Float8_e4m3fnuzENS6_4HalfELi2ELi1ELi1EEEJNS0_4CopyIS7_S8_EEEEEvT_T0_DpT1_, .Lfunc_end373-_ZN2at6native12_GLOBAL__N_125multi_tensor_apply_kernelINS1_18TensorListMetadataILi2EEENS1_11CopyFunctorIN3c1015Float8_e4m3fnuzENS6_4HalfELi2ELi1ELi1EEEJNS0_4CopyIS7_S8_EEEEEvT_T0_DpT1_
                                        ; -- End function
	.section	.AMDGPU.csdata,"",@progbits
; Kernel info:
; codeLenInByte = 3304
; NumSgprs: 25
; NumVgprs: 37
; ScratchSize: 0
; MemoryBound: 0
; FloatMode: 240
; IeeeMode: 1
; LDSByteSize: 0 bytes/workgroup (compile time only)
; SGPRBlocks: 3
; VGPRBlocks: 4
; NumSGPRsForWavesPerEU: 25
; NumVGPRsForWavesPerEU: 37
; Occupancy: 16
; WaveLimiterHint : 0
; COMPUTE_PGM_RSRC2:SCRATCH_EN: 0
; COMPUTE_PGM_RSRC2:USER_SGPR: 15
; COMPUTE_PGM_RSRC2:TRAP_HANDLER: 0
; COMPUTE_PGM_RSRC2:TGID_X_EN: 1
; COMPUTE_PGM_RSRC2:TGID_Y_EN: 0
; COMPUTE_PGM_RSRC2:TGID_Z_EN: 0
; COMPUTE_PGM_RSRC2:TIDIG_COMP_CNT: 0
	.section	.text._ZN2at6native12_GLOBAL__N_125multi_tensor_apply_kernelINS1_18TensorListMetadataILi2EEENS1_11CopyFunctorIN3c1015Float8_e4m3fnuzENS6_8BFloat16ELi2ELi1ELi1EEEJNS0_4CopyIS7_S8_EEEEEvT_T0_DpT1_,"axG",@progbits,_ZN2at6native12_GLOBAL__N_125multi_tensor_apply_kernelINS1_18TensorListMetadataILi2EEENS1_11CopyFunctorIN3c1015Float8_e4m3fnuzENS6_8BFloat16ELi2ELi1ELi1EEEJNS0_4CopyIS7_S8_EEEEEvT_T0_DpT1_,comdat
	.globl	_ZN2at6native12_GLOBAL__N_125multi_tensor_apply_kernelINS1_18TensorListMetadataILi2EEENS1_11CopyFunctorIN3c1015Float8_e4m3fnuzENS6_8BFloat16ELi2ELi1ELi1EEEJNS0_4CopyIS7_S8_EEEEEvT_T0_DpT1_ ; -- Begin function _ZN2at6native12_GLOBAL__N_125multi_tensor_apply_kernelINS1_18TensorListMetadataILi2EEENS1_11CopyFunctorIN3c1015Float8_e4m3fnuzENS6_8BFloat16ELi2ELi1ELi1EEEJNS0_4CopyIS7_S8_EEEEEvT_T0_DpT1_
	.p2align	8
	.type	_ZN2at6native12_GLOBAL__N_125multi_tensor_apply_kernelINS1_18TensorListMetadataILi2EEENS1_11CopyFunctorIN3c1015Float8_e4m3fnuzENS6_8BFloat16ELi2ELi1ELi1EEEJNS0_4CopyIS7_S8_EEEEEvT_T0_DpT1_,@function
_ZN2at6native12_GLOBAL__N_125multi_tensor_apply_kernelINS1_18TensorListMetadataILi2EEENS1_11CopyFunctorIN3c1015Float8_e4m3fnuzENS6_8BFloat16ELi2ELi1ELi1EEEJNS0_4CopyIS7_S8_EEEEEvT_T0_DpT1_: ; @_ZN2at6native12_GLOBAL__N_125multi_tensor_apply_kernelINS1_18TensorListMetadataILi2EEENS1_11CopyFunctorIN3c1015Float8_e4m3fnuzENS6_8BFloat16ELi2ELi1ELi1EEEJNS0_4CopyIS7_S8_EEEEEvT_T0_DpT1_
; %bb.0:
	v_mov_b32_e32 v1, s15
	s_add_u32 s2, s0, s15
	s_mul_i32 s4, s15, 3
	s_addc_u32 s3, s1, 0
	s_mul_hi_u32 s5, s15, 3
	global_load_u8 v1, v1, s[0:1] offset:1536
	s_add_u32 s2, s2, s4
	s_addc_u32 s3, s3, s5
	s_mov_b32 s17, 0
	s_load_b32 s10, s[2:3], 0x740
	s_waitcnt lgkmcnt(0)
	s_ashr_i32 s11, s10, 31
	s_delay_alu instid0(SALU_CYCLE_1) | instskip(SKIP_2) | instid1(VALU_DEP_1)
	s_lshl_b64 s[8:9], s[10:11], 16
	s_waitcnt vmcnt(0)
	v_readfirstlane_b32 s4, v1
	s_lshl_b32 s4, s4, 3
	s_clause 0x2
	s_load_b64 s[6:7], s[0:1], s4 offset:0x200
	s_load_b64 s[2:3], s[0:1], s4 offset:0x400
	;; [unrolled: 1-line block ×3, first 2 shown]
	s_waitcnt lgkmcnt(0)
	s_add_u32 s14, s6, s8
	s_addc_u32 s15, s7, s9
	s_delay_alu instid0(SALU_CYCLE_1) | instskip(SKIP_2) | instid1(SALU_CYCLE_1)
	s_or_b64 s[4:5], s[2:3], s[14:15]
	s_and_b32 s5, s12, 7
	s_and_b32 s4, s4, 3
	s_or_b32 s16, s4, s5
	s_sub_u32 s4, s2, s8
	s_subb_u32 s5, s3, s9
	s_cmp_eq_u64 s[16:17], 0
	s_mov_b32 s2, -1
	s_cbranch_scc0 .LBB374_37
; %bb.1:
	v_dual_mov_b32 v2, 0 :: v_dual_lshlrev_b32 v1, 2, v0
	s_mov_b32 s3, exec_lo
	s_delay_alu instid0(VALU_DEP_1)
	v_cmpx_gt_i64_e64 s[4:5], v[1:2]
	s_cbranch_execz .LBB374_36
; %bb.2:
	s_load_b32 s2, s[0:1], 0xc5c
	v_lshlrev_b32_e32 v3, 3, v0
	s_lshl_b64 s[16:17], s[10:11], 17
	s_waitcnt lgkmcnt(0)
	s_and_b32 s2, s2, 0xffff
	s_add_u32 s16, s12, s16
	s_addc_u32 s17, s13, s17
	v_add_co_u32 v3, s16, s16, v3
	s_delay_alu instid0(VALU_DEP_1)
	v_add_co_ci_u32_e64 v4, null, s17, 0, s16
	s_mov_b32 s16, 0
	s_lshl_b32 s17, s2, 3
	s_lshl_b32 s18, s2, 2
	s_branch .LBB374_5
.LBB374_3:                              ;   in Loop: Header=BB374_5 Depth=1
	s_or_b32 exec_lo, exec_lo, s20
.LBB374_4:                              ;   in Loop: Header=BB374_5 Depth=1
	s_delay_alu instid0(SALU_CYCLE_1)
	s_or_b32 exec_lo, exec_lo, s2
	v_add_co_u32 v10, vcc_lo, s14, v1
	v_add_co_ci_u32_e32 v11, vcc_lo, s15, v2, vcc_lo
	v_add_co_u32 v1, vcc_lo, s18, v1
	v_add_co_ci_u32_e32 v2, vcc_lo, 0, v2, vcc_lo
	v_lshlrev_b32_e32 v6, 16, v9
	v_lshlrev_b32_e32 v8, 8, v8
	v_and_b32_e32 v7, 0xff, v7
	s_delay_alu instid0(VALU_DEP_4) | instskip(SKIP_3) | instid1(VALU_DEP_3)
	v_cmp_le_i64_e32 vcc_lo, s[4:5], v[1:2]
	v_cmp_lt_u64_e64 s2, 0xffff, v[1:2]
	v_perm_b32 v5, v5, v6, 0x4020c0c
	v_and_b32_e32 v6, 0xff00, v8
	s_or_b32 s2, vcc_lo, s2
	v_add_co_u32 v3, vcc_lo, v3, s17
	s_delay_alu instid0(VALU_DEP_2) | instskip(SKIP_2) | instid1(SALU_CYCLE_1)
	v_or3_b32 v5, v5, v6, v7
	v_add_co_ci_u32_e32 v4, vcc_lo, 0, v4, vcc_lo
	s_and_b32 s2, exec_lo, s2
	s_or_b32 s16, s2, s16
	global_store_b32 v[10:11], v5, off
	s_and_not1_b32 exec_lo, exec_lo, s16
	s_cbranch_execz .LBB374_36
.LBB374_5:                              ; =>This Inner Loop Header: Depth=1
	global_load_b64 v[5:6], v[3:4], off
	v_mov_b32_e32 v8, 0x80
	s_mov_b32 s2, exec_lo
	s_waitcnt vmcnt(0)
	v_dual_mov_b32 v7, 0x80 :: v_dual_lshlrev_b32 v10, 16, v5
	s_delay_alu instid0(VALU_DEP_1) | instskip(NEXT) | instid1(VALU_DEP_1)
	v_and_b32_e32 v9, 0x7fffffff, v10
	v_cmpx_gt_u32_e32 0x43800000, v9
	s_cbranch_execz .LBB374_11
; %bb.6:                                ;   in Loop: Header=BB374_5 Depth=1
	v_cmp_lt_u32_e32 vcc_lo, 0x3bffffff, v9
	s_mov_b32 s19, 0
                                        ; implicit-def: $vgpr9
	s_and_saveexec_b32 s20, vcc_lo
	s_delay_alu instid0(SALU_CYCLE_1)
	s_xor_b32 s20, exec_lo, s20
	s_cbranch_execnz .LBB374_27
; %bb.7:                                ;   in Loop: Header=BB374_5 Depth=1
	s_or_saveexec_b32 s20, s20
                                        ; implicit-def: $sgpr21
	s_delay_alu instid0(SALU_CYCLE_1)
	s_xor_b32 exec_lo, exec_lo, s20
	s_cbranch_execnz .LBB374_28
.LBB374_8:                              ;   in Loop: Header=BB374_5 Depth=1
	s_or_b32 exec_lo, exec_lo, s20
	v_mov_b32_e32 v7, s21
	s_and_saveexec_b32 s20, s19
.LBB374_9:                              ;   in Loop: Header=BB374_5 Depth=1
	v_lshrrev_b32_e32 v7, 8, v5
	s_delay_alu instid0(VALU_DEP_1)
	v_and_or_b32 v7, 0x80, v7, v9
.LBB374_10:                             ;   in Loop: Header=BB374_5 Depth=1
	s_or_b32 exec_lo, exec_lo, s20
.LBB374_11:                             ;   in Loop: Header=BB374_5 Depth=1
	s_delay_alu instid0(SALU_CYCLE_1) | instskip(SKIP_2) | instid1(VALU_DEP_1)
	s_or_b32 exec_lo, exec_lo, s2
	v_and_b32_e32 v10, 0xffff0000, v5
	s_mov_b32 s2, exec_lo
	v_and_b32_e32 v9, 0x7fffffff, v10
	s_delay_alu instid0(VALU_DEP_1)
	v_cmpx_gt_u32_e32 0x43800000, v9
	s_cbranch_execz .LBB374_17
; %bb.12:                               ;   in Loop: Header=BB374_5 Depth=1
	v_cmp_lt_u32_e32 vcc_lo, 0x3bffffff, v9
	s_mov_b32 s19, 0
                                        ; implicit-def: $vgpr9
	s_and_saveexec_b32 s20, vcc_lo
	s_delay_alu instid0(SALU_CYCLE_1)
	s_xor_b32 s20, exec_lo, s20
	s_cbranch_execnz .LBB374_29
; %bb.13:                               ;   in Loop: Header=BB374_5 Depth=1
	s_or_saveexec_b32 s20, s20
                                        ; implicit-def: $sgpr21
	s_delay_alu instid0(SALU_CYCLE_1)
	s_xor_b32 exec_lo, exec_lo, s20
	s_cbranch_execnz .LBB374_30
.LBB374_14:                             ;   in Loop: Header=BB374_5 Depth=1
	s_or_b32 exec_lo, exec_lo, s20
	v_mov_b32_e32 v8, s21
	s_and_saveexec_b32 s20, s19
.LBB374_15:                             ;   in Loop: Header=BB374_5 Depth=1
	v_lshrrev_b32_e32 v5, 24, v5
	s_delay_alu instid0(VALU_DEP_1)
	v_and_or_b32 v8, 0x80, v5, v9
.LBB374_16:                             ;   in Loop: Header=BB374_5 Depth=1
	s_or_b32 exec_lo, exec_lo, s20
.LBB374_17:                             ;   in Loop: Header=BB374_5 Depth=1
	s_delay_alu instid0(SALU_CYCLE_1) | instskip(SKIP_4) | instid1(VALU_DEP_3)
	s_or_b32 exec_lo, exec_lo, s2
	v_lshlrev_b32_e32 v11, 16, v6
	v_mov_b32_e32 v5, 0x80
	v_mov_b32_e32 v9, 0x80
	s_mov_b32 s2, exec_lo
	v_and_b32_e32 v10, 0x7fffffff, v11
	s_delay_alu instid0(VALU_DEP_1)
	v_cmpx_gt_u32_e32 0x43800000, v10
	s_cbranch_execz .LBB374_23
; %bb.18:                               ;   in Loop: Header=BB374_5 Depth=1
	v_cmp_lt_u32_e32 vcc_lo, 0x3bffffff, v10
	s_mov_b32 s19, 0
                                        ; implicit-def: $vgpr10
	s_and_saveexec_b32 s20, vcc_lo
	s_delay_alu instid0(SALU_CYCLE_1)
	s_xor_b32 s20, exec_lo, s20
	s_cbranch_execnz .LBB374_31
; %bb.19:                               ;   in Loop: Header=BB374_5 Depth=1
	s_or_saveexec_b32 s20, s20
                                        ; implicit-def: $sgpr21
	s_delay_alu instid0(SALU_CYCLE_1)
	s_xor_b32 exec_lo, exec_lo, s20
	s_cbranch_execnz .LBB374_32
.LBB374_20:                             ;   in Loop: Header=BB374_5 Depth=1
	s_or_b32 exec_lo, exec_lo, s20
	v_mov_b32_e32 v9, s21
	s_and_saveexec_b32 s20, s19
.LBB374_21:                             ;   in Loop: Header=BB374_5 Depth=1
	v_lshrrev_b32_e32 v9, 8, v6
	s_delay_alu instid0(VALU_DEP_1)
	v_and_or_b32 v9, 0x80, v9, v10
.LBB374_22:                             ;   in Loop: Header=BB374_5 Depth=1
	s_or_b32 exec_lo, exec_lo, s20
.LBB374_23:                             ;   in Loop: Header=BB374_5 Depth=1
	s_delay_alu instid0(SALU_CYCLE_1) | instskip(SKIP_2) | instid1(VALU_DEP_1)
	s_or_b32 exec_lo, exec_lo, s2
	v_and_b32_e32 v11, 0xffff0000, v6
	s_mov_b32 s2, exec_lo
	v_and_b32_e32 v10, 0x7fffffff, v11
	s_delay_alu instid0(VALU_DEP_1)
	v_cmpx_gt_u32_e32 0x43800000, v10
	s_cbranch_execz .LBB374_4
; %bb.24:                               ;   in Loop: Header=BB374_5 Depth=1
	v_lshrrev_b32_e32 v6, 16, v6
	v_cmp_lt_u32_e32 vcc_lo, 0x3bffffff, v10
	s_mov_b32 s19, 0
                                        ; implicit-def: $vgpr10
	s_and_saveexec_b32 s20, vcc_lo
	s_delay_alu instid0(SALU_CYCLE_1)
	s_xor_b32 s20, exec_lo, s20
	s_cbranch_execnz .LBB374_33
; %bb.25:                               ;   in Loop: Header=BB374_5 Depth=1
	s_or_saveexec_b32 s20, s20
                                        ; implicit-def: $sgpr21
	s_delay_alu instid0(SALU_CYCLE_1)
	s_xor_b32 exec_lo, exec_lo, s20
	s_cbranch_execnz .LBB374_34
.LBB374_26:                             ;   in Loop: Header=BB374_5 Depth=1
	s_or_b32 exec_lo, exec_lo, s20
	v_mov_b32_e32 v5, s21
	s_and_saveexec_b32 s20, s19
	s_cbranch_execz .LBB374_3
	s_branch .LBB374_35
.LBB374_27:                             ;   in Loop: Header=BB374_5 Depth=1
	v_bfe_u32 v7, v5, 4, 1
	s_mov_b32 s19, exec_lo
	s_delay_alu instid0(VALU_DEP_1) | instskip(NEXT) | instid1(VALU_DEP_1)
	v_add3_u32 v7, v10, v7, 0x487ffff
                                        ; implicit-def: $vgpr10
	v_lshrrev_b32_e32 v9, 20, v7
	s_or_saveexec_b32 s20, s20
                                        ; implicit-def: $sgpr21
	s_delay_alu instid0(SALU_CYCLE_1)
	s_xor_b32 exec_lo, exec_lo, s20
	s_cbranch_execz .LBB374_8
.LBB374_28:                             ;   in Loop: Header=BB374_5 Depth=1
	v_add_f32_e64 v7, 0x46000000, |v10|
	s_and_not1_b32 s19, s19, exec_lo
	s_mov_b32 s21, 0
	s_delay_alu instid0(VALU_DEP_1) | instskip(NEXT) | instid1(VALU_DEP_1)
	v_and_b32_e32 v9, 0xff, v7
	v_cmp_ne_u32_e32 vcc_lo, 0, v9
	s_and_b32 s22, vcc_lo, exec_lo
	s_delay_alu instid0(SALU_CYCLE_1)
	s_or_b32 s19, s19, s22
	s_or_b32 exec_lo, exec_lo, s20
	v_mov_b32_e32 v7, s21
	s_and_saveexec_b32 s20, s19
	s_cbranch_execnz .LBB374_9
	s_branch .LBB374_10
.LBB374_29:                             ;   in Loop: Header=BB374_5 Depth=1
	v_bfe_u32 v8, v5, 20, 1
	s_mov_b32 s19, exec_lo
	s_delay_alu instid0(VALU_DEP_1) | instskip(NEXT) | instid1(VALU_DEP_1)
	v_add3_u32 v8, v10, v8, 0x487ffff
                                        ; implicit-def: $vgpr10
	v_lshrrev_b32_e32 v9, 20, v8
	s_or_saveexec_b32 s20, s20
                                        ; implicit-def: $sgpr21
	s_delay_alu instid0(SALU_CYCLE_1)
	s_xor_b32 exec_lo, exec_lo, s20
	s_cbranch_execz .LBB374_14
.LBB374_30:                             ;   in Loop: Header=BB374_5 Depth=1
	v_add_f32_e64 v8, 0x46000000, |v10|
	s_and_not1_b32 s19, s19, exec_lo
	s_mov_b32 s21, 0
	s_delay_alu instid0(VALU_DEP_1) | instskip(NEXT) | instid1(VALU_DEP_1)
	v_and_b32_e32 v9, 0xff, v8
	v_cmp_ne_u32_e32 vcc_lo, 0, v9
	s_and_b32 s22, vcc_lo, exec_lo
	s_delay_alu instid0(SALU_CYCLE_1)
	s_or_b32 s19, s19, s22
	s_or_b32 exec_lo, exec_lo, s20
	v_mov_b32_e32 v8, s21
	s_and_saveexec_b32 s20, s19
	s_cbranch_execnz .LBB374_15
	s_branch .LBB374_16
.LBB374_31:                             ;   in Loop: Header=BB374_5 Depth=1
	v_bfe_u32 v9, v6, 4, 1
	s_mov_b32 s19, exec_lo
	s_delay_alu instid0(VALU_DEP_1) | instskip(NEXT) | instid1(VALU_DEP_1)
	v_add3_u32 v9, v11, v9, 0x487ffff
                                        ; implicit-def: $vgpr11
	v_lshrrev_b32_e32 v10, 20, v9
	s_or_saveexec_b32 s20, s20
                                        ; implicit-def: $sgpr21
	s_delay_alu instid0(SALU_CYCLE_1)
	s_xor_b32 exec_lo, exec_lo, s20
	s_cbranch_execz .LBB374_20
.LBB374_32:                             ;   in Loop: Header=BB374_5 Depth=1
	v_add_f32_e64 v9, 0x46000000, |v11|
	s_and_not1_b32 s19, s19, exec_lo
	s_mov_b32 s21, 0
	s_delay_alu instid0(VALU_DEP_1) | instskip(NEXT) | instid1(VALU_DEP_1)
	v_and_b32_e32 v10, 0xff, v9
	v_cmp_ne_u32_e32 vcc_lo, 0, v10
	s_and_b32 s22, vcc_lo, exec_lo
	s_delay_alu instid0(SALU_CYCLE_1)
	s_or_b32 s19, s19, s22
	s_or_b32 exec_lo, exec_lo, s20
	v_mov_b32_e32 v9, s21
	s_and_saveexec_b32 s20, s19
	s_cbranch_execnz .LBB374_21
	s_branch .LBB374_22
.LBB374_33:                             ;   in Loop: Header=BB374_5 Depth=1
	v_bfe_u32 v5, v6, 4, 1
	s_mov_b32 s19, exec_lo
	s_delay_alu instid0(VALU_DEP_1) | instskip(NEXT) | instid1(VALU_DEP_1)
	v_add3_u32 v5, v11, v5, 0x487ffff
                                        ; implicit-def: $vgpr11
	v_lshrrev_b32_e32 v10, 20, v5
	s_or_saveexec_b32 s20, s20
                                        ; implicit-def: $sgpr21
	s_delay_alu instid0(SALU_CYCLE_1)
	s_xor_b32 exec_lo, exec_lo, s20
	s_cbranch_execz .LBB374_26
.LBB374_34:                             ;   in Loop: Header=BB374_5 Depth=1
	v_add_f32_e64 v5, 0x46000000, |v11|
	s_and_not1_b32 s19, s19, exec_lo
	s_mov_b32 s21, 0
	s_delay_alu instid0(VALU_DEP_1) | instskip(NEXT) | instid1(VALU_DEP_1)
	v_and_b32_e32 v10, 0xff, v5
	v_cmp_ne_u32_e32 vcc_lo, 0, v10
	s_and_b32 s22, vcc_lo, exec_lo
	s_delay_alu instid0(SALU_CYCLE_1)
	s_or_b32 s19, s19, s22
	s_or_b32 exec_lo, exec_lo, s20
	v_mov_b32_e32 v5, s21
	s_and_saveexec_b32 s20, s19
	s_cbranch_execz .LBB374_3
.LBB374_35:                             ;   in Loop: Header=BB374_5 Depth=1
	v_lshrrev_b32_e32 v5, 8, v6
	s_delay_alu instid0(VALU_DEP_1)
	v_and_or_b32 v5, 0x80, v5, v10
	s_branch .LBB374_3
.LBB374_36:
	s_or_b32 exec_lo, exec_lo, s3
	s_mov_b32 s2, 0
.LBB374_37:
	s_delay_alu instid0(SALU_CYCLE_1)
	s_and_not1_b32 vcc_lo, exec_lo, s2
	s_cbranch_vccnz .LBB374_89
; %bb.38:
	v_cmp_lt_i64_e64 s2, s[4:5], 1
	s_delay_alu instid0(VALU_DEP_1)
	s_and_b32 vcc_lo, exec_lo, s2
	s_cbranch_vccnz .LBB374_89
; %bb.39:
	s_load_b32 s0, s[0:1], 0xc5c
	v_cmp_gt_u64_e64 s1, 0x10000, s[4:5]
	v_add_co_u32 v5, s2, s8, v0
	v_lshlrev_b32_e32 v1, 1, v0
	v_add_co_ci_u32_e64 v6, null, s9, 0, s2
	s_delay_alu instid0(VALU_DEP_3) | instskip(NEXT) | instid1(VALU_DEP_2)
	v_add_co_u32 v13, vcc_lo, s6, v5
                                        ; implicit-def: $vgpr29
                                        ; implicit-def: $vgpr30
                                        ; implicit-def: $vgpr27
                                        ; implicit-def: $vgpr28
	v_add_co_ci_u32_e32 v14, vcc_lo, s7, v6, vcc_lo
	s_waitcnt lgkmcnt(0)
	s_and_b32 s0, s0, 0xffff
	s_and_b32 s1, s1, exec_lo
	s_cselect_b32 s3, s5, 0
	s_cselect_b32 s2, s4, 0x10000
	s_lshl_b64 s[10:11], s[10:11], 17
	s_lshl_b32 s14, s0, 1
	s_lshl_b32 s1, s0, 2
	s_add_u32 s12, s12, s10
	s_mul_i32 s15, s0, 3
	s_addc_u32 s11, s13, s11
	s_lshl_b32 s10, s0, 3
	v_add_co_u32 v1, s16, s12, v1
	s_add_u32 s13, s8, s15
	v_add_co_ci_u32_e64 v2, null, s11, 0, s16
	s_addc_u32 s16, s9, 0
	s_add_u32 s13, s6, s13
	s_addc_u32 s16, s7, s16
	v_add_co_u32 v15, s13, s13, v0
	s_delay_alu instid0(VALU_DEP_1) | instskip(SKIP_1) | instid1(VALU_DEP_1)
	v_add_co_ci_u32_e64 v16, null, s16, 0, s13
	v_add_co_u32 v17, s13, s15, v0
	v_add_co_ci_u32_e64 v18, null, 0, 0, s13
	v_add_co_u32 v19, s13, v0, s0
	s_add_u32 s8, s8, s14
	s_addc_u32 s9, s9, 0
	s_add_u32 s8, s6, s8
	s_delay_alu instid0(VALU_DEP_1) | instskip(SKIP_2) | instid1(VALU_DEP_1)
	v_lshlrev_b32_e32 v3, 1, v19
	s_addc_u32 s9, s7, s9
	v_add_co_u32 v20, s8, s8, v0
	v_add_co_ci_u32_e64 v21, null, s9, 0, s8
	v_add_co_u32 v23, s8, s14, v0
	s_add_u32 s6, s6, s0
	v_add_co_ci_u32_e64 v24, null, 0, 0, s8
	v_add_co_u32 v3, s8, s12, v3
	s_addc_u32 s7, s7, 0
	v_add_co_u32 v25, vcc_lo, s6, v5
	v_add_co_ci_u32_e64 v22, null, 0, 0, s13
	v_add_co_ci_u32_e64 v4, null, s11, 0, s8
	v_add_co_ci_u32_e32 v26, vcc_lo, s7, v6, vcc_lo
	s_mul_i32 s8, s0, 6
	s_mov_b64 s[6:7], 0
	s_branch .LBB374_41
.LBB374_40:                             ;   in Loop: Header=BB374_41 Depth=1
	s_or_b32 exec_lo, exec_lo, s0
	s_add_u32 s6, s6, s1
	s_addc_u32 s7, s7, 0
	v_add_co_u32 v1, vcc_lo, v1, s10
	v_cmp_ge_i64_e64 s0, s[6:7], s[4:5]
	v_cmp_lt_u64_e64 s9, 0xffff, s[6:7]
	v_add_co_ci_u32_e32 v2, vcc_lo, 0, v2, vcc_lo
	v_add_co_u32 v3, vcc_lo, v3, s10
	v_add_co_ci_u32_e32 v4, vcc_lo, 0, v4, vcc_lo
	s_delay_alu instid0(VALU_DEP_4) | instskip(NEXT) | instid1(SALU_CYCLE_1)
	s_or_b32 s0, s0, s9
	s_and_b32 vcc_lo, exec_lo, s0
	s_cbranch_vccnz .LBB374_89
.LBB374_41:                             ; =>This Inner Loop Header: Depth=1
	v_add_co_u32 v5, s0, v0, s6
	s_delay_alu instid0(VALU_DEP_1) | instskip(NEXT) | instid1(VALU_DEP_1)
	v_add_co_ci_u32_e64 v6, null, 0, s7, s0
	v_cmp_gt_i64_e32 vcc_lo, s[4:5], v[5:6]
	v_cmp_gt_u64_e64 s0, 0x10000, v[5:6]
	s_delay_alu instid0(VALU_DEP_1) | instskip(NEXT) | instid1(SALU_CYCLE_1)
	s_and_b32 s9, vcc_lo, s0
	s_and_saveexec_b32 s0, s9
	s_cbranch_execz .LBB374_43
; %bb.42:                               ;   in Loop: Header=BB374_41 Depth=1
	global_load_u16 v28, v[1:2], off
.LBB374_43:                             ;   in Loop: Header=BB374_41 Depth=1
	s_or_b32 exec_lo, exec_lo, s0
	v_add_co_u32 v7, vcc_lo, v19, s6
	v_add_co_ci_u32_e32 v8, vcc_lo, s7, v22, vcc_lo
	s_delay_alu instid0(VALU_DEP_1) | instskip(SKIP_1) | instid1(VALU_DEP_1)
	v_cmp_gt_i64_e32 vcc_lo, s[4:5], v[7:8]
	v_cmp_gt_u64_e64 s0, 0x10000, v[7:8]
	s_and_b32 s9, vcc_lo, s0
	s_delay_alu instid0(SALU_CYCLE_1)
	s_and_saveexec_b32 s0, s9
	s_cbranch_execz .LBB374_45
; %bb.44:                               ;   in Loop: Header=BB374_41 Depth=1
	global_load_u16 v27, v[3:4], off
.LBB374_45:                             ;   in Loop: Header=BB374_41 Depth=1
	s_or_b32 exec_lo, exec_lo, s0
	v_add_co_u32 v9, vcc_lo, v23, s6
	v_add_co_ci_u32_e32 v10, vcc_lo, s7, v24, vcc_lo
	s_delay_alu instid0(VALU_DEP_1) | instskip(SKIP_1) | instid1(VALU_DEP_1)
	v_cmp_gt_i64_e32 vcc_lo, s[4:5], v[9:10]
	v_cmp_gt_u64_e64 s0, 0x10000, v[9:10]
	s_and_b32 s9, vcc_lo, s0
	s_delay_alu instid0(SALU_CYCLE_1)
	s_and_saveexec_b32 s0, s9
	s_cbranch_execz .LBB374_47
; %bb.46:                               ;   in Loop: Header=BB374_41 Depth=1
	v_add_co_u32 v11, vcc_lo, v1, s1
	v_add_co_ci_u32_e32 v12, vcc_lo, 0, v2, vcc_lo
	global_load_u16 v30, v[11:12], off
.LBB374_47:                             ;   in Loop: Header=BB374_41 Depth=1
	s_or_b32 exec_lo, exec_lo, s0
	v_add_co_u32 v11, vcc_lo, v17, s6
	v_add_co_ci_u32_e32 v12, vcc_lo, s7, v18, vcc_lo
	s_delay_alu instid0(VALU_DEP_1) | instskip(SKIP_1) | instid1(VALU_DEP_1)
	v_cmp_gt_i64_e32 vcc_lo, s[4:5], v[11:12]
	v_cmp_gt_u64_e64 s0, 0x10000, v[11:12]
	s_and_b32 s9, vcc_lo, s0
	s_delay_alu instid0(SALU_CYCLE_1)
	s_and_saveexec_b32 s0, s9
	s_cbranch_execz .LBB374_49
; %bb.48:                               ;   in Loop: Header=BB374_41 Depth=1
	v_add_co_u32 v31, vcc_lo, v1, s8
	v_add_co_ci_u32_e32 v32, vcc_lo, 0, v2, vcc_lo
	global_load_u16 v29, v[31:32], off
.LBB374_49:                             ;   in Loop: Header=BB374_41 Depth=1
	s_or_b32 exec_lo, exec_lo, s0
	s_waitcnt vmcnt(0)
	v_dual_mov_b32 v32, 0x80 :: v_dual_lshlrev_b32 v35, 16, v28
	v_mov_b32_e32 v31, 0x80
	s_mov_b32 s0, exec_lo
	s_delay_alu instid0(VALU_DEP_2) | instskip(NEXT) | instid1(VALU_DEP_1)
	v_and_b32_e32 v34, 0x7fffffff, v35
	v_cmpx_gt_u32_e32 0x43800000, v34
	s_cbranch_execz .LBB374_55
; %bb.50:                               ;   in Loop: Header=BB374_41 Depth=1
	v_and_b32_e32 v33, 0xffff, v28
	v_cmp_lt_u32_e32 vcc_lo, 0x3bffffff, v34
	s_mov_b32 s9, 0
                                        ; implicit-def: $vgpr34
	s_and_saveexec_b32 s11, vcc_lo
	s_delay_alu instid0(SALU_CYCLE_1)
	s_xor_b32 s11, exec_lo, s11
	s_cbranch_execnz .LBB374_81
; %bb.51:                               ;   in Loop: Header=BB374_41 Depth=1
	s_or_saveexec_b32 s11, s11
                                        ; implicit-def: $sgpr12
	s_delay_alu instid0(SALU_CYCLE_1)
	s_xor_b32 exec_lo, exec_lo, s11
	s_cbranch_execnz .LBB374_82
.LBB374_52:                             ;   in Loop: Header=BB374_41 Depth=1
	s_or_b32 exec_lo, exec_lo, s11
	v_mov_b32_e32 v32, s12
	s_and_saveexec_b32 s11, s9
.LBB374_53:                             ;   in Loop: Header=BB374_41 Depth=1
	v_lshrrev_b32_e32 v32, 8, v33
	s_delay_alu instid0(VALU_DEP_1)
	v_and_or_b32 v32, 0x80, v32, v34
.LBB374_54:                             ;   in Loop: Header=BB374_41 Depth=1
	s_or_b32 exec_lo, exec_lo, s11
.LBB374_55:                             ;   in Loop: Header=BB374_41 Depth=1
	s_delay_alu instid0(SALU_CYCLE_1) | instskip(SKIP_2) | instid1(VALU_DEP_1)
	s_or_b32 exec_lo, exec_lo, s0
	v_lshlrev_b32_e32 v35, 16, v27
	s_mov_b32 s0, exec_lo
	v_and_b32_e32 v34, 0x7fffffff, v35
	s_delay_alu instid0(VALU_DEP_1)
	v_cmpx_gt_u32_e32 0x43800000, v34
	s_cbranch_execz .LBB374_61
; %bb.56:                               ;   in Loop: Header=BB374_41 Depth=1
	v_and_b32_e32 v33, 0xffff, v27
	v_cmp_lt_u32_e32 vcc_lo, 0x3bffffff, v34
	s_mov_b32 s9, 0
                                        ; implicit-def: $vgpr34
	s_and_saveexec_b32 s11, vcc_lo
	s_delay_alu instid0(SALU_CYCLE_1)
	s_xor_b32 s11, exec_lo, s11
	s_cbranch_execnz .LBB374_83
; %bb.57:                               ;   in Loop: Header=BB374_41 Depth=1
	s_or_saveexec_b32 s11, s11
                                        ; implicit-def: $sgpr12
	s_delay_alu instid0(SALU_CYCLE_1)
	s_xor_b32 exec_lo, exec_lo, s11
	s_cbranch_execnz .LBB374_84
.LBB374_58:                             ;   in Loop: Header=BB374_41 Depth=1
	s_or_b32 exec_lo, exec_lo, s11
	v_mov_b32_e32 v31, s12
	s_and_saveexec_b32 s11, s9
.LBB374_59:                             ;   in Loop: Header=BB374_41 Depth=1
	v_lshrrev_b32_e32 v31, 8, v33
	s_delay_alu instid0(VALU_DEP_1)
	v_and_or_b32 v31, 0x80, v31, v34
.LBB374_60:                             ;   in Loop: Header=BB374_41 Depth=1
	s_or_b32 exec_lo, exec_lo, s11
.LBB374_61:                             ;   in Loop: Header=BB374_41 Depth=1
	s_delay_alu instid0(SALU_CYCLE_1) | instskip(SKIP_3) | instid1(VALU_DEP_2)
	s_or_b32 exec_lo, exec_lo, s0
	v_dual_mov_b32 v34, 0x80 :: v_dual_lshlrev_b32 v37, 16, v30
	v_mov_b32_e32 v33, 0x80
	s_mov_b32 s0, exec_lo
	v_and_b32_e32 v36, 0x7fffffff, v37
	s_delay_alu instid0(VALU_DEP_1)
	v_cmpx_gt_u32_e32 0x43800000, v36
	s_cbranch_execz .LBB374_67
; %bb.62:                               ;   in Loop: Header=BB374_41 Depth=1
	v_and_b32_e32 v35, 0xffff, v30
	v_cmp_lt_u32_e32 vcc_lo, 0x3bffffff, v36
	s_mov_b32 s9, 0
                                        ; implicit-def: $vgpr36
	s_and_saveexec_b32 s11, vcc_lo
	s_delay_alu instid0(SALU_CYCLE_1)
	s_xor_b32 s11, exec_lo, s11
	s_cbranch_execnz .LBB374_85
; %bb.63:                               ;   in Loop: Header=BB374_41 Depth=1
	s_or_saveexec_b32 s11, s11
                                        ; implicit-def: $sgpr12
	s_delay_alu instid0(SALU_CYCLE_1)
	s_xor_b32 exec_lo, exec_lo, s11
	s_cbranch_execnz .LBB374_86
.LBB374_64:                             ;   in Loop: Header=BB374_41 Depth=1
	s_or_b32 exec_lo, exec_lo, s11
	v_mov_b32_e32 v34, s12
	s_and_saveexec_b32 s11, s9
.LBB374_65:                             ;   in Loop: Header=BB374_41 Depth=1
	v_lshrrev_b32_e32 v34, 8, v35
	s_delay_alu instid0(VALU_DEP_1)
	v_and_or_b32 v34, 0x80, v34, v36
.LBB374_66:                             ;   in Loop: Header=BB374_41 Depth=1
	s_or_b32 exec_lo, exec_lo, s11
.LBB374_67:                             ;   in Loop: Header=BB374_41 Depth=1
	s_delay_alu instid0(SALU_CYCLE_1) | instskip(SKIP_2) | instid1(VALU_DEP_1)
	s_or_b32 exec_lo, exec_lo, s0
	v_lshlrev_b32_e32 v37, 16, v29
	s_mov_b32 s0, exec_lo
	v_and_b32_e32 v36, 0x7fffffff, v37
	s_delay_alu instid0(VALU_DEP_1)
	v_cmpx_gt_u32_e32 0x43800000, v36
	s_cbranch_execz .LBB374_73
; %bb.68:                               ;   in Loop: Header=BB374_41 Depth=1
	v_and_b32_e32 v35, 0xffff, v29
	v_cmp_lt_u32_e32 vcc_lo, 0x3bffffff, v36
	s_mov_b32 s9, 0
                                        ; implicit-def: $vgpr36
	s_and_saveexec_b32 s11, vcc_lo
	s_delay_alu instid0(SALU_CYCLE_1)
	s_xor_b32 s11, exec_lo, s11
	s_cbranch_execnz .LBB374_87
; %bb.69:                               ;   in Loop: Header=BB374_41 Depth=1
	s_or_saveexec_b32 s11, s11
                                        ; implicit-def: $sgpr12
	s_delay_alu instid0(SALU_CYCLE_1)
	s_xor_b32 exec_lo, exec_lo, s11
	s_cbranch_execnz .LBB374_88
.LBB374_70:                             ;   in Loop: Header=BB374_41 Depth=1
	s_or_b32 exec_lo, exec_lo, s11
	v_mov_b32_e32 v33, s12
	s_and_saveexec_b32 s11, s9
.LBB374_71:                             ;   in Loop: Header=BB374_41 Depth=1
	v_lshrrev_b32_e32 v33, 8, v35
	s_delay_alu instid0(VALU_DEP_1)
	v_and_or_b32 v33, 0x80, v33, v36
.LBB374_72:                             ;   in Loop: Header=BB374_41 Depth=1
	s_or_b32 exec_lo, exec_lo, s11
.LBB374_73:                             ;   in Loop: Header=BB374_41 Depth=1
	s_delay_alu instid0(SALU_CYCLE_1) | instskip(NEXT) | instid1(SALU_CYCLE_1)
	s_or_b32 exec_lo, exec_lo, s0
	s_mov_b32 s0, exec_lo
	v_cmpx_gt_u64_e64 s[2:3], v[5:6]
	s_xor_b32 s0, exec_lo, s0
	s_cbranch_execnz .LBB374_77
; %bb.74:                               ;   in Loop: Header=BB374_41 Depth=1
	s_or_b32 exec_lo, exec_lo, s0
	s_delay_alu instid0(SALU_CYCLE_1)
	s_mov_b32 s0, exec_lo
	v_cmpx_gt_u64_e64 s[2:3], v[7:8]
	s_cbranch_execnz .LBB374_78
.LBB374_75:                             ;   in Loop: Header=BB374_41 Depth=1
	s_or_b32 exec_lo, exec_lo, s0
	s_delay_alu instid0(SALU_CYCLE_1)
	s_mov_b32 s0, exec_lo
	v_cmpx_gt_u64_e64 s[2:3], v[9:10]
	s_cbranch_execnz .LBB374_79
.LBB374_76:                             ;   in Loop: Header=BB374_41 Depth=1
	s_or_b32 exec_lo, exec_lo, s0
	s_delay_alu instid0(SALU_CYCLE_1)
	s_mov_b32 s0, exec_lo
	v_cmpx_gt_u64_e64 s[2:3], v[11:12]
	s_cbranch_execz .LBB374_40
	s_branch .LBB374_80
.LBB374_77:                             ;   in Loop: Header=BB374_41 Depth=1
	v_add_co_u32 v5, vcc_lo, v13, s6
	v_add_co_ci_u32_e32 v6, vcc_lo, s7, v14, vcc_lo
	global_store_b8 v[5:6], v32, off
	s_or_b32 exec_lo, exec_lo, s0
	s_delay_alu instid0(SALU_CYCLE_1)
	s_mov_b32 s0, exec_lo
	v_cmpx_gt_u64_e64 s[2:3], v[7:8]
	s_cbranch_execz .LBB374_75
.LBB374_78:                             ;   in Loop: Header=BB374_41 Depth=1
	v_add_co_u32 v5, vcc_lo, v25, s6
	v_add_co_ci_u32_e32 v6, vcc_lo, s7, v26, vcc_lo
	global_store_b8 v[5:6], v31, off
	s_or_b32 exec_lo, exec_lo, s0
	s_delay_alu instid0(SALU_CYCLE_1)
	s_mov_b32 s0, exec_lo
	v_cmpx_gt_u64_e64 s[2:3], v[9:10]
	s_cbranch_execz .LBB374_76
.LBB374_79:                             ;   in Loop: Header=BB374_41 Depth=1
	v_add_co_u32 v5, vcc_lo, v20, s6
	v_add_co_ci_u32_e32 v6, vcc_lo, s7, v21, vcc_lo
	global_store_b8 v[5:6], v34, off
	s_or_b32 exec_lo, exec_lo, s0
	s_delay_alu instid0(SALU_CYCLE_1)
	s_mov_b32 s0, exec_lo
	v_cmpx_gt_u64_e64 s[2:3], v[11:12]
	s_cbranch_execz .LBB374_40
.LBB374_80:                             ;   in Loop: Header=BB374_41 Depth=1
	v_add_co_u32 v5, vcc_lo, v15, s6
	v_add_co_ci_u32_e32 v6, vcc_lo, s7, v16, vcc_lo
	global_store_b8 v[5:6], v33, off
	s_branch .LBB374_40
.LBB374_81:                             ;   in Loop: Header=BB374_41 Depth=1
	v_bfe_u32 v32, v33, 4, 1
	s_mov_b32 s9, exec_lo
	s_delay_alu instid0(VALU_DEP_1) | instskip(NEXT) | instid1(VALU_DEP_1)
	v_add3_u32 v32, v35, v32, 0x487ffff
                                        ; implicit-def: $vgpr35
	v_lshrrev_b32_e32 v34, 20, v32
	s_or_saveexec_b32 s11, s11
                                        ; implicit-def: $sgpr12
	s_delay_alu instid0(SALU_CYCLE_1)
	s_xor_b32 exec_lo, exec_lo, s11
	s_cbranch_execz .LBB374_52
.LBB374_82:                             ;   in Loop: Header=BB374_41 Depth=1
	v_add_f32_e64 v32, 0x46000000, |v35|
	s_and_not1_b32 s9, s9, exec_lo
	s_mov_b32 s12, 0
	s_delay_alu instid0(VALU_DEP_1) | instskip(NEXT) | instid1(VALU_DEP_1)
	v_and_b32_e32 v34, 0xff, v32
	v_cmp_ne_u32_e32 vcc_lo, 0, v34
	s_and_b32 s13, vcc_lo, exec_lo
	s_delay_alu instid0(SALU_CYCLE_1)
	s_or_b32 s9, s9, s13
	s_or_b32 exec_lo, exec_lo, s11
	v_mov_b32_e32 v32, s12
	s_and_saveexec_b32 s11, s9
	s_cbranch_execnz .LBB374_53
	s_branch .LBB374_54
.LBB374_83:                             ;   in Loop: Header=BB374_41 Depth=1
	v_bfe_u32 v31, v33, 4, 1
	s_mov_b32 s9, exec_lo
	s_delay_alu instid0(VALU_DEP_1) | instskip(NEXT) | instid1(VALU_DEP_1)
	v_add3_u32 v31, v35, v31, 0x487ffff
                                        ; implicit-def: $vgpr35
	v_lshrrev_b32_e32 v34, 20, v31
	s_or_saveexec_b32 s11, s11
                                        ; implicit-def: $sgpr12
	s_delay_alu instid0(SALU_CYCLE_1)
	s_xor_b32 exec_lo, exec_lo, s11
	s_cbranch_execz .LBB374_58
.LBB374_84:                             ;   in Loop: Header=BB374_41 Depth=1
	v_add_f32_e64 v31, 0x46000000, |v35|
	s_and_not1_b32 s9, s9, exec_lo
	s_mov_b32 s12, 0
	s_delay_alu instid0(VALU_DEP_1) | instskip(NEXT) | instid1(VALU_DEP_1)
	v_and_b32_e32 v34, 0xff, v31
	v_cmp_ne_u32_e32 vcc_lo, 0, v34
	s_and_b32 s13, vcc_lo, exec_lo
	s_delay_alu instid0(SALU_CYCLE_1)
	s_or_b32 s9, s9, s13
	s_or_b32 exec_lo, exec_lo, s11
	v_mov_b32_e32 v31, s12
	s_and_saveexec_b32 s11, s9
	s_cbranch_execnz .LBB374_59
	s_branch .LBB374_60
.LBB374_85:                             ;   in Loop: Header=BB374_41 Depth=1
	v_bfe_u32 v34, v35, 4, 1
	s_mov_b32 s9, exec_lo
	s_delay_alu instid0(VALU_DEP_1) | instskip(NEXT) | instid1(VALU_DEP_1)
	v_add3_u32 v34, v37, v34, 0x487ffff
                                        ; implicit-def: $vgpr37
	v_lshrrev_b32_e32 v36, 20, v34
	s_or_saveexec_b32 s11, s11
                                        ; implicit-def: $sgpr12
	s_delay_alu instid0(SALU_CYCLE_1)
	s_xor_b32 exec_lo, exec_lo, s11
	s_cbranch_execz .LBB374_64
.LBB374_86:                             ;   in Loop: Header=BB374_41 Depth=1
	v_add_f32_e64 v34, 0x46000000, |v37|
	s_and_not1_b32 s9, s9, exec_lo
	s_mov_b32 s12, 0
	s_delay_alu instid0(VALU_DEP_1) | instskip(NEXT) | instid1(VALU_DEP_1)
	v_and_b32_e32 v36, 0xff, v34
	v_cmp_ne_u32_e32 vcc_lo, 0, v36
	s_and_b32 s13, vcc_lo, exec_lo
	s_delay_alu instid0(SALU_CYCLE_1)
	s_or_b32 s9, s9, s13
	s_or_b32 exec_lo, exec_lo, s11
	v_mov_b32_e32 v34, s12
	s_and_saveexec_b32 s11, s9
	s_cbranch_execnz .LBB374_65
	s_branch .LBB374_66
.LBB374_87:                             ;   in Loop: Header=BB374_41 Depth=1
	v_bfe_u32 v33, v35, 4, 1
	s_mov_b32 s9, exec_lo
	s_delay_alu instid0(VALU_DEP_1) | instskip(NEXT) | instid1(VALU_DEP_1)
	v_add3_u32 v33, v37, v33, 0x487ffff
                                        ; implicit-def: $vgpr37
	v_lshrrev_b32_e32 v36, 20, v33
	s_or_saveexec_b32 s11, s11
                                        ; implicit-def: $sgpr12
	s_delay_alu instid0(SALU_CYCLE_1)
	s_xor_b32 exec_lo, exec_lo, s11
	s_cbranch_execz .LBB374_70
.LBB374_88:                             ;   in Loop: Header=BB374_41 Depth=1
	v_add_f32_e64 v33, 0x46000000, |v37|
	s_and_not1_b32 s9, s9, exec_lo
	s_mov_b32 s12, 0
	s_delay_alu instid0(VALU_DEP_1) | instskip(NEXT) | instid1(VALU_DEP_1)
	v_and_b32_e32 v36, 0xff, v33
	v_cmp_ne_u32_e32 vcc_lo, 0, v36
	s_and_b32 s13, vcc_lo, exec_lo
	s_delay_alu instid0(SALU_CYCLE_1)
	s_or_b32 s9, s9, s13
	s_or_b32 exec_lo, exec_lo, s11
	v_mov_b32_e32 v33, s12
	s_and_saveexec_b32 s11, s9
	s_cbranch_execnz .LBB374_71
	s_branch .LBB374_72
.LBB374_89:
	s_nop 0
	s_sendmsg sendmsg(MSG_DEALLOC_VGPRS)
	s_endpgm
	.section	.rodata,"a",@progbits
	.p2align	6, 0x0
	.amdhsa_kernel _ZN2at6native12_GLOBAL__N_125multi_tensor_apply_kernelINS1_18TensorListMetadataILi2EEENS1_11CopyFunctorIN3c1015Float8_e4m3fnuzENS6_8BFloat16ELi2ELi1ELi1EEEJNS0_4CopyIS7_S8_EEEEEvT_T0_DpT1_
		.amdhsa_group_segment_fixed_size 0
		.amdhsa_private_segment_fixed_size 0
		.amdhsa_kernarg_size 3408
		.amdhsa_user_sgpr_count 15
		.amdhsa_user_sgpr_dispatch_ptr 0
		.amdhsa_user_sgpr_queue_ptr 0
		.amdhsa_user_sgpr_kernarg_segment_ptr 1
		.amdhsa_user_sgpr_dispatch_id 0
		.amdhsa_user_sgpr_private_segment_size 0
		.amdhsa_wavefront_size32 1
		.amdhsa_uses_dynamic_stack 0
		.amdhsa_enable_private_segment 0
		.amdhsa_system_sgpr_workgroup_id_x 1
		.amdhsa_system_sgpr_workgroup_id_y 0
		.amdhsa_system_sgpr_workgroup_id_z 0
		.amdhsa_system_sgpr_workgroup_info 0
		.amdhsa_system_vgpr_workitem_id 0
		.amdhsa_next_free_vgpr 38
		.amdhsa_next_free_sgpr 23
		.amdhsa_reserve_vcc 1
		.amdhsa_float_round_mode_32 0
		.amdhsa_float_round_mode_16_64 0
		.amdhsa_float_denorm_mode_32 3
		.amdhsa_float_denorm_mode_16_64 3
		.amdhsa_dx10_clamp 1
		.amdhsa_ieee_mode 1
		.amdhsa_fp16_overflow 0
		.amdhsa_workgroup_processor_mode 1
		.amdhsa_memory_ordered 1
		.amdhsa_forward_progress 0
		.amdhsa_shared_vgpr_count 0
		.amdhsa_exception_fp_ieee_invalid_op 0
		.amdhsa_exception_fp_denorm_src 0
		.amdhsa_exception_fp_ieee_div_zero 0
		.amdhsa_exception_fp_ieee_overflow 0
		.amdhsa_exception_fp_ieee_underflow 0
		.amdhsa_exception_fp_ieee_inexact 0
		.amdhsa_exception_int_div_zero 0
	.end_amdhsa_kernel
	.section	.text._ZN2at6native12_GLOBAL__N_125multi_tensor_apply_kernelINS1_18TensorListMetadataILi2EEENS1_11CopyFunctorIN3c1015Float8_e4m3fnuzENS6_8BFloat16ELi2ELi1ELi1EEEJNS0_4CopyIS7_S8_EEEEEvT_T0_DpT1_,"axG",@progbits,_ZN2at6native12_GLOBAL__N_125multi_tensor_apply_kernelINS1_18TensorListMetadataILi2EEENS1_11CopyFunctorIN3c1015Float8_e4m3fnuzENS6_8BFloat16ELi2ELi1ELi1EEEJNS0_4CopyIS7_S8_EEEEEvT_T0_DpT1_,comdat
.Lfunc_end374:
	.size	_ZN2at6native12_GLOBAL__N_125multi_tensor_apply_kernelINS1_18TensorListMetadataILi2EEENS1_11CopyFunctorIN3c1015Float8_e4m3fnuzENS6_8BFloat16ELi2ELi1ELi1EEEJNS0_4CopyIS7_S8_EEEEEvT_T0_DpT1_, .Lfunc_end374-_ZN2at6native12_GLOBAL__N_125multi_tensor_apply_kernelINS1_18TensorListMetadataILi2EEENS1_11CopyFunctorIN3c1015Float8_e4m3fnuzENS6_8BFloat16ELi2ELi1ELi1EEEJNS0_4CopyIS7_S8_EEEEEvT_T0_DpT1_
                                        ; -- End function
	.section	.AMDGPU.csdata,"",@progbits
; Kernel info:
; codeLenInByte = 3352
; NumSgprs: 25
; NumVgprs: 38
; ScratchSize: 0
; MemoryBound: 0
; FloatMode: 240
; IeeeMode: 1
; LDSByteSize: 0 bytes/workgroup (compile time only)
; SGPRBlocks: 3
; VGPRBlocks: 4
; NumSGPRsForWavesPerEU: 25
; NumVGPRsForWavesPerEU: 38
; Occupancy: 16
; WaveLimiterHint : 0
; COMPUTE_PGM_RSRC2:SCRATCH_EN: 0
; COMPUTE_PGM_RSRC2:USER_SGPR: 15
; COMPUTE_PGM_RSRC2:TRAP_HANDLER: 0
; COMPUTE_PGM_RSRC2:TGID_X_EN: 1
; COMPUTE_PGM_RSRC2:TGID_Y_EN: 0
; COMPUTE_PGM_RSRC2:TGID_Z_EN: 0
; COMPUTE_PGM_RSRC2:TIDIG_COMP_CNT: 0
	.section	.text._ZN2at6native12_GLOBAL__N_125multi_tensor_apply_kernelINS1_18TensorListMetadataILi2EEENS1_11CopyFunctorIN3c1015Float8_e4m3fnuzEbLi2ELi1ELi1EEEJNS0_4CopyIS7_bEEEEEvT_T0_DpT1_,"axG",@progbits,_ZN2at6native12_GLOBAL__N_125multi_tensor_apply_kernelINS1_18TensorListMetadataILi2EEENS1_11CopyFunctorIN3c1015Float8_e4m3fnuzEbLi2ELi1ELi1EEEJNS0_4CopyIS7_bEEEEEvT_T0_DpT1_,comdat
	.globl	_ZN2at6native12_GLOBAL__N_125multi_tensor_apply_kernelINS1_18TensorListMetadataILi2EEENS1_11CopyFunctorIN3c1015Float8_e4m3fnuzEbLi2ELi1ELi1EEEJNS0_4CopyIS7_bEEEEEvT_T0_DpT1_ ; -- Begin function _ZN2at6native12_GLOBAL__N_125multi_tensor_apply_kernelINS1_18TensorListMetadataILi2EEENS1_11CopyFunctorIN3c1015Float8_e4m3fnuzEbLi2ELi1ELi1EEEJNS0_4CopyIS7_bEEEEEvT_T0_DpT1_
	.p2align	8
	.type	_ZN2at6native12_GLOBAL__N_125multi_tensor_apply_kernelINS1_18TensorListMetadataILi2EEENS1_11CopyFunctorIN3c1015Float8_e4m3fnuzEbLi2ELi1ELi1EEEJNS0_4CopyIS7_bEEEEEvT_T0_DpT1_,@function
_ZN2at6native12_GLOBAL__N_125multi_tensor_apply_kernelINS1_18TensorListMetadataILi2EEENS1_11CopyFunctorIN3c1015Float8_e4m3fnuzEbLi2ELi1ELi1EEEJNS0_4CopyIS7_bEEEEEvT_T0_DpT1_: ; @_ZN2at6native12_GLOBAL__N_125multi_tensor_apply_kernelINS1_18TensorListMetadataILi2EEENS1_11CopyFunctorIN3c1015Float8_e4m3fnuzEbLi2ELi1ELi1EEEJNS0_4CopyIS7_bEEEEEvT_T0_DpT1_
; %bb.0:
	v_mov_b32_e32 v1, s15
	s_add_u32 s2, s0, s15
	s_mul_i32 s4, s15, 3
	s_addc_u32 s3, s1, 0
	s_mul_hi_u32 s5, s15, 3
	global_load_u8 v1, v1, s[0:1] offset:1536
	s_add_u32 s2, s2, s4
	s_addc_u32 s3, s3, s5
	s_load_b32 s2, s[2:3], 0x740
	s_waitcnt vmcnt(0)
	v_readfirstlane_b32 s4, v1
	s_delay_alu instid0(VALU_DEP_1)
	s_lshl_b32 s3, s4, 3
	s_clause 0x2
	s_load_b64 s[8:9], s[0:1], s3 offset:0x0
	s_load_b64 s[10:11], s[0:1], s3 offset:0x200
	;; [unrolled: 1-line block ×3, first 2 shown]
	s_waitcnt lgkmcnt(0)
	s_ashr_i32 s3, s2, 31
	s_delay_alu instid0(SALU_CYCLE_1) | instskip(NEXT) | instid1(SALU_CYCLE_1)
	s_lshl_b64 s[12:13], s[2:3], 16
	s_add_u32 s5, s8, s12
	s_addc_u32 s16, s9, s13
	s_add_u32 s14, s10, s12
	s_addc_u32 s15, s11, s13
	s_delay_alu instid0(SALU_CYCLE_1) | instskip(NEXT) | instid1(SALU_CYCLE_1)
	s_or_b64 s[2:3], s[6:7], s[14:15]
	s_or_b32 s2, s5, s2
	s_delay_alu instid0(SALU_CYCLE_1)
	s_and_b32 s2, s2, 3
	s_sub_u32 s6, s6, s12
	s_subb_u32 s7, s7, s13
	s_cmp_eq_u32 s2, 0
	s_mov_b32 s2, -1
	s_cbranch_scc0 .LBB375_29
; %bb.1:
	v_dual_mov_b32 v2, 0 :: v_dual_lshlrev_b32 v1, 2, v0
	s_mov_b32 s17, exec_lo
	s_delay_alu instid0(VALU_DEP_1)
	v_cmpx_gt_i64_e64 s[6:7], v[1:2]
	s_cbranch_execz .LBB375_28
; %bb.2:
	s_load_b32 s2, s[0:1], 0xc5c
	s_mov_b32 s19, 0
	s_waitcnt lgkmcnt(0)
	s_and_b32 s2, s2, 0xffff
	s_delay_alu instid0(SALU_CYCLE_1)
	s_lshl_b32 s18, s2, 2
	s_branch .LBB375_5
.LBB375_3:                              ;   in Loop: Header=BB375_5 Depth=1
	s_or_b32 exec_lo, exec_lo, s3
.LBB375_4:                              ;   in Loop: Header=BB375_5 Depth=1
	s_delay_alu instid0(SALU_CYCLE_1)
	s_or_b32 exec_lo, exec_lo, s2
	v_add_co_u32 v7, vcc_lo, s14, v1
	v_add_co_ci_u32_e32 v8, vcc_lo, s15, v2, vcc_lo
	v_add_co_u32 v1, vcc_lo, s18, v1
	v_add_co_ci_u32_e32 v2, vcc_lo, 0, v2, vcc_lo
	v_lshlrev_b32_e32 v6, 16, v6
	v_lshlrev_b32_e32 v4, 8, v4
	v_and_b32_e32 v3, 0xff, v3
	s_delay_alu instid0(VALU_DEP_4) | instskip(SKIP_3) | instid1(VALU_DEP_3)
	v_cmp_le_i64_e32 vcc_lo, s[6:7], v[1:2]
	v_cmp_lt_u64_e64 s2, 0xffff, v[1:2]
	v_perm_b32 v5, v5, v6, 0x4020c0c
	v_and_b32_e32 v4, 0xff00, v4
	s_or_b32 s2, vcc_lo, s2
	s_delay_alu instid0(VALU_DEP_1) | instskip(SKIP_1) | instid1(SALU_CYCLE_1)
	v_or3_b32 v3, v5, v4, v3
	s_and_b32 s2, exec_lo, s2
	s_or_b32 s19, s2, s19
	global_store_b32 v[7:8], v3, off
	s_and_not1_b32 exec_lo, exec_lo, s19
	s_cbranch_execz .LBB375_28
.LBB375_5:                              ; =>This Inner Loop Header: Depth=1
	v_add_co_u32 v3, vcc_lo, s5, v1
	v_add_co_ci_u32_e32 v4, vcc_lo, s16, v2, vcc_lo
	s_mov_b32 s20, exec_lo
	global_load_b32 v3, v[3:4], off
	s_waitcnt vmcnt(0)
	v_lshrrev_b16 v4, 8, v3
	v_and_b32_e32 v5, 1, v3
	v_and_b32_e32 v6, 0x1000000, v3
	;; [unrolled: 1-line block ×3, first 2 shown]
	s_delay_alu instid0(VALU_DEP_4) | instskip(NEXT) | instid1(VALU_DEP_4)
	v_dual_mov_b32 v4, 0x80 :: v_dual_and_b32 v7, 1, v4
	v_cmp_eq_u32_e32 vcc_lo, 1, v5
	s_delay_alu instid0(VALU_DEP_3) | instskip(SKIP_1) | instid1(VALU_DEP_4)
	v_cmp_ne_u32_e64 s2, 0, v3
	v_mov_b32_e32 v3, 0x80
	v_cmp_eq_u32_e64 s3, 1, v7
	v_cndmask_b32_e64 v5, 0, 1.0, vcc_lo
	v_cmp_ne_u32_e32 vcc_lo, 0, v6
	s_delay_alu instid0(VALU_DEP_2)
	v_cmpx_gt_u32_e32 0x43800000, v5
	s_cbranch_execz .LBB375_11
; %bb.6:                                ;   in Loop: Header=BB375_5 Depth=1
	v_cmp_lt_u32_e64 s4, 0x3bffffff, v5
                                        ; implicit-def: $vgpr3
	s_delay_alu instid0(VALU_DEP_1) | instskip(NEXT) | instid1(SALU_CYCLE_1)
	s_and_saveexec_b32 s21, s4
	s_xor_b32 s4, exec_lo, s21
; %bb.7:                                ;   in Loop: Header=BB375_5 Depth=1
	v_bfe_u32 v3, v5, 20, 1
	s_delay_alu instid0(VALU_DEP_1) | instskip(NEXT) | instid1(VALU_DEP_1)
	v_add3_u32 v3, v5, v3, 0x487ffff
                                        ; implicit-def: $vgpr5
	v_lshrrev_b32_e32 v3, 20, v3
; %bb.8:                                ;   in Loop: Header=BB375_5 Depth=1
	s_and_not1_saveexec_b32 s4, s4
; %bb.9:                                ;   in Loop: Header=BB375_5 Depth=1
	v_add_f32_e32 v3, 0x46000000, v5
; %bb.10:                               ;   in Loop: Header=BB375_5 Depth=1
	s_or_b32 exec_lo, exec_lo, s4
.LBB375_11:                             ;   in Loop: Header=BB375_5 Depth=1
	s_delay_alu instid0(SALU_CYCLE_1) | instskip(SKIP_2) | instid1(VALU_DEP_1)
	s_or_b32 exec_lo, exec_lo, s20
	v_cndmask_b32_e64 v5, 0, 1.0, s3
	s_mov_b32 s4, exec_lo
	v_cmpx_gt_u32_e32 0x43800000, v5
	s_cbranch_execz .LBB375_17
; %bb.12:                               ;   in Loop: Header=BB375_5 Depth=1
	v_cmp_lt_u32_e64 s3, 0x3bffffff, v5
                                        ; implicit-def: $vgpr4
	s_delay_alu instid0(VALU_DEP_1) | instskip(NEXT) | instid1(SALU_CYCLE_1)
	s_and_saveexec_b32 s20, s3
	s_xor_b32 s3, exec_lo, s20
; %bb.13:                               ;   in Loop: Header=BB375_5 Depth=1
	v_bfe_u32 v4, v5, 20, 1
	s_delay_alu instid0(VALU_DEP_1) | instskip(NEXT) | instid1(VALU_DEP_1)
	v_add3_u32 v4, v5, v4, 0x487ffff
                                        ; implicit-def: $vgpr5
	v_lshrrev_b32_e32 v4, 20, v4
; %bb.14:                               ;   in Loop: Header=BB375_5 Depth=1
	s_and_not1_saveexec_b32 s3, s3
; %bb.15:                               ;   in Loop: Header=BB375_5 Depth=1
	v_add_f32_e32 v4, 0x46000000, v5
	s_delay_alu instid0(VALU_DEP_1)
	v_and_b32_e32 v4, 0xff, v4
; %bb.16:                               ;   in Loop: Header=BB375_5 Depth=1
	s_or_b32 exec_lo, exec_lo, s3
.LBB375_17:                             ;   in Loop: Header=BB375_5 Depth=1
	s_delay_alu instid0(SALU_CYCLE_1) | instskip(SKIP_3) | instid1(VALU_DEP_2)
	s_or_b32 exec_lo, exec_lo, s4
	v_cndmask_b32_e64 v7, 0, 1.0, s2
	v_dual_mov_b32 v5, 0x80 :: v_dual_mov_b32 v6, 0x80
	s_mov_b32 s3, exec_lo
	v_cmpx_gt_u32_e32 0x43800000, v7
	s_cbranch_execz .LBB375_23
; %bb.18:                               ;   in Loop: Header=BB375_5 Depth=1
	v_cmp_lt_u32_e64 s2, 0x3bffffff, v7
                                        ; implicit-def: $vgpr6
	s_delay_alu instid0(VALU_DEP_1) | instskip(NEXT) | instid1(SALU_CYCLE_1)
	s_and_saveexec_b32 s4, s2
	s_xor_b32 s2, exec_lo, s4
; %bb.19:                               ;   in Loop: Header=BB375_5 Depth=1
	v_bfe_u32 v6, v7, 20, 1
	s_delay_alu instid0(VALU_DEP_1) | instskip(NEXT) | instid1(VALU_DEP_1)
	v_add3_u32 v6, v7, v6, 0x487ffff
                                        ; implicit-def: $vgpr7
	v_lshrrev_b32_e32 v6, 20, v6
; %bb.20:                               ;   in Loop: Header=BB375_5 Depth=1
	s_and_not1_saveexec_b32 s2, s2
; %bb.21:                               ;   in Loop: Header=BB375_5 Depth=1
	v_add_f32_e32 v6, 0x46000000, v7
	s_delay_alu instid0(VALU_DEP_1)
	v_and_b32_e32 v6, 0xff, v6
; %bb.22:                               ;   in Loop: Header=BB375_5 Depth=1
	s_or_b32 exec_lo, exec_lo, s2
.LBB375_23:                             ;   in Loop: Header=BB375_5 Depth=1
	s_delay_alu instid0(SALU_CYCLE_1) | instskip(SKIP_2) | instid1(VALU_DEP_1)
	s_or_b32 exec_lo, exec_lo, s3
	v_cndmask_b32_e64 v7, 0, 1.0, vcc_lo
	s_mov_b32 s2, exec_lo
	v_cmpx_gt_u32_e32 0x43800000, v7
	s_cbranch_execz .LBB375_4
; %bb.24:                               ;   in Loop: Header=BB375_5 Depth=1
	s_mov_b32 s3, exec_lo
                                        ; implicit-def: $vgpr5
	v_cmpx_lt_u32_e32 0x3bffffff, v7
	s_xor_b32 s3, exec_lo, s3
; %bb.25:                               ;   in Loop: Header=BB375_5 Depth=1
	v_bfe_u32 v5, v7, 20, 1
	s_delay_alu instid0(VALU_DEP_1) | instskip(NEXT) | instid1(VALU_DEP_1)
	v_add3_u32 v5, v7, v5, 0x487ffff
                                        ; implicit-def: $vgpr7
	v_lshrrev_b32_e32 v5, 20, v5
; %bb.26:                               ;   in Loop: Header=BB375_5 Depth=1
	s_and_not1_saveexec_b32 s3, s3
	s_cbranch_execz .LBB375_3
; %bb.27:                               ;   in Loop: Header=BB375_5 Depth=1
	v_add_f32_e32 v5, 0x46000000, v7
	s_branch .LBB375_3
.LBB375_28:
	s_or_b32 exec_lo, exec_lo, s17
	s_mov_b32 s2, 0
.LBB375_29:
	s_delay_alu instid0(SALU_CYCLE_1)
	s_and_not1_b32 vcc_lo, exec_lo, s2
	s_cbranch_vccnz .LBB375_81
; %bb.30:
	v_cmp_lt_i64_e64 s2, s[6:7], 1
	s_delay_alu instid0(VALU_DEP_1)
	s_and_b32 vcc_lo, exec_lo, s2
	s_cbranch_vccnz .LBB375_81
; %bb.31:
	s_load_b32 s0, s[0:1], 0xc5c
	v_add_co_u32 v1, s1, s12, v0
	s_delay_alu instid0(VALU_DEP_1) | instskip(SKIP_1) | instid1(VALU_DEP_3)
	v_add_co_ci_u32_e64 v2, null, s13, 0, s1
	v_cmp_gt_u64_e64 s1, 0x10000, s[6:7]
	v_add_co_u32 v9, vcc_lo, s8, v1
	s_delay_alu instid0(VALU_DEP_3)
	v_add_co_ci_u32_e32 v10, vcc_lo, s9, v2, vcc_lo
	v_add_co_u32 v11, vcc_lo, s10, v1
	v_add_co_ci_u32_e32 v12, vcc_lo, s11, v2, vcc_lo
                                        ; implicit-def: $vgpr31
                                        ; implicit-def: $vgpr32
                                        ; implicit-def: $vgpr33
                                        ; implicit-def: $vgpr34
	s_waitcnt lgkmcnt(0)
	s_and_b32 s0, s0, 0xffff
	s_and_b32 s1, s1, exec_lo
	s_mul_i32 s2, s0, 3
	s_cselect_b32 s5, s7, 0
	s_cselect_b32 s4, s6, 0x10000
	s_lshl_b32 s1, s0, 1
	s_lshl_b32 s3, s0, 2
	s_add_u32 s14, s12, s2
	s_addc_u32 s15, s13, 0
	v_add_co_u32 v3, s14, s14, v0
	s_delay_alu instid0(VALU_DEP_1) | instskip(SKIP_1) | instid1(VALU_DEP_2)
	v_add_co_ci_u32_e64 v4, null, s15, 0, s14
	s_add_u32 s12, s12, s1
	v_add_co_u32 v13, vcc_lo, s8, v3
	s_delay_alu instid0(VALU_DEP_2)
	v_add_co_ci_u32_e32 v14, vcc_lo, s9, v4, vcc_lo
	v_add_co_u32 v15, vcc_lo, s10, v3
	s_addc_u32 s13, s13, 0
	v_add_co_u32 v3, s12, s12, v0
	v_add_co_ci_u32_e32 v16, vcc_lo, s11, v4, vcc_lo
	v_add_co_ci_u32_e64 v4, null, s13, 0, s12
	s_delay_alu instid0(VALU_DEP_3) | instskip(SKIP_1) | instid1(VALU_DEP_3)
	v_add_co_u32 v19, vcc_lo, s8, v3
	v_add_co_u32 v17, s2, s2, v0
	v_add_co_ci_u32_e32 v20, vcc_lo, s9, v4, vcc_lo
	v_add_co_u32 v21, vcc_lo, s10, v3
	v_add_co_ci_u32_e32 v22, vcc_lo, s11, v4, vcc_lo
	v_add_co_u32 v1, vcc_lo, v1, s0
	v_add_co_ci_u32_e32 v2, vcc_lo, 0, v2, vcc_lo
	v_add_co_u32 v23, s1, s1, v0
	s_delay_alu instid0(VALU_DEP_3) | instskip(NEXT) | instid1(VALU_DEP_3)
	v_add_co_u32 v25, vcc_lo, s8, v1
	v_add_co_ci_u32_e32 v26, vcc_lo, s9, v2, vcc_lo
	v_add_co_u32 v27, vcc_lo, s10, v1
	v_add_co_u32 v29, s0, v0, s0
	v_add_co_ci_u32_e64 v18, null, 0, 0, s2
	v_add_co_ci_u32_e64 v24, null, 0, 0, s1
	v_add_co_ci_u32_e32 v28, vcc_lo, s11, v2, vcc_lo
	v_add_co_ci_u32_e64 v30, null, 0, 0, s0
	s_mov_b64 s[8:9], 0
	s_branch .LBB375_33
.LBB375_32:                             ;   in Loop: Header=BB375_33 Depth=1
	s_or_b32 exec_lo, exec_lo, s0
	s_add_u32 s8, s8, s3
	s_addc_u32 s9, s9, 0
	s_delay_alu instid0(SALU_CYCLE_1) | instskip(SKIP_1) | instid1(VALU_DEP_1)
	v_cmp_ge_i64_e64 s0, s[8:9], s[6:7]
	v_cmp_lt_u64_e64 s1, 0xffff, s[8:9]
	s_or_b32 s0, s0, s1
	s_delay_alu instid0(SALU_CYCLE_1)
	s_and_b32 vcc_lo, exec_lo, s0
	s_cbranch_vccnz .LBB375_81
.LBB375_33:                             ; =>This Inner Loop Header: Depth=1
	v_add_co_u32 v1, s0, v0, s8
	s_delay_alu instid0(VALU_DEP_1) | instskip(NEXT) | instid1(VALU_DEP_1)
	v_add_co_ci_u32_e64 v2, null, 0, s9, s0
	v_cmp_gt_i64_e32 vcc_lo, s[6:7], v[1:2]
	v_cmp_gt_u64_e64 s0, 0x10000, v[1:2]
	s_delay_alu instid0(VALU_DEP_1) | instskip(NEXT) | instid1(SALU_CYCLE_1)
	s_and_b32 s1, vcc_lo, s0
	s_and_saveexec_b32 s0, s1
	s_cbranch_execz .LBB375_35
; %bb.34:                               ;   in Loop: Header=BB375_33 Depth=1
	v_add_co_u32 v3, vcc_lo, v9, s8
	v_add_co_ci_u32_e32 v4, vcc_lo, s9, v10, vcc_lo
	global_load_u8 v31, v[3:4], off
.LBB375_35:                             ;   in Loop: Header=BB375_33 Depth=1
	s_or_b32 exec_lo, exec_lo, s0
	v_add_co_u32 v3, vcc_lo, v29, s8
	v_add_co_ci_u32_e32 v4, vcc_lo, s9, v30, vcc_lo
	s_delay_alu instid0(VALU_DEP_1) | instskip(SKIP_1) | instid1(VALU_DEP_1)
	v_cmp_gt_i64_e32 vcc_lo, s[6:7], v[3:4]
	v_cmp_gt_u64_e64 s0, 0x10000, v[3:4]
	s_and_b32 s1, vcc_lo, s0
	s_delay_alu instid0(SALU_CYCLE_1)
	s_and_saveexec_b32 s0, s1
	s_cbranch_execz .LBB375_37
; %bb.36:                               ;   in Loop: Header=BB375_33 Depth=1
	v_add_co_u32 v5, vcc_lo, v25, s8
	v_add_co_ci_u32_e32 v6, vcc_lo, s9, v26, vcc_lo
	global_load_u8 v32, v[5:6], off
.LBB375_37:                             ;   in Loop: Header=BB375_33 Depth=1
	s_or_b32 exec_lo, exec_lo, s0
	v_add_co_u32 v5, vcc_lo, v23, s8
	v_add_co_ci_u32_e32 v6, vcc_lo, s9, v24, vcc_lo
	s_delay_alu instid0(VALU_DEP_1) | instskip(SKIP_1) | instid1(VALU_DEP_1)
	v_cmp_gt_i64_e32 vcc_lo, s[6:7], v[5:6]
	v_cmp_gt_u64_e64 s0, 0x10000, v[5:6]
	s_and_b32 s1, vcc_lo, s0
	s_delay_alu instid0(SALU_CYCLE_1)
	s_and_saveexec_b32 s0, s1
	s_cbranch_execz .LBB375_39
; %bb.38:                               ;   in Loop: Header=BB375_33 Depth=1
	v_add_co_u32 v7, vcc_lo, v19, s8
	v_add_co_ci_u32_e32 v8, vcc_lo, s9, v20, vcc_lo
	global_load_u8 v33, v[7:8], off
.LBB375_39:                             ;   in Loop: Header=BB375_33 Depth=1
	s_or_b32 exec_lo, exec_lo, s0
	v_add_co_u32 v7, vcc_lo, v17, s8
	v_add_co_ci_u32_e32 v8, vcc_lo, s9, v18, vcc_lo
	s_delay_alu instid0(VALU_DEP_1) | instskip(SKIP_1) | instid1(VALU_DEP_1)
	v_cmp_gt_i64_e32 vcc_lo, s[6:7], v[7:8]
	v_cmp_gt_u64_e64 s0, 0x10000, v[7:8]
	s_and_b32 s1, vcc_lo, s0
	s_delay_alu instid0(SALU_CYCLE_1)
	s_and_saveexec_b32 s0, s1
	s_cbranch_execz .LBB375_41
; %bb.40:                               ;   in Loop: Header=BB375_33 Depth=1
	v_add_co_u32 v34, vcc_lo, v13, s8
	v_add_co_ci_u32_e32 v35, vcc_lo, s9, v14, vcc_lo
	global_load_u8 v34, v[34:35], off
.LBB375_41:                             ;   in Loop: Header=BB375_33 Depth=1
	s_or_b32 exec_lo, exec_lo, s0
	s_waitcnt vmcnt(0)
	v_and_b32_e32 v35, 1, v31
	v_and_b32_e32 v36, 1, v32
	;; [unrolled: 1-line block ×4, first 2 shown]
	s_mov_b32 s10, exec_lo
	s_delay_alu instid0(VALU_DEP_3)
	v_cmp_eq_u32_e64 s1, 1, v36
	v_mov_b32_e32 v36, 0x80
	v_cmp_eq_u32_e32 vcc_lo, 1, v35
	v_mov_b32_e32 v35, 0x80
	v_cmp_eq_u32_e64 s0, 1, v37
	v_cndmask_b32_e64 v38, 0, 1.0, vcc_lo
	v_cmp_eq_u32_e32 vcc_lo, 1, v39
	s_delay_alu instid0(VALU_DEP_2)
	v_cmpx_gt_u32_e32 0x43800000, v38
	s_cbranch_execz .LBB375_47
; %bb.42:                               ;   in Loop: Header=BB375_33 Depth=1
	v_cmp_lt_u32_e64 s2, 0x3bffffff, v38
	s_mov_b32 s11, 0
                                        ; implicit-def: $vgpr37
	s_delay_alu instid0(VALU_DEP_1) | instskip(NEXT) | instid1(SALU_CYCLE_1)
	s_and_saveexec_b32 s12, s2
	s_xor_b32 s2, exec_lo, s12
	s_cbranch_execnz .LBB375_73
; %bb.43:                               ;   in Loop: Header=BB375_33 Depth=1
	s_or_saveexec_b32 s12, s2
                                        ; implicit-def: $sgpr2
	s_delay_alu instid0(SALU_CYCLE_1)
	s_xor_b32 exec_lo, exec_lo, s12
	s_cbranch_execnz .LBB375_74
.LBB375_44:                             ;   in Loop: Header=BB375_33 Depth=1
	s_or_b32 exec_lo, exec_lo, s12
	v_mov_b32_e32 v36, s2
	s_and_saveexec_b32 s2, s11
.LBB375_45:                             ;   in Loop: Header=BB375_33 Depth=1
	v_mov_b32_e32 v36, v37
.LBB375_46:                             ;   in Loop: Header=BB375_33 Depth=1
	s_or_b32 exec_lo, exec_lo, s2
.LBB375_47:                             ;   in Loop: Header=BB375_33 Depth=1
	s_delay_alu instid0(SALU_CYCLE_1) | instskip(SKIP_2) | instid1(VALU_DEP_1)
	s_or_b32 exec_lo, exec_lo, s10
	v_cndmask_b32_e64 v38, 0, 1.0, s1
	s_mov_b32 s2, exec_lo
	v_cmpx_gt_u32_e32 0x43800000, v38
	s_cbranch_execz .LBB375_53
; %bb.48:                               ;   in Loop: Header=BB375_33 Depth=1
	v_cmp_lt_u32_e64 s1, 0x3bffffff, v38
	s_mov_b32 s10, 0
                                        ; implicit-def: $vgpr37
	s_delay_alu instid0(VALU_DEP_1) | instskip(NEXT) | instid1(SALU_CYCLE_1)
	s_and_saveexec_b32 s11, s1
	s_xor_b32 s1, exec_lo, s11
	s_cbranch_execnz .LBB375_75
; %bb.49:                               ;   in Loop: Header=BB375_33 Depth=1
	s_or_saveexec_b32 s11, s1
                                        ; implicit-def: $sgpr1
	s_delay_alu instid0(SALU_CYCLE_1)
	s_xor_b32 exec_lo, exec_lo, s11
	s_cbranch_execnz .LBB375_76
.LBB375_50:                             ;   in Loop: Header=BB375_33 Depth=1
	s_or_b32 exec_lo, exec_lo, s11
	v_mov_b32_e32 v35, s1
	s_and_saveexec_b32 s1, s10
.LBB375_51:                             ;   in Loop: Header=BB375_33 Depth=1
	v_mov_b32_e32 v35, v37
.LBB375_52:                             ;   in Loop: Header=BB375_33 Depth=1
	s_or_b32 exec_lo, exec_lo, s1
.LBB375_53:                             ;   in Loop: Header=BB375_33 Depth=1
	s_delay_alu instid0(SALU_CYCLE_1) | instskip(SKIP_3) | instid1(VALU_DEP_2)
	s_or_b32 exec_lo, exec_lo, s2
	v_cndmask_b32_e64 v40, 0, 1.0, s0
	v_dual_mov_b32 v37, 0x80 :: v_dual_mov_b32 v38, 0x80
	s_mov_b32 s1, exec_lo
	v_cmpx_gt_u32_e32 0x43800000, v40
	s_cbranch_execz .LBB375_59
; %bb.54:                               ;   in Loop: Header=BB375_33 Depth=1
	v_cmp_lt_u32_e64 s0, 0x3bffffff, v40
	s_mov_b32 s2, 0
                                        ; implicit-def: $vgpr39
	s_delay_alu instid0(VALU_DEP_1) | instskip(NEXT) | instid1(SALU_CYCLE_1)
	s_and_saveexec_b32 s10, s0
	s_xor_b32 s0, exec_lo, s10
	s_cbranch_execnz .LBB375_77
; %bb.55:                               ;   in Loop: Header=BB375_33 Depth=1
	s_or_saveexec_b32 s10, s0
                                        ; implicit-def: $sgpr0
	s_delay_alu instid0(SALU_CYCLE_1)
	s_xor_b32 exec_lo, exec_lo, s10
	s_cbranch_execnz .LBB375_78
.LBB375_56:                             ;   in Loop: Header=BB375_33 Depth=1
	s_or_b32 exec_lo, exec_lo, s10
	v_mov_b32_e32 v38, s0
	s_and_saveexec_b32 s0, s2
.LBB375_57:                             ;   in Loop: Header=BB375_33 Depth=1
	v_mov_b32_e32 v38, v39
.LBB375_58:                             ;   in Loop: Header=BB375_33 Depth=1
	s_or_b32 exec_lo, exec_lo, s0
.LBB375_59:                             ;   in Loop: Header=BB375_33 Depth=1
	s_delay_alu instid0(SALU_CYCLE_1) | instskip(SKIP_2) | instid1(VALU_DEP_1)
	s_or_b32 exec_lo, exec_lo, s1
	v_cndmask_b32_e64 v40, 0, 1.0, vcc_lo
	s_mov_b32 s0, exec_lo
	v_cmpx_gt_u32_e32 0x43800000, v40
	s_cbranch_execz .LBB375_65
; %bb.60:                               ;   in Loop: Header=BB375_33 Depth=1
	s_mov_b32 s1, 0
	s_mov_b32 s2, exec_lo
                                        ; implicit-def: $vgpr39
	v_cmpx_lt_u32_e32 0x3bffffff, v40
	s_xor_b32 s2, exec_lo, s2
	s_cbranch_execnz .LBB375_79
; %bb.61:                               ;   in Loop: Header=BB375_33 Depth=1
	s_or_saveexec_b32 s2, s2
                                        ; implicit-def: $sgpr10
	s_delay_alu instid0(SALU_CYCLE_1)
	s_xor_b32 exec_lo, exec_lo, s2
	s_cbranch_execnz .LBB375_80
.LBB375_62:                             ;   in Loop: Header=BB375_33 Depth=1
	s_or_b32 exec_lo, exec_lo, s2
	v_mov_b32_e32 v37, s10
	s_and_saveexec_b32 s2, s1
.LBB375_63:                             ;   in Loop: Header=BB375_33 Depth=1
	v_mov_b32_e32 v37, v39
.LBB375_64:                             ;   in Loop: Header=BB375_33 Depth=1
	s_or_b32 exec_lo, exec_lo, s2
.LBB375_65:                             ;   in Loop: Header=BB375_33 Depth=1
	s_delay_alu instid0(SALU_CYCLE_1) | instskip(NEXT) | instid1(SALU_CYCLE_1)
	s_or_b32 exec_lo, exec_lo, s0
	s_mov_b32 s0, exec_lo
	v_cmpx_gt_u64_e64 s[4:5], v[1:2]
	s_xor_b32 s0, exec_lo, s0
	s_cbranch_execnz .LBB375_69
; %bb.66:                               ;   in Loop: Header=BB375_33 Depth=1
	s_or_b32 exec_lo, exec_lo, s0
	s_delay_alu instid0(SALU_CYCLE_1)
	s_mov_b32 s0, exec_lo
	v_cmpx_gt_u64_e64 s[4:5], v[3:4]
	s_cbranch_execnz .LBB375_70
.LBB375_67:                             ;   in Loop: Header=BB375_33 Depth=1
	s_or_b32 exec_lo, exec_lo, s0
	s_delay_alu instid0(SALU_CYCLE_1)
	s_mov_b32 s0, exec_lo
	v_cmpx_gt_u64_e64 s[4:5], v[5:6]
	s_cbranch_execnz .LBB375_71
.LBB375_68:                             ;   in Loop: Header=BB375_33 Depth=1
	s_or_b32 exec_lo, exec_lo, s0
	s_delay_alu instid0(SALU_CYCLE_1)
	s_mov_b32 s0, exec_lo
	v_cmpx_gt_u64_e64 s[4:5], v[7:8]
	s_cbranch_execz .LBB375_32
	s_branch .LBB375_72
.LBB375_69:                             ;   in Loop: Header=BB375_33 Depth=1
	v_add_co_u32 v1, vcc_lo, v11, s8
	v_add_co_ci_u32_e32 v2, vcc_lo, s9, v12, vcc_lo
	global_store_b8 v[1:2], v36, off
	s_or_b32 exec_lo, exec_lo, s0
	s_delay_alu instid0(SALU_CYCLE_1)
	s_mov_b32 s0, exec_lo
	v_cmpx_gt_u64_e64 s[4:5], v[3:4]
	s_cbranch_execz .LBB375_67
.LBB375_70:                             ;   in Loop: Header=BB375_33 Depth=1
	v_add_co_u32 v1, vcc_lo, v27, s8
	v_add_co_ci_u32_e32 v2, vcc_lo, s9, v28, vcc_lo
	global_store_b8 v[1:2], v35, off
	s_or_b32 exec_lo, exec_lo, s0
	s_delay_alu instid0(SALU_CYCLE_1)
	s_mov_b32 s0, exec_lo
	v_cmpx_gt_u64_e64 s[4:5], v[5:6]
	s_cbranch_execz .LBB375_68
.LBB375_71:                             ;   in Loop: Header=BB375_33 Depth=1
	v_add_co_u32 v1, vcc_lo, v21, s8
	v_add_co_ci_u32_e32 v2, vcc_lo, s9, v22, vcc_lo
	global_store_b8 v[1:2], v38, off
	s_or_b32 exec_lo, exec_lo, s0
	s_delay_alu instid0(SALU_CYCLE_1)
	s_mov_b32 s0, exec_lo
	v_cmpx_gt_u64_e64 s[4:5], v[7:8]
	s_cbranch_execz .LBB375_32
.LBB375_72:                             ;   in Loop: Header=BB375_33 Depth=1
	v_add_co_u32 v1, vcc_lo, v15, s8
	v_add_co_ci_u32_e32 v2, vcc_lo, s9, v16, vcc_lo
	global_store_b8 v[1:2], v37, off
	s_branch .LBB375_32
.LBB375_73:                             ;   in Loop: Header=BB375_33 Depth=1
	v_bfe_u32 v36, v38, 20, 1
	s_mov_b32 s11, exec_lo
	s_delay_alu instid0(VALU_DEP_1) | instskip(NEXT) | instid1(VALU_DEP_1)
	v_add3_u32 v36, v38, v36, 0x487ffff
                                        ; implicit-def: $vgpr38
	v_lshrrev_b32_e32 v37, 20, v36
	s_or_saveexec_b32 s12, s2
                                        ; implicit-def: $sgpr2
	s_delay_alu instid0(SALU_CYCLE_1)
	s_xor_b32 exec_lo, exec_lo, s12
	s_cbranch_execz .LBB375_44
.LBB375_74:                             ;   in Loop: Header=BB375_33 Depth=1
	v_add_f32_e32 v36, 0x46000000, v38
	s_and_not1_b32 s11, s11, exec_lo
	s_delay_alu instid0(VALU_DEP_1) | instskip(NEXT) | instid1(VALU_DEP_1)
	v_and_b32_e32 v37, 0xff, v36
	v_cmp_ne_u32_e64 s2, 0, v37
	s_delay_alu instid0(VALU_DEP_1)
	s_and_b32 s13, s2, exec_lo
	s_mov_b32 s2, 0
	s_or_b32 s11, s11, s13
	s_or_b32 exec_lo, exec_lo, s12
	v_mov_b32_e32 v36, s2
	s_and_saveexec_b32 s2, s11
	s_cbranch_execnz .LBB375_45
	s_branch .LBB375_46
.LBB375_75:                             ;   in Loop: Header=BB375_33 Depth=1
	v_bfe_u32 v35, v38, 20, 1
	s_mov_b32 s10, exec_lo
	s_delay_alu instid0(VALU_DEP_1) | instskip(NEXT) | instid1(VALU_DEP_1)
	v_add3_u32 v35, v38, v35, 0x487ffff
                                        ; implicit-def: $vgpr38
	v_lshrrev_b32_e32 v37, 20, v35
	s_or_saveexec_b32 s11, s1
                                        ; implicit-def: $sgpr1
	s_delay_alu instid0(SALU_CYCLE_1)
	s_xor_b32 exec_lo, exec_lo, s11
	s_cbranch_execz .LBB375_50
.LBB375_76:                             ;   in Loop: Header=BB375_33 Depth=1
	v_add_f32_e32 v35, 0x46000000, v38
	s_and_not1_b32 s10, s10, exec_lo
	s_delay_alu instid0(VALU_DEP_1) | instskip(NEXT) | instid1(VALU_DEP_1)
	v_and_b32_e32 v37, 0xff, v35
	v_cmp_ne_u32_e64 s1, 0, v37
	s_delay_alu instid0(VALU_DEP_1)
	s_and_b32 s12, s1, exec_lo
	s_mov_b32 s1, 0
	s_or_b32 s10, s10, s12
	s_or_b32 exec_lo, exec_lo, s11
	v_mov_b32_e32 v35, s1
	s_and_saveexec_b32 s1, s10
	s_cbranch_execnz .LBB375_51
	s_branch .LBB375_52
.LBB375_77:                             ;   in Loop: Header=BB375_33 Depth=1
	v_bfe_u32 v38, v40, 20, 1
	s_mov_b32 s2, exec_lo
	s_delay_alu instid0(VALU_DEP_1) | instskip(NEXT) | instid1(VALU_DEP_1)
	v_add3_u32 v38, v40, v38, 0x487ffff
                                        ; implicit-def: $vgpr40
	v_lshrrev_b32_e32 v39, 20, v38
	s_or_saveexec_b32 s10, s0
                                        ; implicit-def: $sgpr0
	s_delay_alu instid0(SALU_CYCLE_1)
	s_xor_b32 exec_lo, exec_lo, s10
	s_cbranch_execz .LBB375_56
.LBB375_78:                             ;   in Loop: Header=BB375_33 Depth=1
	v_add_f32_e32 v38, 0x46000000, v40
	s_and_not1_b32 s2, s2, exec_lo
	s_delay_alu instid0(VALU_DEP_1) | instskip(NEXT) | instid1(VALU_DEP_1)
	v_and_b32_e32 v39, 0xff, v38
	v_cmp_ne_u32_e64 s0, 0, v39
	s_delay_alu instid0(VALU_DEP_1)
	s_and_b32 s11, s0, exec_lo
	s_mov_b32 s0, 0
	s_or_b32 s2, s2, s11
	s_or_b32 exec_lo, exec_lo, s10
	v_mov_b32_e32 v38, s0
	s_and_saveexec_b32 s0, s2
	s_cbranch_execnz .LBB375_57
	s_branch .LBB375_58
.LBB375_79:                             ;   in Loop: Header=BB375_33 Depth=1
	v_bfe_u32 v37, v40, 20, 1
	s_mov_b32 s1, exec_lo
	s_delay_alu instid0(VALU_DEP_1) | instskip(NEXT) | instid1(VALU_DEP_1)
	v_add3_u32 v37, v40, v37, 0x487ffff
                                        ; implicit-def: $vgpr40
	v_lshrrev_b32_e32 v39, 20, v37
	s_or_saveexec_b32 s2, s2
                                        ; implicit-def: $sgpr10
	s_delay_alu instid0(SALU_CYCLE_1)
	s_xor_b32 exec_lo, exec_lo, s2
	s_cbranch_execz .LBB375_62
.LBB375_80:                             ;   in Loop: Header=BB375_33 Depth=1
	v_add_f32_e32 v37, 0x46000000, v40
	s_and_not1_b32 s1, s1, exec_lo
	s_mov_b32 s10, 0
	s_delay_alu instid0(VALU_DEP_1) | instskip(NEXT) | instid1(VALU_DEP_1)
	v_and_b32_e32 v39, 0xff, v37
	v_cmp_ne_u32_e32 vcc_lo, 0, v39
	s_and_b32 s11, vcc_lo, exec_lo
	s_delay_alu instid0(SALU_CYCLE_1)
	s_or_b32 s1, s1, s11
	s_or_b32 exec_lo, exec_lo, s2
	v_mov_b32_e32 v37, s10
	s_and_saveexec_b32 s2, s1
	s_cbranch_execnz .LBB375_63
	s_branch .LBB375_64
.LBB375_81:
	s_nop 0
	s_sendmsg sendmsg(MSG_DEALLOC_VGPRS)
	s_endpgm
	.section	.rodata,"a",@progbits
	.p2align	6, 0x0
	.amdhsa_kernel _ZN2at6native12_GLOBAL__N_125multi_tensor_apply_kernelINS1_18TensorListMetadataILi2EEENS1_11CopyFunctorIN3c1015Float8_e4m3fnuzEbLi2ELi1ELi1EEEJNS0_4CopyIS7_bEEEEEvT_T0_DpT1_
		.amdhsa_group_segment_fixed_size 0
		.amdhsa_private_segment_fixed_size 0
		.amdhsa_kernarg_size 3408
		.amdhsa_user_sgpr_count 15
		.amdhsa_user_sgpr_dispatch_ptr 0
		.amdhsa_user_sgpr_queue_ptr 0
		.amdhsa_user_sgpr_kernarg_segment_ptr 1
		.amdhsa_user_sgpr_dispatch_id 0
		.amdhsa_user_sgpr_private_segment_size 0
		.amdhsa_wavefront_size32 1
		.amdhsa_uses_dynamic_stack 0
		.amdhsa_enable_private_segment 0
		.amdhsa_system_sgpr_workgroup_id_x 1
		.amdhsa_system_sgpr_workgroup_id_y 0
		.amdhsa_system_sgpr_workgroup_id_z 0
		.amdhsa_system_sgpr_workgroup_info 0
		.amdhsa_system_vgpr_workitem_id 0
		.amdhsa_next_free_vgpr 41
		.amdhsa_next_free_sgpr 22
		.amdhsa_reserve_vcc 1
		.amdhsa_float_round_mode_32 0
		.amdhsa_float_round_mode_16_64 0
		.amdhsa_float_denorm_mode_32 3
		.amdhsa_float_denorm_mode_16_64 3
		.amdhsa_dx10_clamp 1
		.amdhsa_ieee_mode 1
		.amdhsa_fp16_overflow 0
		.amdhsa_workgroup_processor_mode 1
		.amdhsa_memory_ordered 1
		.amdhsa_forward_progress 0
		.amdhsa_shared_vgpr_count 0
		.amdhsa_exception_fp_ieee_invalid_op 0
		.amdhsa_exception_fp_denorm_src 0
		.amdhsa_exception_fp_ieee_div_zero 0
		.amdhsa_exception_fp_ieee_overflow 0
		.amdhsa_exception_fp_ieee_underflow 0
		.amdhsa_exception_fp_ieee_inexact 0
		.amdhsa_exception_int_div_zero 0
	.end_amdhsa_kernel
	.section	.text._ZN2at6native12_GLOBAL__N_125multi_tensor_apply_kernelINS1_18TensorListMetadataILi2EEENS1_11CopyFunctorIN3c1015Float8_e4m3fnuzEbLi2ELi1ELi1EEEJNS0_4CopyIS7_bEEEEEvT_T0_DpT1_,"axG",@progbits,_ZN2at6native12_GLOBAL__N_125multi_tensor_apply_kernelINS1_18TensorListMetadataILi2EEENS1_11CopyFunctorIN3c1015Float8_e4m3fnuzEbLi2ELi1ELi1EEEJNS0_4CopyIS7_bEEEEEvT_T0_DpT1_,comdat
.Lfunc_end375:
	.size	_ZN2at6native12_GLOBAL__N_125multi_tensor_apply_kernelINS1_18TensorListMetadataILi2EEENS1_11CopyFunctorIN3c1015Float8_e4m3fnuzEbLi2ELi1ELi1EEEJNS0_4CopyIS7_bEEEEEvT_T0_DpT1_, .Lfunc_end375-_ZN2at6native12_GLOBAL__N_125multi_tensor_apply_kernelINS1_18TensorListMetadataILi2EEENS1_11CopyFunctorIN3c1015Float8_e4m3fnuzEbLi2ELi1ELi1EEEJNS0_4CopyIS7_bEEEEEvT_T0_DpT1_
                                        ; -- End function
	.section	.AMDGPU.csdata,"",@progbits
; Kernel info:
; codeLenInByte = 2780
; NumSgprs: 24
; NumVgprs: 41
; ScratchSize: 0
; MemoryBound: 0
; FloatMode: 240
; IeeeMode: 1
; LDSByteSize: 0 bytes/workgroup (compile time only)
; SGPRBlocks: 2
; VGPRBlocks: 5
; NumSGPRsForWavesPerEU: 24
; NumVGPRsForWavesPerEU: 41
; Occupancy: 16
; WaveLimiterHint : 0
; COMPUTE_PGM_RSRC2:SCRATCH_EN: 0
; COMPUTE_PGM_RSRC2:USER_SGPR: 15
; COMPUTE_PGM_RSRC2:TRAP_HANDLER: 0
; COMPUTE_PGM_RSRC2:TGID_X_EN: 1
; COMPUTE_PGM_RSRC2:TGID_Y_EN: 0
; COMPUTE_PGM_RSRC2:TGID_Z_EN: 0
; COMPUTE_PGM_RSRC2:TIDIG_COMP_CNT: 0
	.section	.text._ZN2at6native12_GLOBAL__N_125multi_tensor_apply_kernelINS1_18TensorListMetadataILi2EEENS1_11CopyFunctorIN3c1015Float8_e4m3fnuzENS6_13Float8_e4m3fnELi2ELi1ELi1EEEJNS0_4CopyIS7_S8_EEEEEvT_T0_DpT1_,"axG",@progbits,_ZN2at6native12_GLOBAL__N_125multi_tensor_apply_kernelINS1_18TensorListMetadataILi2EEENS1_11CopyFunctorIN3c1015Float8_e4m3fnuzENS6_13Float8_e4m3fnELi2ELi1ELi1EEEJNS0_4CopyIS7_S8_EEEEEvT_T0_DpT1_,comdat
	.globl	_ZN2at6native12_GLOBAL__N_125multi_tensor_apply_kernelINS1_18TensorListMetadataILi2EEENS1_11CopyFunctorIN3c1015Float8_e4m3fnuzENS6_13Float8_e4m3fnELi2ELi1ELi1EEEJNS0_4CopyIS7_S8_EEEEEvT_T0_DpT1_ ; -- Begin function _ZN2at6native12_GLOBAL__N_125multi_tensor_apply_kernelINS1_18TensorListMetadataILi2EEENS1_11CopyFunctorIN3c1015Float8_e4m3fnuzENS6_13Float8_e4m3fnELi2ELi1ELi1EEEJNS0_4CopyIS7_S8_EEEEEvT_T0_DpT1_
	.p2align	8
	.type	_ZN2at6native12_GLOBAL__N_125multi_tensor_apply_kernelINS1_18TensorListMetadataILi2EEENS1_11CopyFunctorIN3c1015Float8_e4m3fnuzENS6_13Float8_e4m3fnELi2ELi1ELi1EEEJNS0_4CopyIS7_S8_EEEEEvT_T0_DpT1_,@function
_ZN2at6native12_GLOBAL__N_125multi_tensor_apply_kernelINS1_18TensorListMetadataILi2EEENS1_11CopyFunctorIN3c1015Float8_e4m3fnuzENS6_13Float8_e4m3fnELi2ELi1ELi1EEEJNS0_4CopyIS7_S8_EEEEEvT_T0_DpT1_: ; @_ZN2at6native12_GLOBAL__N_125multi_tensor_apply_kernelINS1_18TensorListMetadataILi2EEENS1_11CopyFunctorIN3c1015Float8_e4m3fnuzENS6_13Float8_e4m3fnELi2ELi1ELi1EEEJNS0_4CopyIS7_S8_EEEEEvT_T0_DpT1_
; %bb.0:
	v_mov_b32_e32 v1, s15
	s_add_u32 s2, s0, s15
	s_mul_i32 s4, s15, 3
	s_addc_u32 s3, s1, 0
	s_mul_hi_u32 s5, s15, 3
	global_load_u8 v1, v1, s[0:1] offset:1536
	s_add_u32 s2, s2, s4
	s_addc_u32 s3, s3, s5
	s_load_b32 s2, s[2:3], 0x740
	s_waitcnt vmcnt(0)
	v_readfirstlane_b32 s4, v1
	s_delay_alu instid0(VALU_DEP_1)
	s_lshl_b32 s3, s4, 3
	s_clause 0x2
	s_load_b64 s[6:7], s[0:1], s3 offset:0x0
	s_load_b64 s[8:9], s[0:1], s3 offset:0x200
	;; [unrolled: 1-line block ×3, first 2 shown]
	s_waitcnt lgkmcnt(0)
	s_ashr_i32 s3, s2, 31
	s_delay_alu instid0(SALU_CYCLE_1) | instskip(NEXT) | instid1(SALU_CYCLE_1)
	s_lshl_b64 s[10:11], s[2:3], 16
	s_add_u32 s3, s6, s10
	s_addc_u32 s14, s7, s11
	s_add_u32 s12, s8, s10
	s_addc_u32 s13, s9, s11
	s_delay_alu instid0(SALU_CYCLE_1) | instskip(NEXT) | instid1(SALU_CYCLE_1)
	s_or_b64 s[16:17], s[4:5], s[12:13]
	s_or_b32 s2, s3, s16
	s_delay_alu instid0(SALU_CYCLE_1)
	s_and_b32 s2, s2, 3
	s_sub_u32 s4, s4, s10
	s_subb_u32 s5, s5, s11
	s_cmp_eq_u32 s2, 0
	s_mov_b32 s2, -1
	s_cbranch_scc0 .LBB376_37
; %bb.1:
	v_dual_mov_b32 v2, 0 :: v_dual_lshlrev_b32 v1, 2, v0
	s_mov_b32 s15, exec_lo
	s_delay_alu instid0(VALU_DEP_1)
	v_cmpx_gt_i64_e64 s[4:5], v[1:2]
	s_cbranch_execz .LBB376_36
; %bb.2:
	s_load_b32 s2, s[0:1], 0xc5c
	s_mov_b32 s17, 0
	s_waitcnt lgkmcnt(0)
	s_and_b32 s2, s2, 0xffff
	s_delay_alu instid0(SALU_CYCLE_1)
	s_lshl_b32 s16, s2, 2
	s_branch .LBB376_5
.LBB376_3:                              ;   in Loop: Header=BB376_5 Depth=1
	s_or_b32 exec_lo, exec_lo, s19
.LBB376_4:                              ;   in Loop: Header=BB376_5 Depth=1
	s_delay_alu instid0(SALU_CYCLE_1)
	s_or_b32 exec_lo, exec_lo, s2
	v_add_co_u32 v8, vcc_lo, s12, v1
	v_add_co_ci_u32_e32 v9, vcc_lo, s13, v2, vcc_lo
	v_add_co_u32 v1, vcc_lo, s16, v1
	v_add_co_ci_u32_e32 v2, vcc_lo, 0, v2, vcc_lo
	v_lshlrev_b32_e32 v5, 16, v7
	v_lshlrev_b32_e32 v4, 8, v4
	v_and_b32_e32 v3, 0xff, v3
	s_delay_alu instid0(VALU_DEP_4) | instskip(SKIP_3) | instid1(VALU_DEP_3)
	v_cmp_le_i64_e32 vcc_lo, s[4:5], v[1:2]
	v_cmp_lt_u64_e64 s2, 0xffff, v[1:2]
	v_perm_b32 v5, v6, v5, 0x4020c0c
	v_and_b32_e32 v4, 0xff00, v4
	s_or_b32 s2, vcc_lo, s2
	s_delay_alu instid0(VALU_DEP_1) | instskip(SKIP_1) | instid1(SALU_CYCLE_1)
	v_or3_b32 v3, v5, v4, v3
	s_and_b32 s2, exec_lo, s2
	s_or_b32 s17, s2, s17
	global_store_b32 v[8:9], v3, off
	s_and_not1_b32 exec_lo, exec_lo, s17
	s_cbranch_execz .LBB376_36
.LBB376_5:                              ; =>This Inner Loop Header: Depth=1
	v_add_co_u32 v3, vcc_lo, s3, v1
	v_add_co_ci_u32_e32 v4, vcc_lo, s14, v2, vcc_lo
	s_mov_b32 s2, exec_lo
	global_load_b32 v5, v[3:4], off
	s_waitcnt vmcnt(0)
	v_lshlrev_b32_e32 v3, 24, v5
	s_delay_alu instid0(VALU_DEP_1) | instskip(NEXT) | instid1(VALU_DEP_1)
	v_and_b32_e32 v4, 0x7f000000, v3
	v_clz_i32_u32_e32 v6, v4
	v_add_nc_u32_e32 v8, 0x1000000, v4
	v_cmp_ne_u32_e32 vcc_lo, 0, v4
	s_delay_alu instid0(VALU_DEP_3) | instskip(NEXT) | instid1(VALU_DEP_1)
	v_min_u32_e32 v6, 32, v6
	v_sub_nc_u32_e64 v6, v6, 4 clamp
	s_delay_alu instid0(VALU_DEP_1) | instskip(SKIP_1) | instid1(VALU_DEP_2)
	v_dual_mov_b32 v4, 0x80 :: v_dual_lshlrev_b32 v7, v6, v4
	v_lshlrev_b32_e32 v6, 23, v6
	v_lshrrev_b32_e32 v7, 4, v7
	s_delay_alu instid0(VALU_DEP_1) | instskip(SKIP_1) | instid1(VALU_DEP_2)
	v_sub_nc_u32_e32 v6, v7, v6
	v_ashrrev_i32_e32 v7, 8, v8
	v_add_nc_u32_e32 v6, 0x3c000000, v6
	s_delay_alu instid0(VALU_DEP_1) | instskip(NEXT) | instid1(VALU_DEP_1)
	v_and_or_b32 v6, 0x7f800000, v7, v6
	v_cndmask_b32_e32 v8, 0, v6, vcc_lo
	s_delay_alu instid0(VALU_DEP_1) | instskip(SKIP_1) | instid1(VALU_DEP_2)
	v_and_or_b32 v6, 0x80000000, v3, v8
	v_mov_b32_e32 v3, 0x80
	v_and_b32_e32 v7, 0x7fffffff, v6
	s_delay_alu instid0(VALU_DEP_1)
	v_cmpx_gt_u32_e32 0x43800000, v7
	s_cbranch_execz .LBB376_11
; %bb.6:                                ;   in Loop: Header=BB376_5 Depth=1
	v_cmp_lt_u32_e32 vcc_lo, 0x3bffffff, v7
	s_mov_b32 s18, 0
                                        ; implicit-def: $vgpr7
	s_and_saveexec_b32 s19, vcc_lo
	s_delay_alu instid0(SALU_CYCLE_1)
	s_xor_b32 s19, exec_lo, s19
	s_cbranch_execnz .LBB376_27
; %bb.7:                                ;   in Loop: Header=BB376_5 Depth=1
	s_or_saveexec_b32 s19, s19
                                        ; implicit-def: $sgpr20
	s_delay_alu instid0(SALU_CYCLE_1)
	s_xor_b32 exec_lo, exec_lo, s19
	s_cbranch_execnz .LBB376_28
.LBB376_8:                              ;   in Loop: Header=BB376_5 Depth=1
	s_or_b32 exec_lo, exec_lo, s19
	v_mov_b32_e32 v3, s20
	s_and_saveexec_b32 s19, s18
.LBB376_9:                              ;   in Loop: Header=BB376_5 Depth=1
	v_lshrrev_b32_e32 v3, 24, v6
	s_delay_alu instid0(VALU_DEP_1)
	v_and_or_b32 v3, 0x80, v3, v7
.LBB376_10:                             ;   in Loop: Header=BB376_5 Depth=1
	s_or_b32 exec_lo, exec_lo, s19
.LBB376_11:                             ;   in Loop: Header=BB376_5 Depth=1
	s_delay_alu instid0(SALU_CYCLE_1) | instskip(SKIP_2) | instid1(VALU_DEP_1)
	s_or_b32 exec_lo, exec_lo, s2
	v_lshlrev_b32_e32 v6, 16, v5
	s_mov_b32 s2, exec_lo
	v_and_b32_e32 v7, 0x7f000000, v6
	s_delay_alu instid0(VALU_DEP_1) | instskip(SKIP_2) | instid1(VALU_DEP_3)
	v_clz_i32_u32_e32 v8, v7
	v_add_nc_u32_e32 v10, 0x1000000, v7
	v_cmp_ne_u32_e32 vcc_lo, 0, v7
	v_min_u32_e32 v8, 32, v8
	s_delay_alu instid0(VALU_DEP_1) | instskip(NEXT) | instid1(VALU_DEP_1)
	v_sub_nc_u32_e64 v8, v8, 4 clamp
	v_lshlrev_b32_e32 v9, v8, v7
	v_lshlrev_b32_e32 v8, 23, v8
	s_delay_alu instid0(VALU_DEP_2) | instskip(NEXT) | instid1(VALU_DEP_1)
	v_lshrrev_b32_e32 v9, 4, v9
	v_sub_nc_u32_e32 v8, v9, v8
	v_ashrrev_i32_e32 v9, 8, v10
	s_delay_alu instid0(VALU_DEP_2) | instskip(NEXT) | instid1(VALU_DEP_1)
	v_add_nc_u32_e32 v8, 0x3c000000, v8
	v_and_or_b32 v8, 0x7f800000, v9, v8
	s_delay_alu instid0(VALU_DEP_1) | instskip(NEXT) | instid1(VALU_DEP_1)
	v_cndmask_b32_e32 v8, 0, v8, vcc_lo
	v_and_or_b32 v6, 0x80000000, v6, v8
	s_delay_alu instid0(VALU_DEP_1) | instskip(NEXT) | instid1(VALU_DEP_1)
	v_and_b32_e32 v7, 0x7fffffff, v6
	v_cmpx_gt_u32_e32 0x43800000, v7
	s_cbranch_execz .LBB376_17
; %bb.12:                               ;   in Loop: Header=BB376_5 Depth=1
	v_cmp_lt_u32_e32 vcc_lo, 0x3bffffff, v7
	s_mov_b32 s18, 0
                                        ; implicit-def: $vgpr7
	s_and_saveexec_b32 s19, vcc_lo
	s_delay_alu instid0(SALU_CYCLE_1)
	s_xor_b32 s19, exec_lo, s19
	s_cbranch_execnz .LBB376_29
; %bb.13:                               ;   in Loop: Header=BB376_5 Depth=1
	s_or_saveexec_b32 s19, s19
                                        ; implicit-def: $sgpr20
	s_delay_alu instid0(SALU_CYCLE_1)
	s_xor_b32 exec_lo, exec_lo, s19
	s_cbranch_execnz .LBB376_30
.LBB376_14:                             ;   in Loop: Header=BB376_5 Depth=1
	s_or_b32 exec_lo, exec_lo, s19
	v_mov_b32_e32 v4, s20
	s_and_saveexec_b32 s19, s18
.LBB376_15:                             ;   in Loop: Header=BB376_5 Depth=1
	v_lshrrev_b32_e32 v4, 24, v6
	s_delay_alu instid0(VALU_DEP_1)
	v_and_or_b32 v4, 0x80, v4, v7
.LBB376_16:                             ;   in Loop: Header=BB376_5 Depth=1
	s_or_b32 exec_lo, exec_lo, s19
.LBB376_17:                             ;   in Loop: Header=BB376_5 Depth=1
	s_delay_alu instid0(SALU_CYCLE_1) | instskip(SKIP_2) | instid1(VALU_DEP_1)
	s_or_b32 exec_lo, exec_lo, s2
	v_lshlrev_b32_e32 v6, 8, v5
	s_mov_b32 s2, exec_lo
	v_and_b32_e32 v7, 0x7f000000, v6
	s_delay_alu instid0(VALU_DEP_1) | instskip(SKIP_2) | instid1(VALU_DEP_3)
	v_clz_i32_u32_e32 v8, v7
	v_add_nc_u32_e32 v10, 0x1000000, v7
	v_cmp_ne_u32_e32 vcc_lo, 0, v7
	v_min_u32_e32 v8, 32, v8
	s_delay_alu instid0(VALU_DEP_1) | instskip(NEXT) | instid1(VALU_DEP_1)
	v_sub_nc_u32_e64 v8, v8, 4 clamp
	v_lshlrev_b32_e32 v9, v8, v7
	v_dual_mov_b32 v7, 0x80 :: v_dual_lshlrev_b32 v8, 23, v8
	s_delay_alu instid0(VALU_DEP_2) | instskip(NEXT) | instid1(VALU_DEP_1)
	v_lshrrev_b32_e32 v9, 4, v9
	v_sub_nc_u32_e32 v8, v9, v8
	v_ashrrev_i32_e32 v9, 8, v10
	s_delay_alu instid0(VALU_DEP_2) | instskip(NEXT) | instid1(VALU_DEP_1)
	v_add_nc_u32_e32 v8, 0x3c000000, v8
	v_and_or_b32 v8, 0x7f800000, v9, v8
	s_delay_alu instid0(VALU_DEP_1) | instskip(NEXT) | instid1(VALU_DEP_1)
	v_cndmask_b32_e32 v10, 0, v8, vcc_lo
	v_and_or_b32 v8, 0x80000000, v6, v10
	v_mov_b32_e32 v6, 0x80
	s_delay_alu instid0(VALU_DEP_2) | instskip(NEXT) | instid1(VALU_DEP_1)
	v_and_b32_e32 v9, 0x7fffffff, v8
	v_cmpx_gt_u32_e32 0x43800000, v9
	s_cbranch_execz .LBB376_23
; %bb.18:                               ;   in Loop: Header=BB376_5 Depth=1
	v_cmp_lt_u32_e32 vcc_lo, 0x3bffffff, v9
	s_mov_b32 s18, 0
                                        ; implicit-def: $vgpr9
	s_and_saveexec_b32 s19, vcc_lo
	s_delay_alu instid0(SALU_CYCLE_1)
	s_xor_b32 s19, exec_lo, s19
	s_cbranch_execnz .LBB376_31
; %bb.19:                               ;   in Loop: Header=BB376_5 Depth=1
	s_or_saveexec_b32 s19, s19
                                        ; implicit-def: $sgpr20
	s_delay_alu instid0(SALU_CYCLE_1)
	s_xor_b32 exec_lo, exec_lo, s19
	s_cbranch_execnz .LBB376_32
.LBB376_20:                             ;   in Loop: Header=BB376_5 Depth=1
	s_or_b32 exec_lo, exec_lo, s19
	v_mov_b32_e32 v7, s20
	s_and_saveexec_b32 s19, s18
.LBB376_21:                             ;   in Loop: Header=BB376_5 Depth=1
	v_lshrrev_b32_e32 v7, 24, v8
	s_delay_alu instid0(VALU_DEP_1)
	v_and_or_b32 v7, 0x80, v7, v9
.LBB376_22:                             ;   in Loop: Header=BB376_5 Depth=1
	s_or_b32 exec_lo, exec_lo, s19
.LBB376_23:                             ;   in Loop: Header=BB376_5 Depth=1
	s_delay_alu instid0(SALU_CYCLE_1) | instskip(SKIP_2) | instid1(VALU_DEP_1)
	s_or_b32 exec_lo, exec_lo, s2
	v_and_b32_e32 v8, 0x7f000000, v5
	s_mov_b32 s2, exec_lo
	v_clz_i32_u32_e32 v9, v8
	v_cmp_ne_u32_e32 vcc_lo, 0, v8
	v_add_nc_u32_e32 v11, 0x1000000, v8
	s_delay_alu instid0(VALU_DEP_3) | instskip(NEXT) | instid1(VALU_DEP_1)
	v_min_u32_e32 v9, 32, v9
	v_sub_nc_u32_e64 v9, v9, 4 clamp
	s_delay_alu instid0(VALU_DEP_1) | instskip(SKIP_1) | instid1(VALU_DEP_2)
	v_lshlrev_b32_e32 v10, v9, v8
	v_lshlrev_b32_e32 v9, 23, v9
	v_lshrrev_b32_e32 v10, 4, v10
	s_delay_alu instid0(VALU_DEP_1) | instskip(SKIP_1) | instid1(VALU_DEP_2)
	v_sub_nc_u32_e32 v9, v10, v9
	v_ashrrev_i32_e32 v10, 8, v11
	v_add_nc_u32_e32 v9, 0x3c000000, v9
	s_delay_alu instid0(VALU_DEP_1) | instskip(NEXT) | instid1(VALU_DEP_1)
	v_and_or_b32 v9, 0x7f800000, v10, v9
	v_cndmask_b32_e32 v9, 0, v9, vcc_lo
	s_delay_alu instid0(VALU_DEP_1) | instskip(NEXT) | instid1(VALU_DEP_1)
	v_and_or_b32 v5, 0x80000000, v5, v9
	v_and_b32_e32 v8, 0x7fffffff, v5
	s_delay_alu instid0(VALU_DEP_1)
	v_cmpx_gt_u32_e32 0x43800000, v8
	s_cbranch_execz .LBB376_4
; %bb.24:                               ;   in Loop: Header=BB376_5 Depth=1
	v_cmp_lt_u32_e32 vcc_lo, 0x3bffffff, v8
	s_mov_b32 s18, 0
                                        ; implicit-def: $vgpr8
	s_and_saveexec_b32 s19, vcc_lo
	s_delay_alu instid0(SALU_CYCLE_1)
	s_xor_b32 s19, exec_lo, s19
	s_cbranch_execnz .LBB376_33
; %bb.25:                               ;   in Loop: Header=BB376_5 Depth=1
	s_or_saveexec_b32 s19, s19
                                        ; implicit-def: $sgpr20
	s_delay_alu instid0(SALU_CYCLE_1)
	s_xor_b32 exec_lo, exec_lo, s19
	s_cbranch_execnz .LBB376_34
.LBB376_26:                             ;   in Loop: Header=BB376_5 Depth=1
	s_or_b32 exec_lo, exec_lo, s19
	v_mov_b32_e32 v6, s20
	s_and_saveexec_b32 s19, s18
	s_cbranch_execz .LBB376_3
	s_branch .LBB376_35
.LBB376_27:                             ;   in Loop: Header=BB376_5 Depth=1
	v_bfe_u32 v3, v8, 20, 1
	s_mov_b32 s18, exec_lo
	s_delay_alu instid0(VALU_DEP_1) | instskip(NEXT) | instid1(VALU_DEP_1)
	v_add3_u32 v3, v6, v3, 0x487ffff
	v_lshrrev_b32_e32 v7, 20, v3
	s_or_saveexec_b32 s19, s19
                                        ; implicit-def: $sgpr20
	s_delay_alu instid0(SALU_CYCLE_1)
	s_xor_b32 exec_lo, exec_lo, s19
	s_cbranch_execz .LBB376_8
.LBB376_28:                             ;   in Loop: Header=BB376_5 Depth=1
	v_add_f32_e64 v3, 0x46000000, |v6|
	s_and_not1_b32 s18, s18, exec_lo
	s_mov_b32 s20, 0
	s_delay_alu instid0(VALU_DEP_1) | instskip(NEXT) | instid1(VALU_DEP_1)
	v_and_b32_e32 v7, 0xff, v3
	v_cmp_ne_u32_e32 vcc_lo, 0, v7
	s_and_b32 s21, vcc_lo, exec_lo
	s_delay_alu instid0(SALU_CYCLE_1)
	s_or_b32 s18, s18, s21
	s_or_b32 exec_lo, exec_lo, s19
	v_mov_b32_e32 v3, s20
	s_and_saveexec_b32 s19, s18
	s_cbranch_execnz .LBB376_9
	s_branch .LBB376_10
.LBB376_29:                             ;   in Loop: Header=BB376_5 Depth=1
	v_bfe_u32 v4, v8, 20, 1
	s_mov_b32 s18, exec_lo
	s_delay_alu instid0(VALU_DEP_1) | instskip(NEXT) | instid1(VALU_DEP_1)
	v_add3_u32 v4, v6, v4, 0x487ffff
	v_lshrrev_b32_e32 v7, 20, v4
	s_or_saveexec_b32 s19, s19
                                        ; implicit-def: $sgpr20
	s_delay_alu instid0(SALU_CYCLE_1)
	s_xor_b32 exec_lo, exec_lo, s19
	s_cbranch_execz .LBB376_14
.LBB376_30:                             ;   in Loop: Header=BB376_5 Depth=1
	v_add_f32_e64 v4, 0x46000000, |v6|
	s_and_not1_b32 s18, s18, exec_lo
	s_mov_b32 s20, 0
	s_delay_alu instid0(VALU_DEP_1) | instskip(NEXT) | instid1(VALU_DEP_1)
	v_and_b32_e32 v7, 0xff, v4
	v_cmp_ne_u32_e32 vcc_lo, 0, v7
	s_and_b32 s21, vcc_lo, exec_lo
	s_delay_alu instid0(SALU_CYCLE_1)
	s_or_b32 s18, s18, s21
	s_or_b32 exec_lo, exec_lo, s19
	v_mov_b32_e32 v4, s20
	s_and_saveexec_b32 s19, s18
	s_cbranch_execnz .LBB376_15
	s_branch .LBB376_16
.LBB376_31:                             ;   in Loop: Header=BB376_5 Depth=1
	v_bfe_u32 v7, v10, 20, 1
	s_mov_b32 s18, exec_lo
	s_delay_alu instid0(VALU_DEP_1) | instskip(NEXT) | instid1(VALU_DEP_1)
	v_add3_u32 v7, v8, v7, 0x487ffff
	v_lshrrev_b32_e32 v9, 20, v7
	s_or_saveexec_b32 s19, s19
                                        ; implicit-def: $sgpr20
	s_delay_alu instid0(SALU_CYCLE_1)
	s_xor_b32 exec_lo, exec_lo, s19
	s_cbranch_execz .LBB376_20
.LBB376_32:                             ;   in Loop: Header=BB376_5 Depth=1
	v_add_f32_e64 v7, 0x46000000, |v8|
	s_and_not1_b32 s18, s18, exec_lo
	s_mov_b32 s20, 0
	s_delay_alu instid0(VALU_DEP_1) | instskip(NEXT) | instid1(VALU_DEP_1)
	v_and_b32_e32 v9, 0xff, v7
	v_cmp_ne_u32_e32 vcc_lo, 0, v9
	s_and_b32 s21, vcc_lo, exec_lo
	s_delay_alu instid0(SALU_CYCLE_1)
	s_or_b32 s18, s18, s21
	s_or_b32 exec_lo, exec_lo, s19
	v_mov_b32_e32 v7, s20
	s_and_saveexec_b32 s19, s18
	s_cbranch_execnz .LBB376_21
	s_branch .LBB376_22
.LBB376_33:                             ;   in Loop: Header=BB376_5 Depth=1
	v_bfe_u32 v6, v9, 20, 1
	s_mov_b32 s18, exec_lo
	s_delay_alu instid0(VALU_DEP_1) | instskip(NEXT) | instid1(VALU_DEP_1)
	v_add3_u32 v6, v5, v6, 0x487ffff
	v_lshrrev_b32_e32 v8, 20, v6
	s_or_saveexec_b32 s19, s19
                                        ; implicit-def: $sgpr20
	s_delay_alu instid0(SALU_CYCLE_1)
	s_xor_b32 exec_lo, exec_lo, s19
	s_cbranch_execz .LBB376_26
.LBB376_34:                             ;   in Loop: Header=BB376_5 Depth=1
	v_add_f32_e64 v6, 0x46000000, |v5|
	s_and_not1_b32 s18, s18, exec_lo
	s_mov_b32 s20, 0
	s_delay_alu instid0(VALU_DEP_1) | instskip(NEXT) | instid1(VALU_DEP_1)
	v_and_b32_e32 v8, 0xff, v6
	v_cmp_ne_u32_e32 vcc_lo, 0, v8
	s_and_b32 s21, vcc_lo, exec_lo
	s_delay_alu instid0(SALU_CYCLE_1)
	s_or_b32 s18, s18, s21
	s_or_b32 exec_lo, exec_lo, s19
	v_mov_b32_e32 v6, s20
	s_and_saveexec_b32 s19, s18
	s_cbranch_execz .LBB376_3
.LBB376_35:                             ;   in Loop: Header=BB376_5 Depth=1
	v_lshrrev_b32_e32 v5, 24, v5
	s_delay_alu instid0(VALU_DEP_1)
	v_and_or_b32 v6, 0x80, v5, v8
	s_branch .LBB376_3
.LBB376_36:
	s_or_b32 exec_lo, exec_lo, s15
	s_mov_b32 s2, 0
.LBB376_37:
	s_delay_alu instid0(SALU_CYCLE_1)
	s_and_not1_b32 vcc_lo, exec_lo, s2
	s_cbranch_vccnz .LBB376_89
; %bb.38:
	v_cmp_lt_i64_e64 s2, s[4:5], 1
	s_delay_alu instid0(VALU_DEP_1)
	s_and_b32 vcc_lo, exec_lo, s2
	s_cbranch_vccnz .LBB376_89
; %bb.39:
	s_load_b32 s0, s[0:1], 0xc5c
	v_add_co_u32 v1, s1, s10, v0
	s_delay_alu instid0(VALU_DEP_1) | instskip(SKIP_1) | instid1(VALU_DEP_3)
	v_add_co_ci_u32_e64 v2, null, s11, 0, s1
	v_cmp_gt_u64_e64 s1, 0x10000, s[4:5]
	v_add_co_u32 v9, vcc_lo, s6, v1
	s_delay_alu instid0(VALU_DEP_3)
	v_add_co_ci_u32_e32 v10, vcc_lo, s7, v2, vcc_lo
	v_add_co_u32 v11, vcc_lo, s8, v1
	v_add_co_ci_u32_e32 v12, vcc_lo, s9, v2, vcc_lo
                                        ; implicit-def: $vgpr31
                                        ; implicit-def: $vgpr32
                                        ; implicit-def: $vgpr33
                                        ; implicit-def: $vgpr34
	s_waitcnt lgkmcnt(0)
	s_and_b32 s0, s0, 0xffff
	s_and_b32 s1, s1, exec_lo
	s_mul_i32 s13, s0, 3
	s_cselect_b32 s3, s5, 0
	s_cselect_b32 s2, s4, 0x10000
	s_lshl_b32 s12, s0, 1
	s_lshl_b32 s1, s0, 2
	s_add_u32 s14, s10, s13
	s_addc_u32 s15, s11, 0
	v_add_co_u32 v3, s14, s14, v0
	s_delay_alu instid0(VALU_DEP_1) | instskip(SKIP_1) | instid1(VALU_DEP_2)
	v_add_co_ci_u32_e64 v4, null, s15, 0, s14
	s_add_u32 s10, s10, s12
	v_add_co_u32 v13, vcc_lo, s6, v3
	s_delay_alu instid0(VALU_DEP_2)
	v_add_co_ci_u32_e32 v14, vcc_lo, s7, v4, vcc_lo
	v_add_co_u32 v15, vcc_lo, s8, v3
	s_addc_u32 s11, s11, 0
	v_add_co_u32 v3, s10, s10, v0
	v_add_co_ci_u32_e32 v16, vcc_lo, s9, v4, vcc_lo
	v_add_co_ci_u32_e64 v4, null, s11, 0, s10
	s_delay_alu instid0(VALU_DEP_3) | instskip(SKIP_1) | instid1(VALU_DEP_3)
	v_add_co_u32 v19, vcc_lo, s6, v3
	v_add_co_u32 v17, s10, s13, v0
	v_add_co_ci_u32_e32 v20, vcc_lo, s7, v4, vcc_lo
	v_add_co_u32 v21, vcc_lo, s8, v3
	v_add_co_ci_u32_e32 v22, vcc_lo, s9, v4, vcc_lo
	v_add_co_u32 v1, vcc_lo, v1, s0
	v_add_co_ci_u32_e32 v2, vcc_lo, 0, v2, vcc_lo
	v_add_co_ci_u32_e64 v18, null, 0, 0, s10
	s_delay_alu instid0(VALU_DEP_3) | instskip(NEXT) | instid1(VALU_DEP_3)
	v_add_co_u32 v25, vcc_lo, s6, v1
	v_add_co_ci_u32_e32 v26, vcc_lo, s7, v2, vcc_lo
	v_add_co_u32 v23, s10, s12, v0
	v_add_co_u32 v27, vcc_lo, s8, v1
	v_add_co_u32 v29, s0, v0, s0
	v_add_co_ci_u32_e64 v24, null, 0, 0, s10
	v_add_co_ci_u32_e32 v28, vcc_lo, s9, v2, vcc_lo
	v_add_co_ci_u32_e64 v30, null, 0, 0, s0
	s_mov_b64 s[6:7], 0
	s_branch .LBB376_41
.LBB376_40:                             ;   in Loop: Header=BB376_41 Depth=1
	s_or_b32 exec_lo, exec_lo, s0
	s_add_u32 s6, s6, s1
	s_addc_u32 s7, s7, 0
	s_delay_alu instid0(SALU_CYCLE_1) | instskip(SKIP_1) | instid1(VALU_DEP_1)
	v_cmp_ge_i64_e64 s0, s[6:7], s[4:5]
	v_cmp_lt_u64_e64 s8, 0xffff, s[6:7]
	s_or_b32 s0, s0, s8
	s_delay_alu instid0(SALU_CYCLE_1)
	s_and_b32 vcc_lo, exec_lo, s0
	s_cbranch_vccnz .LBB376_89
.LBB376_41:                             ; =>This Inner Loop Header: Depth=1
	v_add_co_u32 v1, s0, v0, s6
	s_delay_alu instid0(VALU_DEP_1) | instskip(NEXT) | instid1(VALU_DEP_1)
	v_add_co_ci_u32_e64 v2, null, 0, s7, s0
	v_cmp_gt_i64_e32 vcc_lo, s[4:5], v[1:2]
	v_cmp_gt_u64_e64 s0, 0x10000, v[1:2]
	s_delay_alu instid0(VALU_DEP_1) | instskip(NEXT) | instid1(SALU_CYCLE_1)
	s_and_b32 s8, vcc_lo, s0
	s_and_saveexec_b32 s0, s8
	s_cbranch_execz .LBB376_43
; %bb.42:                               ;   in Loop: Header=BB376_41 Depth=1
	v_add_co_u32 v3, vcc_lo, v9, s6
	v_add_co_ci_u32_e32 v4, vcc_lo, s7, v10, vcc_lo
	global_load_u8 v34, v[3:4], off
.LBB376_43:                             ;   in Loop: Header=BB376_41 Depth=1
	s_or_b32 exec_lo, exec_lo, s0
	v_add_co_u32 v3, vcc_lo, v29, s6
	v_add_co_ci_u32_e32 v4, vcc_lo, s7, v30, vcc_lo
	s_delay_alu instid0(VALU_DEP_1) | instskip(SKIP_1) | instid1(VALU_DEP_1)
	v_cmp_gt_i64_e32 vcc_lo, s[4:5], v[3:4]
	v_cmp_gt_u64_e64 s0, 0x10000, v[3:4]
	s_and_b32 s8, vcc_lo, s0
	s_delay_alu instid0(SALU_CYCLE_1)
	s_and_saveexec_b32 s0, s8
	s_cbranch_execz .LBB376_45
; %bb.44:                               ;   in Loop: Header=BB376_41 Depth=1
	v_add_co_u32 v5, vcc_lo, v25, s6
	v_add_co_ci_u32_e32 v6, vcc_lo, s7, v26, vcc_lo
	global_load_u8 v33, v[5:6], off
.LBB376_45:                             ;   in Loop: Header=BB376_41 Depth=1
	s_or_b32 exec_lo, exec_lo, s0
	v_add_co_u32 v5, vcc_lo, v23, s6
	v_add_co_ci_u32_e32 v6, vcc_lo, s7, v24, vcc_lo
	s_delay_alu instid0(VALU_DEP_1) | instskip(SKIP_1) | instid1(VALU_DEP_1)
	v_cmp_gt_i64_e32 vcc_lo, s[4:5], v[5:6]
	v_cmp_gt_u64_e64 s0, 0x10000, v[5:6]
	s_and_b32 s8, vcc_lo, s0
	s_delay_alu instid0(SALU_CYCLE_1)
	;; [unrolled: 15-line block ×3, first 2 shown]
	s_and_saveexec_b32 s0, s8
	s_cbranch_execz .LBB376_49
; %bb.48:                               ;   in Loop: Header=BB376_41 Depth=1
	v_add_co_u32 v35, vcc_lo, v13, s6
	v_add_co_ci_u32_e32 v36, vcc_lo, s7, v14, vcc_lo
	global_load_u8 v31, v[35:36], off
.LBB376_49:                             ;   in Loop: Header=BB376_41 Depth=1
	s_or_b32 exec_lo, exec_lo, s0
	s_waitcnt vmcnt(0)
	v_lshlrev_b32_e32 v35, 24, v34
	s_mov_b32 s0, exec_lo
	s_delay_alu instid0(VALU_DEP_1) | instskip(NEXT) | instid1(VALU_DEP_1)
	v_and_b32_e32 v36, 0x7f000000, v35
	v_clz_i32_u32_e32 v37, v36
	v_add_nc_u32_e32 v39, 0x1000000, v36
	v_cmp_ne_u32_e32 vcc_lo, 0, v36
	s_delay_alu instid0(VALU_DEP_3) | instskip(NEXT) | instid1(VALU_DEP_1)
	v_min_u32_e32 v37, 32, v37
	v_sub_nc_u32_e64 v37, v37, 4 clamp
	s_delay_alu instid0(VALU_DEP_1) | instskip(SKIP_1) | instid1(VALU_DEP_2)
	v_lshlrev_b32_e32 v38, v37, v36
	v_dual_mov_b32 v36, 0x80 :: v_dual_lshlrev_b32 v37, 23, v37
	v_lshrrev_b32_e32 v38, 4, v38
	s_delay_alu instid0(VALU_DEP_1) | instskip(SKIP_1) | instid1(VALU_DEP_2)
	v_sub_nc_u32_e32 v37, v38, v37
	v_ashrrev_i32_e32 v38, 8, v39
	v_add_nc_u32_e32 v37, 0x3c000000, v37
	s_delay_alu instid0(VALU_DEP_1) | instskip(NEXT) | instid1(VALU_DEP_1)
	v_and_or_b32 v37, 0x7f800000, v38, v37
	v_cndmask_b32_e32 v39, 0, v37, vcc_lo
	s_delay_alu instid0(VALU_DEP_1) | instskip(SKIP_1) | instid1(VALU_DEP_2)
	v_and_or_b32 v37, 0x80000000, v35, v39
	v_mov_b32_e32 v35, 0x80
	v_and_b32_e32 v38, 0x7fffffff, v37
	s_delay_alu instid0(VALU_DEP_1)
	v_cmpx_gt_u32_e32 0x43800000, v38
	s_cbranch_execz .LBB376_55
; %bb.50:                               ;   in Loop: Header=BB376_41 Depth=1
	v_cmp_lt_u32_e32 vcc_lo, 0x3bffffff, v38
	s_mov_b32 s8, 0
                                        ; implicit-def: $vgpr38
	s_and_saveexec_b32 s9, vcc_lo
	s_delay_alu instid0(SALU_CYCLE_1)
	s_xor_b32 s9, exec_lo, s9
	s_cbranch_execnz .LBB376_81
; %bb.51:                               ;   in Loop: Header=BB376_41 Depth=1
	s_or_saveexec_b32 s9, s9
                                        ; implicit-def: $sgpr10
	s_delay_alu instid0(SALU_CYCLE_1)
	s_xor_b32 exec_lo, exec_lo, s9
	s_cbranch_execnz .LBB376_82
.LBB376_52:                             ;   in Loop: Header=BB376_41 Depth=1
	s_or_b32 exec_lo, exec_lo, s9
	v_mov_b32_e32 v36, s10
	s_and_saveexec_b32 s9, s8
.LBB376_53:                             ;   in Loop: Header=BB376_41 Depth=1
	v_lshrrev_b32_e32 v36, 24, v37
	s_delay_alu instid0(VALU_DEP_1)
	v_and_or_b32 v36, 0x80, v36, v38
.LBB376_54:                             ;   in Loop: Header=BB376_41 Depth=1
	s_or_b32 exec_lo, exec_lo, s9
.LBB376_55:                             ;   in Loop: Header=BB376_41 Depth=1
	s_delay_alu instid0(SALU_CYCLE_1) | instskip(SKIP_2) | instid1(VALU_DEP_1)
	s_or_b32 exec_lo, exec_lo, s0
	v_lshlrev_b32_e32 v37, 24, v33
	s_mov_b32 s0, exec_lo
	v_and_b32_e32 v38, 0x7f000000, v37
	s_delay_alu instid0(VALU_DEP_1) | instskip(SKIP_2) | instid1(VALU_DEP_3)
	v_clz_i32_u32_e32 v39, v38
	v_add_nc_u32_e32 v41, 0x1000000, v38
	v_cmp_ne_u32_e32 vcc_lo, 0, v38
	v_min_u32_e32 v39, 32, v39
	s_delay_alu instid0(VALU_DEP_1) | instskip(NEXT) | instid1(VALU_DEP_1)
	v_sub_nc_u32_e64 v39, v39, 4 clamp
	v_lshlrev_b32_e32 v40, v39, v38
	v_lshlrev_b32_e32 v39, 23, v39
	s_delay_alu instid0(VALU_DEP_2) | instskip(NEXT) | instid1(VALU_DEP_1)
	v_lshrrev_b32_e32 v40, 4, v40
	v_sub_nc_u32_e32 v39, v40, v39
	v_ashrrev_i32_e32 v40, 8, v41
	s_delay_alu instid0(VALU_DEP_2) | instskip(NEXT) | instid1(VALU_DEP_1)
	v_add_nc_u32_e32 v39, 0x3c000000, v39
	v_and_or_b32 v39, 0x7f800000, v40, v39
	s_delay_alu instid0(VALU_DEP_1) | instskip(NEXT) | instid1(VALU_DEP_1)
	v_cndmask_b32_e32 v39, 0, v39, vcc_lo
	v_and_or_b32 v37, 0x80000000, v37, v39
	s_delay_alu instid0(VALU_DEP_1) | instskip(NEXT) | instid1(VALU_DEP_1)
	v_and_b32_e32 v38, 0x7fffffff, v37
	v_cmpx_gt_u32_e32 0x43800000, v38
	s_cbranch_execz .LBB376_61
; %bb.56:                               ;   in Loop: Header=BB376_41 Depth=1
	v_cmp_lt_u32_e32 vcc_lo, 0x3bffffff, v38
	s_mov_b32 s8, 0
                                        ; implicit-def: $vgpr38
	s_and_saveexec_b32 s9, vcc_lo
	s_delay_alu instid0(SALU_CYCLE_1)
	s_xor_b32 s9, exec_lo, s9
	s_cbranch_execnz .LBB376_83
; %bb.57:                               ;   in Loop: Header=BB376_41 Depth=1
	s_or_saveexec_b32 s9, s9
                                        ; implicit-def: $sgpr10
	s_delay_alu instid0(SALU_CYCLE_1)
	s_xor_b32 exec_lo, exec_lo, s9
	s_cbranch_execnz .LBB376_84
.LBB376_58:                             ;   in Loop: Header=BB376_41 Depth=1
	s_or_b32 exec_lo, exec_lo, s9
	v_mov_b32_e32 v35, s10
	s_and_saveexec_b32 s9, s8
.LBB376_59:                             ;   in Loop: Header=BB376_41 Depth=1
	v_lshrrev_b32_e32 v35, 24, v37
	s_delay_alu instid0(VALU_DEP_1)
	v_and_or_b32 v35, 0x80, v35, v38
.LBB376_60:                             ;   in Loop: Header=BB376_41 Depth=1
	s_or_b32 exec_lo, exec_lo, s9
.LBB376_61:                             ;   in Loop: Header=BB376_41 Depth=1
	s_delay_alu instid0(SALU_CYCLE_1) | instskip(SKIP_2) | instid1(VALU_DEP_1)
	s_or_b32 exec_lo, exec_lo, s0
	v_lshlrev_b32_e32 v37, 24, v32
	s_mov_b32 s0, exec_lo
	v_and_b32_e32 v38, 0x7f000000, v37
	s_delay_alu instid0(VALU_DEP_1) | instskip(SKIP_2) | instid1(VALU_DEP_3)
	v_clz_i32_u32_e32 v39, v38
	v_add_nc_u32_e32 v41, 0x1000000, v38
	v_cmp_ne_u32_e32 vcc_lo, 0, v38
	v_min_u32_e32 v39, 32, v39
	s_delay_alu instid0(VALU_DEP_1) | instskip(NEXT) | instid1(VALU_DEP_1)
	v_sub_nc_u32_e64 v39, v39, 4 clamp
	v_lshlrev_b32_e32 v40, v39, v38
	v_dual_mov_b32 v38, 0x80 :: v_dual_lshlrev_b32 v39, 23, v39
	s_delay_alu instid0(VALU_DEP_2) | instskip(NEXT) | instid1(VALU_DEP_1)
	v_lshrrev_b32_e32 v40, 4, v40
	v_sub_nc_u32_e32 v39, v40, v39
	v_ashrrev_i32_e32 v40, 8, v41
	s_delay_alu instid0(VALU_DEP_2) | instskip(NEXT) | instid1(VALU_DEP_1)
	v_add_nc_u32_e32 v39, 0x3c000000, v39
	v_and_or_b32 v39, 0x7f800000, v40, v39
	s_delay_alu instid0(VALU_DEP_1) | instskip(NEXT) | instid1(VALU_DEP_1)
	v_cndmask_b32_e32 v41, 0, v39, vcc_lo
	v_and_or_b32 v39, 0x80000000, v37, v41
	v_mov_b32_e32 v37, 0x80
	s_delay_alu instid0(VALU_DEP_2) | instskip(NEXT) | instid1(VALU_DEP_1)
	v_and_b32_e32 v40, 0x7fffffff, v39
	v_cmpx_gt_u32_e32 0x43800000, v40
	s_cbranch_execz .LBB376_67
; %bb.62:                               ;   in Loop: Header=BB376_41 Depth=1
	v_cmp_lt_u32_e32 vcc_lo, 0x3bffffff, v40
	s_mov_b32 s8, 0
                                        ; implicit-def: $vgpr40
	s_and_saveexec_b32 s9, vcc_lo
	s_delay_alu instid0(SALU_CYCLE_1)
	s_xor_b32 s9, exec_lo, s9
	s_cbranch_execnz .LBB376_85
; %bb.63:                               ;   in Loop: Header=BB376_41 Depth=1
	s_or_saveexec_b32 s9, s9
                                        ; implicit-def: $sgpr10
	s_delay_alu instid0(SALU_CYCLE_1)
	s_xor_b32 exec_lo, exec_lo, s9
	s_cbranch_execnz .LBB376_86
.LBB376_64:                             ;   in Loop: Header=BB376_41 Depth=1
	s_or_b32 exec_lo, exec_lo, s9
	v_mov_b32_e32 v38, s10
	s_and_saveexec_b32 s9, s8
.LBB376_65:                             ;   in Loop: Header=BB376_41 Depth=1
	v_lshrrev_b32_e32 v38, 24, v39
	s_delay_alu instid0(VALU_DEP_1)
	v_and_or_b32 v38, 0x80, v38, v40
.LBB376_66:                             ;   in Loop: Header=BB376_41 Depth=1
	s_or_b32 exec_lo, exec_lo, s9
.LBB376_67:                             ;   in Loop: Header=BB376_41 Depth=1
	s_delay_alu instid0(SALU_CYCLE_1) | instskip(SKIP_2) | instid1(VALU_DEP_1)
	s_or_b32 exec_lo, exec_lo, s0
	v_lshlrev_b32_e32 v39, 24, v31
	s_mov_b32 s0, exec_lo
	v_and_b32_e32 v40, 0x7f000000, v39
	s_delay_alu instid0(VALU_DEP_1) | instskip(SKIP_2) | instid1(VALU_DEP_3)
	v_clz_i32_u32_e32 v41, v40
	v_add_nc_u32_e32 v43, 0x1000000, v40
	v_cmp_ne_u32_e32 vcc_lo, 0, v40
	v_min_u32_e32 v41, 32, v41
	s_delay_alu instid0(VALU_DEP_1) | instskip(NEXT) | instid1(VALU_DEP_1)
	v_sub_nc_u32_e64 v41, v41, 4 clamp
	v_lshlrev_b32_e32 v42, v41, v40
	v_lshlrev_b32_e32 v41, 23, v41
	s_delay_alu instid0(VALU_DEP_2) | instskip(NEXT) | instid1(VALU_DEP_1)
	v_lshrrev_b32_e32 v42, 4, v42
	v_sub_nc_u32_e32 v41, v42, v41
	v_ashrrev_i32_e32 v42, 8, v43
	s_delay_alu instid0(VALU_DEP_2) | instskip(NEXT) | instid1(VALU_DEP_1)
	v_add_nc_u32_e32 v41, 0x3c000000, v41
	v_and_or_b32 v41, 0x7f800000, v42, v41
	s_delay_alu instid0(VALU_DEP_1) | instskip(NEXT) | instid1(VALU_DEP_1)
	v_cndmask_b32_e32 v41, 0, v41, vcc_lo
	v_and_or_b32 v39, 0x80000000, v39, v41
	s_delay_alu instid0(VALU_DEP_1) | instskip(NEXT) | instid1(VALU_DEP_1)
	v_and_b32_e32 v40, 0x7fffffff, v39
	v_cmpx_gt_u32_e32 0x43800000, v40
	s_cbranch_execz .LBB376_73
; %bb.68:                               ;   in Loop: Header=BB376_41 Depth=1
	v_cmp_lt_u32_e32 vcc_lo, 0x3bffffff, v40
	s_mov_b32 s8, 0
                                        ; implicit-def: $vgpr40
	s_and_saveexec_b32 s9, vcc_lo
	s_delay_alu instid0(SALU_CYCLE_1)
	s_xor_b32 s9, exec_lo, s9
	s_cbranch_execnz .LBB376_87
; %bb.69:                               ;   in Loop: Header=BB376_41 Depth=1
	s_or_saveexec_b32 s9, s9
                                        ; implicit-def: $sgpr10
	s_delay_alu instid0(SALU_CYCLE_1)
	s_xor_b32 exec_lo, exec_lo, s9
	s_cbranch_execnz .LBB376_88
.LBB376_70:                             ;   in Loop: Header=BB376_41 Depth=1
	s_or_b32 exec_lo, exec_lo, s9
	v_mov_b32_e32 v37, s10
	s_and_saveexec_b32 s9, s8
.LBB376_71:                             ;   in Loop: Header=BB376_41 Depth=1
	v_lshrrev_b32_e32 v37, 24, v39
	s_delay_alu instid0(VALU_DEP_1)
	v_and_or_b32 v37, 0x80, v37, v40
.LBB376_72:                             ;   in Loop: Header=BB376_41 Depth=1
	s_or_b32 exec_lo, exec_lo, s9
.LBB376_73:                             ;   in Loop: Header=BB376_41 Depth=1
	s_delay_alu instid0(SALU_CYCLE_1) | instskip(NEXT) | instid1(SALU_CYCLE_1)
	s_or_b32 exec_lo, exec_lo, s0
	s_mov_b32 s0, exec_lo
	v_cmpx_gt_u64_e64 s[2:3], v[1:2]
	s_xor_b32 s0, exec_lo, s0
	s_cbranch_execnz .LBB376_77
; %bb.74:                               ;   in Loop: Header=BB376_41 Depth=1
	s_or_b32 exec_lo, exec_lo, s0
	s_delay_alu instid0(SALU_CYCLE_1)
	s_mov_b32 s0, exec_lo
	v_cmpx_gt_u64_e64 s[2:3], v[3:4]
	s_cbranch_execnz .LBB376_78
.LBB376_75:                             ;   in Loop: Header=BB376_41 Depth=1
	s_or_b32 exec_lo, exec_lo, s0
	s_delay_alu instid0(SALU_CYCLE_1)
	s_mov_b32 s0, exec_lo
	v_cmpx_gt_u64_e64 s[2:3], v[5:6]
	s_cbranch_execnz .LBB376_79
.LBB376_76:                             ;   in Loop: Header=BB376_41 Depth=1
	s_or_b32 exec_lo, exec_lo, s0
	s_delay_alu instid0(SALU_CYCLE_1)
	s_mov_b32 s0, exec_lo
	v_cmpx_gt_u64_e64 s[2:3], v[7:8]
	s_cbranch_execz .LBB376_40
	s_branch .LBB376_80
.LBB376_77:                             ;   in Loop: Header=BB376_41 Depth=1
	v_add_co_u32 v1, vcc_lo, v11, s6
	v_add_co_ci_u32_e32 v2, vcc_lo, s7, v12, vcc_lo
	global_store_b8 v[1:2], v36, off
	s_or_b32 exec_lo, exec_lo, s0
	s_delay_alu instid0(SALU_CYCLE_1)
	s_mov_b32 s0, exec_lo
	v_cmpx_gt_u64_e64 s[2:3], v[3:4]
	s_cbranch_execz .LBB376_75
.LBB376_78:                             ;   in Loop: Header=BB376_41 Depth=1
	v_add_co_u32 v1, vcc_lo, v27, s6
	v_add_co_ci_u32_e32 v2, vcc_lo, s7, v28, vcc_lo
	global_store_b8 v[1:2], v35, off
	s_or_b32 exec_lo, exec_lo, s0
	s_delay_alu instid0(SALU_CYCLE_1)
	s_mov_b32 s0, exec_lo
	v_cmpx_gt_u64_e64 s[2:3], v[5:6]
	s_cbranch_execz .LBB376_76
.LBB376_79:                             ;   in Loop: Header=BB376_41 Depth=1
	v_add_co_u32 v1, vcc_lo, v21, s6
	v_add_co_ci_u32_e32 v2, vcc_lo, s7, v22, vcc_lo
	global_store_b8 v[1:2], v38, off
	s_or_b32 exec_lo, exec_lo, s0
	s_delay_alu instid0(SALU_CYCLE_1)
	s_mov_b32 s0, exec_lo
	v_cmpx_gt_u64_e64 s[2:3], v[7:8]
	s_cbranch_execz .LBB376_40
.LBB376_80:                             ;   in Loop: Header=BB376_41 Depth=1
	v_add_co_u32 v1, vcc_lo, v15, s6
	v_add_co_ci_u32_e32 v2, vcc_lo, s7, v16, vcc_lo
	global_store_b8 v[1:2], v37, off
	s_branch .LBB376_40
.LBB376_81:                             ;   in Loop: Header=BB376_41 Depth=1
	v_bfe_u32 v36, v39, 20, 1
	s_mov_b32 s8, exec_lo
	s_delay_alu instid0(VALU_DEP_1) | instskip(NEXT) | instid1(VALU_DEP_1)
	v_add3_u32 v36, v37, v36, 0x487ffff
	v_lshrrev_b32_e32 v38, 20, v36
	s_or_saveexec_b32 s9, s9
                                        ; implicit-def: $sgpr10
	s_delay_alu instid0(SALU_CYCLE_1)
	s_xor_b32 exec_lo, exec_lo, s9
	s_cbranch_execz .LBB376_52
.LBB376_82:                             ;   in Loop: Header=BB376_41 Depth=1
	v_add_f32_e64 v36, 0x46000000, |v37|
	s_and_not1_b32 s8, s8, exec_lo
	s_mov_b32 s10, 0
	s_delay_alu instid0(VALU_DEP_1) | instskip(NEXT) | instid1(VALU_DEP_1)
	v_and_b32_e32 v38, 0xff, v36
	v_cmp_ne_u32_e32 vcc_lo, 0, v38
	s_and_b32 s11, vcc_lo, exec_lo
	s_delay_alu instid0(SALU_CYCLE_1)
	s_or_b32 s8, s8, s11
	s_or_b32 exec_lo, exec_lo, s9
	v_mov_b32_e32 v36, s10
	s_and_saveexec_b32 s9, s8
	s_cbranch_execnz .LBB376_53
	s_branch .LBB376_54
.LBB376_83:                             ;   in Loop: Header=BB376_41 Depth=1
	v_bfe_u32 v35, v39, 20, 1
	s_mov_b32 s8, exec_lo
	s_delay_alu instid0(VALU_DEP_1) | instskip(NEXT) | instid1(VALU_DEP_1)
	v_add3_u32 v35, v37, v35, 0x487ffff
	v_lshrrev_b32_e32 v38, 20, v35
	s_or_saveexec_b32 s9, s9
                                        ; implicit-def: $sgpr10
	s_delay_alu instid0(SALU_CYCLE_1)
	s_xor_b32 exec_lo, exec_lo, s9
	s_cbranch_execz .LBB376_58
.LBB376_84:                             ;   in Loop: Header=BB376_41 Depth=1
	v_add_f32_e64 v35, 0x46000000, |v37|
	s_and_not1_b32 s8, s8, exec_lo
	s_mov_b32 s10, 0
	s_delay_alu instid0(VALU_DEP_1) | instskip(NEXT) | instid1(VALU_DEP_1)
	v_and_b32_e32 v38, 0xff, v35
	v_cmp_ne_u32_e32 vcc_lo, 0, v38
	s_and_b32 s11, vcc_lo, exec_lo
	s_delay_alu instid0(SALU_CYCLE_1)
	s_or_b32 s8, s8, s11
	s_or_b32 exec_lo, exec_lo, s9
	v_mov_b32_e32 v35, s10
	s_and_saveexec_b32 s9, s8
	s_cbranch_execnz .LBB376_59
	s_branch .LBB376_60
.LBB376_85:                             ;   in Loop: Header=BB376_41 Depth=1
	v_bfe_u32 v38, v41, 20, 1
	s_mov_b32 s8, exec_lo
	s_delay_alu instid0(VALU_DEP_1) | instskip(NEXT) | instid1(VALU_DEP_1)
	v_add3_u32 v38, v39, v38, 0x487ffff
	v_lshrrev_b32_e32 v40, 20, v38
	s_or_saveexec_b32 s9, s9
                                        ; implicit-def: $sgpr10
	s_delay_alu instid0(SALU_CYCLE_1)
	s_xor_b32 exec_lo, exec_lo, s9
	s_cbranch_execz .LBB376_64
.LBB376_86:                             ;   in Loop: Header=BB376_41 Depth=1
	v_add_f32_e64 v38, 0x46000000, |v39|
	s_and_not1_b32 s8, s8, exec_lo
	s_mov_b32 s10, 0
	s_delay_alu instid0(VALU_DEP_1) | instskip(NEXT) | instid1(VALU_DEP_1)
	v_and_b32_e32 v40, 0xff, v38
	v_cmp_ne_u32_e32 vcc_lo, 0, v40
	s_and_b32 s11, vcc_lo, exec_lo
	s_delay_alu instid0(SALU_CYCLE_1)
	s_or_b32 s8, s8, s11
	s_or_b32 exec_lo, exec_lo, s9
	v_mov_b32_e32 v38, s10
	s_and_saveexec_b32 s9, s8
	s_cbranch_execnz .LBB376_65
	s_branch .LBB376_66
.LBB376_87:                             ;   in Loop: Header=BB376_41 Depth=1
	v_bfe_u32 v37, v41, 20, 1
	s_mov_b32 s8, exec_lo
	s_delay_alu instid0(VALU_DEP_1) | instskip(NEXT) | instid1(VALU_DEP_1)
	v_add3_u32 v37, v39, v37, 0x487ffff
	v_lshrrev_b32_e32 v40, 20, v37
	s_or_saveexec_b32 s9, s9
                                        ; implicit-def: $sgpr10
	s_delay_alu instid0(SALU_CYCLE_1)
	s_xor_b32 exec_lo, exec_lo, s9
	s_cbranch_execz .LBB376_70
.LBB376_88:                             ;   in Loop: Header=BB376_41 Depth=1
	v_add_f32_e64 v37, 0x46000000, |v39|
	s_and_not1_b32 s8, s8, exec_lo
	s_mov_b32 s10, 0
	s_delay_alu instid0(VALU_DEP_1) | instskip(NEXT) | instid1(VALU_DEP_1)
	v_and_b32_e32 v40, 0xff, v37
	v_cmp_ne_u32_e32 vcc_lo, 0, v40
	s_and_b32 s11, vcc_lo, exec_lo
	s_delay_alu instid0(SALU_CYCLE_1)
	s_or_b32 s8, s8, s11
	s_or_b32 exec_lo, exec_lo, s9
	v_mov_b32_e32 v37, s10
	s_and_saveexec_b32 s9, s8
	s_cbranch_execnz .LBB376_71
	s_branch .LBB376_72
.LBB376_89:
	s_nop 0
	s_sendmsg sendmsg(MSG_DEALLOC_VGPRS)
	s_endpgm
	.section	.rodata,"a",@progbits
	.p2align	6, 0x0
	.amdhsa_kernel _ZN2at6native12_GLOBAL__N_125multi_tensor_apply_kernelINS1_18TensorListMetadataILi2EEENS1_11CopyFunctorIN3c1015Float8_e4m3fnuzENS6_13Float8_e4m3fnELi2ELi1ELi1EEEJNS0_4CopyIS7_S8_EEEEEvT_T0_DpT1_
		.amdhsa_group_segment_fixed_size 0
		.amdhsa_private_segment_fixed_size 0
		.amdhsa_kernarg_size 3408
		.amdhsa_user_sgpr_count 15
		.amdhsa_user_sgpr_dispatch_ptr 0
		.amdhsa_user_sgpr_queue_ptr 0
		.amdhsa_user_sgpr_kernarg_segment_ptr 1
		.amdhsa_user_sgpr_dispatch_id 0
		.amdhsa_user_sgpr_private_segment_size 0
		.amdhsa_wavefront_size32 1
		.amdhsa_uses_dynamic_stack 0
		.amdhsa_enable_private_segment 0
		.amdhsa_system_sgpr_workgroup_id_x 1
		.amdhsa_system_sgpr_workgroup_id_y 0
		.amdhsa_system_sgpr_workgroup_id_z 0
		.amdhsa_system_sgpr_workgroup_info 0
		.amdhsa_system_vgpr_workitem_id 0
		.amdhsa_next_free_vgpr 44
		.amdhsa_next_free_sgpr 22
		.amdhsa_reserve_vcc 1
		.amdhsa_float_round_mode_32 0
		.amdhsa_float_round_mode_16_64 0
		.amdhsa_float_denorm_mode_32 3
		.amdhsa_float_denorm_mode_16_64 3
		.amdhsa_dx10_clamp 1
		.amdhsa_ieee_mode 1
		.amdhsa_fp16_overflow 0
		.amdhsa_workgroup_processor_mode 1
		.amdhsa_memory_ordered 1
		.amdhsa_forward_progress 0
		.amdhsa_shared_vgpr_count 0
		.amdhsa_exception_fp_ieee_invalid_op 0
		.amdhsa_exception_fp_denorm_src 0
		.amdhsa_exception_fp_ieee_div_zero 0
		.amdhsa_exception_fp_ieee_overflow 0
		.amdhsa_exception_fp_ieee_underflow 0
		.amdhsa_exception_fp_ieee_inexact 0
		.amdhsa_exception_int_div_zero 0
	.end_amdhsa_kernel
	.section	.text._ZN2at6native12_GLOBAL__N_125multi_tensor_apply_kernelINS1_18TensorListMetadataILi2EEENS1_11CopyFunctorIN3c1015Float8_e4m3fnuzENS6_13Float8_e4m3fnELi2ELi1ELi1EEEJNS0_4CopyIS7_S8_EEEEEvT_T0_DpT1_,"axG",@progbits,_ZN2at6native12_GLOBAL__N_125multi_tensor_apply_kernelINS1_18TensorListMetadataILi2EEENS1_11CopyFunctorIN3c1015Float8_e4m3fnuzENS6_13Float8_e4m3fnELi2ELi1ELi1EEEJNS0_4CopyIS7_S8_EEEEEvT_T0_DpT1_,comdat
.Lfunc_end376:
	.size	_ZN2at6native12_GLOBAL__N_125multi_tensor_apply_kernelINS1_18TensorListMetadataILi2EEENS1_11CopyFunctorIN3c1015Float8_e4m3fnuzENS6_13Float8_e4m3fnELi2ELi1ELi1EEEJNS0_4CopyIS7_S8_EEEEEvT_T0_DpT1_, .Lfunc_end376-_ZN2at6native12_GLOBAL__N_125multi_tensor_apply_kernelINS1_18TensorListMetadataILi2EEENS1_11CopyFunctorIN3c1015Float8_e4m3fnuzENS6_13Float8_e4m3fnELi2ELi1ELi1EEEJNS0_4CopyIS7_S8_EEEEEvT_T0_DpT1_
                                        ; -- End function
	.section	.AMDGPU.csdata,"",@progbits
; Kernel info:
; codeLenInByte = 4192
; NumSgprs: 24
; NumVgprs: 44
; ScratchSize: 0
; MemoryBound: 0
; FloatMode: 240
; IeeeMode: 1
; LDSByteSize: 0 bytes/workgroup (compile time only)
; SGPRBlocks: 2
; VGPRBlocks: 5
; NumSGPRsForWavesPerEU: 24
; NumVGPRsForWavesPerEU: 44
; Occupancy: 16
; WaveLimiterHint : 0
; COMPUTE_PGM_RSRC2:SCRATCH_EN: 0
; COMPUTE_PGM_RSRC2:USER_SGPR: 15
; COMPUTE_PGM_RSRC2:TRAP_HANDLER: 0
; COMPUTE_PGM_RSRC2:TGID_X_EN: 1
; COMPUTE_PGM_RSRC2:TGID_Y_EN: 0
; COMPUTE_PGM_RSRC2:TGID_Z_EN: 0
; COMPUTE_PGM_RSRC2:TIDIG_COMP_CNT: 0
	.section	.text._ZN2at6native12_GLOBAL__N_125multi_tensor_apply_kernelINS1_18TensorListMetadataILi2EEENS1_14UnaryOpFunctorIN3c1015Float8_e4m3fnuzELi2ELi1ELi1EEEJNS0_4CopyIS7_S7_EEEEEvT_T0_DpT1_,"axG",@progbits,_ZN2at6native12_GLOBAL__N_125multi_tensor_apply_kernelINS1_18TensorListMetadataILi2EEENS1_14UnaryOpFunctorIN3c1015Float8_e4m3fnuzELi2ELi1ELi1EEEJNS0_4CopyIS7_S7_EEEEEvT_T0_DpT1_,comdat
	.globl	_ZN2at6native12_GLOBAL__N_125multi_tensor_apply_kernelINS1_18TensorListMetadataILi2EEENS1_14UnaryOpFunctorIN3c1015Float8_e4m3fnuzELi2ELi1ELi1EEEJNS0_4CopyIS7_S7_EEEEEvT_T0_DpT1_ ; -- Begin function _ZN2at6native12_GLOBAL__N_125multi_tensor_apply_kernelINS1_18TensorListMetadataILi2EEENS1_14UnaryOpFunctorIN3c1015Float8_e4m3fnuzELi2ELi1ELi1EEEJNS0_4CopyIS7_S7_EEEEEvT_T0_DpT1_
	.p2align	8
	.type	_ZN2at6native12_GLOBAL__N_125multi_tensor_apply_kernelINS1_18TensorListMetadataILi2EEENS1_14UnaryOpFunctorIN3c1015Float8_e4m3fnuzELi2ELi1ELi1EEEJNS0_4CopyIS7_S7_EEEEEvT_T0_DpT1_,@function
_ZN2at6native12_GLOBAL__N_125multi_tensor_apply_kernelINS1_18TensorListMetadataILi2EEENS1_14UnaryOpFunctorIN3c1015Float8_e4m3fnuzELi2ELi1ELi1EEEJNS0_4CopyIS7_S7_EEEEEvT_T0_DpT1_: ; @_ZN2at6native12_GLOBAL__N_125multi_tensor_apply_kernelINS1_18TensorListMetadataILi2EEENS1_14UnaryOpFunctorIN3c1015Float8_e4m3fnuzELi2ELi1ELi1EEEJNS0_4CopyIS7_S7_EEEEEvT_T0_DpT1_
; %bb.0:
	v_mov_b32_e32 v1, s15
	s_add_u32 s2, s0, s15
	s_mul_hi_u32 s3, s15, 3
	s_mul_i32 s15, s15, 3
	s_addc_u32 s4, s1, 0
	global_load_u8 v1, v1, s[0:1] offset:1536
	s_add_u32 s2, s2, s15
	s_addc_u32 s3, s4, s3
	s_load_b32 s2, s[2:3], 0x740
	s_waitcnt vmcnt(0)
	v_readfirstlane_b32 s5, v1
	s_delay_alu instid0(VALU_DEP_1)
	s_lshl_b32 s3, s5, 3
	s_clause 0x2
	s_load_b64 s[8:9], s[0:1], s3 offset:0x0
	s_load_b64 s[10:11], s[0:1], s3 offset:0x200
	;; [unrolled: 1-line block ×3, first 2 shown]
	s_waitcnt lgkmcnt(0)
	s_ashr_i32 s3, s2, 31
	s_delay_alu instid0(SALU_CYCLE_1) | instskip(NEXT) | instid1(SALU_CYCLE_1)
	s_lshl_b64 s[12:13], s[2:3], 16
	s_add_u32 s6, s8, s12
	s_addc_u32 s7, s9, s13
	s_add_u32 s3, s10, s12
	s_addc_u32 s14, s11, s13
	s_or_b64 s[16:17], s[4:5], s[6:7]
	s_delay_alu instid0(SALU_CYCLE_1) | instskip(NEXT) | instid1(SALU_CYCLE_1)
	s_or_b32 s2, s3, s16
	s_and_b32 s2, s2, 3
	s_sub_u32 s4, s4, s12
	s_subb_u32 s5, s5, s13
	s_cmp_eq_u32 s2, 0
	s_mov_b32 s2, -1
	s_cbranch_scc0 .LBB377_69
; %bb.1:
	v_dual_mov_b32 v2, 0 :: v_dual_lshlrev_b32 v1, 2, v0
	s_mov_b32 s15, exec_lo
	s_delay_alu instid0(VALU_DEP_1)
	v_cmpx_gt_i64_e64 s[4:5], v[1:2]
	s_cbranch_execz .LBB377_68
; %bb.2:
	s_load_b32 s2, s[0:1], 0xc5c
	s_mov_b32 s17, 0
	s_waitcnt lgkmcnt(0)
	s_and_b32 s2, s2, 0xffff
	s_delay_alu instid0(SALU_CYCLE_1)
	s_lshl_b32 s16, s2, 2
	s_branch .LBB377_5
.LBB377_3:                              ;   in Loop: Header=BB377_5 Depth=1
	s_or_b32 exec_lo, exec_lo, s19
.LBB377_4:                              ;   in Loop: Header=BB377_5 Depth=1
	s_delay_alu instid0(SALU_CYCLE_1)
	s_or_b32 exec_lo, exec_lo, s2
	v_add_co_u32 v9, vcc_lo, s3, v1
	v_add_co_ci_u32_e32 v10, vcc_lo, s14, v2, vcc_lo
	v_add_co_u32 v1, vcc_lo, s16, v1
	v_add_co_ci_u32_e32 v2, vcc_lo, 0, v2, vcc_lo
	v_lshlrev_b32_e32 v3, 16, v6
	v_lshlrev_b32_e32 v5, 8, v5
	v_and_b32_e32 v4, 0xff, v4
	s_delay_alu instid0(VALU_DEP_4) | instskip(SKIP_3) | instid1(VALU_DEP_3)
	v_cmp_le_i64_e32 vcc_lo, s[4:5], v[1:2]
	v_cmp_lt_u64_e64 s2, 0xffff, v[1:2]
	v_perm_b32 v3, v8, v3, 0x4020c0c
	v_and_b32_e32 v5, 0xff00, v5
	s_or_b32 s2, vcc_lo, s2
	s_delay_alu instid0(VALU_DEP_1) | instskip(SKIP_1) | instid1(SALU_CYCLE_1)
	v_or3_b32 v3, v3, v5, v4
	s_and_b32 s2, exec_lo, s2
	s_or_b32 s17, s2, s17
	global_store_b32 v[9:10], v3, off
	s_and_not1_b32 exec_lo, exec_lo, s17
	s_cbranch_execz .LBB377_68
.LBB377_5:                              ; =>This Inner Loop Header: Depth=1
	v_add_co_u32 v3, vcc_lo, s6, v1
	v_add_co_ci_u32_e32 v4, vcc_lo, s7, v2, vcc_lo
	s_mov_b32 s2, 0
	s_mov_b32 s19, exec_lo
                                        ; implicit-def: $sgpr18
	global_load_b32 v3, v[3:4], off
	s_waitcnt vmcnt(0)
	v_and_b32_e32 v4, 0xff, v3
	s_delay_alu instid0(VALU_DEP_1)
	v_cmpx_lt_i16_e32 0x7f, v4
	s_xor_b32 s19, exec_lo, s19
	s_cbranch_execnz .LBB377_43
; %bb.6:                                ;   in Loop: Header=BB377_5 Depth=1
	s_or_saveexec_b32 s19, s19
	v_mov_b32_e32 v5, s18
	s_xor_b32 exec_lo, exec_lo, s19
	s_cbranch_execnz .LBB377_46
.LBB377_7:                              ;   in Loop: Header=BB377_5 Depth=1
	s_or_b32 exec_lo, exec_lo, s19
	s_and_saveexec_b32 s18, s2
	s_cbranch_execz .LBB377_9
.LBB377_8:                              ;   in Loop: Header=BB377_5 Depth=1
	v_bfe_u32 v7, v3, 3, 4
	v_lshlrev_b32_e32 v8, 24, v3
	s_delay_alu instid0(VALU_DEP_2) | instskip(SKIP_1) | instid1(VALU_DEP_1)
	v_cmp_eq_u32_e32 vcc_lo, 0, v7
	v_and_b32_e32 v4, 7, v3
	v_clz_i32_u32_e32 v5, v4
	s_delay_alu instid0(VALU_DEP_1) | instskip(NEXT) | instid1(VALU_DEP_1)
	v_min_u32_e32 v5, 32, v5
	v_subrev_nc_u32_e32 v6, 28, v5
	v_sub_nc_u32_e32 v5, 29, v5
	s_delay_alu instid0(VALU_DEP_1) | instskip(NEXT) | instid1(VALU_DEP_1)
	v_dual_cndmask_b32 v5, v7, v5 :: v_dual_lshlrev_b32 v6, v6, v3
	v_and_b32_e32 v6, 7, v6
	s_delay_alu instid0(VALU_DEP_2) | instskip(NEXT) | instid1(VALU_DEP_2)
	v_lshl_add_u32 v5, v5, 23, 0x3b800000
	v_cndmask_b32_e32 v4, v4, v6, vcc_lo
	v_and_b32_e32 v6, 0x80000000, v8
	s_delay_alu instid0(VALU_DEP_2) | instskip(NEXT) | instid1(VALU_DEP_1)
	v_lshlrev_b32_e32 v4, 20, v4
	v_or3_b32 v5, v6, v5, v4
.LBB377_9:                              ;   in Loop: Header=BB377_5 Depth=1
	s_or_b32 exec_lo, exec_lo, s18
	s_delay_alu instid0(VALU_DEP_1) | instskip(SKIP_2) | instid1(VALU_DEP_2)
	v_and_b32_e32 v6, 0x7fffffff, v5
	v_mov_b32_e32 v4, 0x80
	s_mov_b32 s2, exec_lo
	v_cmpx_gt_u32_e32 0x43800000, v6
	s_cbranch_execz .LBB377_15
; %bb.10:                               ;   in Loop: Header=BB377_5 Depth=1
	v_cmp_lt_u32_e32 vcc_lo, 0x3bffffff, v6
	s_mov_b32 s18, 0
                                        ; implicit-def: $vgpr6
	s_and_saveexec_b32 s19, vcc_lo
	s_delay_alu instid0(SALU_CYCLE_1)
	s_xor_b32 s19, exec_lo, s19
	s_cbranch_execnz .LBB377_59
; %bb.11:                               ;   in Loop: Header=BB377_5 Depth=1
	s_or_saveexec_b32 s19, s19
                                        ; implicit-def: $sgpr20
	s_delay_alu instid0(SALU_CYCLE_1)
	s_xor_b32 exec_lo, exec_lo, s19
	s_cbranch_execnz .LBB377_60
.LBB377_12:                             ;   in Loop: Header=BB377_5 Depth=1
	s_or_b32 exec_lo, exec_lo, s19
	v_mov_b32_e32 v4, s20
	s_and_saveexec_b32 s19, s18
.LBB377_13:                             ;   in Loop: Header=BB377_5 Depth=1
	v_lshrrev_b32_e32 v4, 24, v5
	s_delay_alu instid0(VALU_DEP_1)
	v_and_or_b32 v4, 0x80, v4, v6
.LBB377_14:                             ;   in Loop: Header=BB377_5 Depth=1
	s_or_b32 exec_lo, exec_lo, s19
.LBB377_15:                             ;   in Loop: Header=BB377_5 Depth=1
	s_delay_alu instid0(SALU_CYCLE_1) | instskip(SKIP_3) | instid1(VALU_DEP_1)
	s_or_b32 exec_lo, exec_lo, s2
	v_lshrrev_b32_e32 v5, 8, v3
	s_mov_b32 s2, 0
	s_mov_b32 s19, exec_lo
                                        ; implicit-def: $sgpr18
	v_and_b32_e32 v7, 0xff, v5
	s_delay_alu instid0(VALU_DEP_1)
	v_cmpx_lt_i16_e32 0x7f, v7
	s_xor_b32 s19, exec_lo, s19
	s_cbranch_execnz .LBB377_47
; %bb.16:                               ;   in Loop: Header=BB377_5 Depth=1
	s_or_saveexec_b32 s19, s19
	v_mov_b32_e32 v6, s18
	s_xor_b32 exec_lo, exec_lo, s19
	s_cbranch_execnz .LBB377_50
.LBB377_17:                             ;   in Loop: Header=BB377_5 Depth=1
	s_or_b32 exec_lo, exec_lo, s19
	s_and_saveexec_b32 s18, s2
	s_cbranch_execz .LBB377_19
.LBB377_18:                             ;   in Loop: Header=BB377_5 Depth=1
	v_bfe_u32 v6, v3, 8, 3
	v_bfe_u32 v9, v3, 11, 4
	s_delay_alu instid0(VALU_DEP_2) | instskip(NEXT) | instid1(VALU_DEP_2)
	v_clz_i32_u32_e32 v7, v6
	v_cmp_eq_u32_e32 vcc_lo, 0, v9
	s_delay_alu instid0(VALU_DEP_2) | instskip(NEXT) | instid1(VALU_DEP_1)
	v_min_u32_e32 v7, 32, v7
	v_subrev_nc_u32_e32 v8, 28, v7
	v_sub_nc_u32_e32 v7, 29, v7
	s_delay_alu instid0(VALU_DEP_1) | instskip(NEXT) | instid1(VALU_DEP_1)
	v_dual_cndmask_b32 v7, v9, v7 :: v_dual_lshlrev_b32 v8, v8, v5
	v_and_b32_e32 v8, 7, v8
	v_lshlrev_b32_e32 v5, 24, v5
	s_delay_alu instid0(VALU_DEP_3) | instskip(NEXT) | instid1(VALU_DEP_2)
	v_lshl_add_u32 v7, v7, 23, 0x3b800000
	v_dual_cndmask_b32 v6, v6, v8 :: v_dual_and_b32 v5, 0x80000000, v5
	s_delay_alu instid0(VALU_DEP_1) | instskip(NEXT) | instid1(VALU_DEP_1)
	v_lshlrev_b32_e32 v6, 20, v6
	v_or3_b32 v6, v5, v7, v6
.LBB377_19:                             ;   in Loop: Header=BB377_5 Depth=1
	s_or_b32 exec_lo, exec_lo, s18
	s_delay_alu instid0(VALU_DEP_1) | instskip(SKIP_2) | instid1(VALU_DEP_2)
	v_and_b32_e32 v7, 0x7fffffff, v6
	v_mov_b32_e32 v5, 0x80
	s_mov_b32 s2, exec_lo
	v_cmpx_gt_u32_e32 0x43800000, v7
	s_cbranch_execz .LBB377_25
; %bb.20:                               ;   in Loop: Header=BB377_5 Depth=1
	v_cmp_lt_u32_e32 vcc_lo, 0x3bffffff, v7
	s_mov_b32 s18, 0
                                        ; implicit-def: $vgpr7
	s_and_saveexec_b32 s19, vcc_lo
	s_delay_alu instid0(SALU_CYCLE_1)
	s_xor_b32 s19, exec_lo, s19
	s_cbranch_execnz .LBB377_61
; %bb.21:                               ;   in Loop: Header=BB377_5 Depth=1
	s_or_saveexec_b32 s19, s19
                                        ; implicit-def: $sgpr20
	s_delay_alu instid0(SALU_CYCLE_1)
	s_xor_b32 exec_lo, exec_lo, s19
	s_cbranch_execnz .LBB377_62
.LBB377_22:                             ;   in Loop: Header=BB377_5 Depth=1
	s_or_b32 exec_lo, exec_lo, s19
	v_mov_b32_e32 v5, s20
	s_and_saveexec_b32 s19, s18
.LBB377_23:                             ;   in Loop: Header=BB377_5 Depth=1
	v_lshrrev_b32_e32 v5, 24, v6
	s_delay_alu instid0(VALU_DEP_1)
	v_and_or_b32 v5, 0x80, v5, v7
.LBB377_24:                             ;   in Loop: Header=BB377_5 Depth=1
	s_or_b32 exec_lo, exec_lo, s19
.LBB377_25:                             ;   in Loop: Header=BB377_5 Depth=1
	s_delay_alu instid0(SALU_CYCLE_1) | instskip(SKIP_3) | instid1(VALU_DEP_1)
	s_or_b32 exec_lo, exec_lo, s2
	v_lshrrev_b32_e32 v6, 16, v3
	s_mov_b32 s2, 0
	s_mov_b32 s19, exec_lo
                                        ; implicit-def: $sgpr18
	v_and_b32_e32 v8, 0xff, v6
	s_delay_alu instid0(VALU_DEP_1)
	v_cmpx_lt_i16_e32 0x7f, v8
	s_xor_b32 s19, exec_lo, s19
	s_cbranch_execnz .LBB377_51
; %bb.26:                               ;   in Loop: Header=BB377_5 Depth=1
	s_or_saveexec_b32 s19, s19
	v_mov_b32_e32 v7, s18
	s_xor_b32 exec_lo, exec_lo, s19
	s_cbranch_execnz .LBB377_54
.LBB377_27:                             ;   in Loop: Header=BB377_5 Depth=1
	s_or_b32 exec_lo, exec_lo, s19
	s_and_saveexec_b32 s18, s2
	s_cbranch_execz .LBB377_29
.LBB377_28:                             ;   in Loop: Header=BB377_5 Depth=1
	v_bfe_u32 v7, v3, 16, 3
	v_bfe_u32 v10, v3, 19, 4
	s_delay_alu instid0(VALU_DEP_2) | instskip(NEXT) | instid1(VALU_DEP_2)
	v_clz_i32_u32_e32 v8, v7
	v_cmp_eq_u32_e32 vcc_lo, 0, v10
	s_delay_alu instid0(VALU_DEP_2) | instskip(NEXT) | instid1(VALU_DEP_1)
	v_min_u32_e32 v8, 32, v8
	v_subrev_nc_u32_e32 v9, 28, v8
	v_sub_nc_u32_e32 v8, 29, v8
	s_delay_alu instid0(VALU_DEP_1) | instskip(NEXT) | instid1(VALU_DEP_1)
	v_dual_cndmask_b32 v8, v10, v8 :: v_dual_lshlrev_b32 v9, v9, v6
	v_and_b32_e32 v9, 7, v9
	v_lshlrev_b32_e32 v6, 24, v6
	s_delay_alu instid0(VALU_DEP_3) | instskip(NEXT) | instid1(VALU_DEP_2)
	v_lshl_add_u32 v8, v8, 23, 0x3b800000
	v_dual_cndmask_b32 v7, v7, v9 :: v_dual_and_b32 v6, 0x80000000, v6
	s_delay_alu instid0(VALU_DEP_1) | instskip(NEXT) | instid1(VALU_DEP_1)
	v_lshlrev_b32_e32 v7, 20, v7
	v_or3_b32 v7, v6, v8, v7
.LBB377_29:                             ;   in Loop: Header=BB377_5 Depth=1
	s_or_b32 exec_lo, exec_lo, s18
	s_delay_alu instid0(VALU_DEP_1) | instskip(SKIP_2) | instid1(VALU_DEP_2)
	v_and_b32_e32 v8, 0x7fffffff, v7
	v_mov_b32_e32 v6, 0x80
	s_mov_b32 s2, exec_lo
	v_cmpx_gt_u32_e32 0x43800000, v8
	s_cbranch_execz .LBB377_35
; %bb.30:                               ;   in Loop: Header=BB377_5 Depth=1
	v_cmp_lt_u32_e32 vcc_lo, 0x3bffffff, v8
	s_mov_b32 s18, 0
                                        ; implicit-def: $vgpr8
	s_and_saveexec_b32 s19, vcc_lo
	s_delay_alu instid0(SALU_CYCLE_1)
	s_xor_b32 s19, exec_lo, s19
	s_cbranch_execnz .LBB377_63
; %bb.31:                               ;   in Loop: Header=BB377_5 Depth=1
	s_or_saveexec_b32 s19, s19
                                        ; implicit-def: $sgpr20
	s_delay_alu instid0(SALU_CYCLE_1)
	s_xor_b32 exec_lo, exec_lo, s19
	s_cbranch_execnz .LBB377_64
.LBB377_32:                             ;   in Loop: Header=BB377_5 Depth=1
	s_or_b32 exec_lo, exec_lo, s19
	v_mov_b32_e32 v6, s20
	s_and_saveexec_b32 s19, s18
.LBB377_33:                             ;   in Loop: Header=BB377_5 Depth=1
	v_lshrrev_b32_e32 v6, 24, v7
	s_delay_alu instid0(VALU_DEP_1)
	v_and_or_b32 v6, 0x80, v6, v8
.LBB377_34:                             ;   in Loop: Header=BB377_5 Depth=1
	s_or_b32 exec_lo, exec_lo, s19
.LBB377_35:                             ;   in Loop: Header=BB377_5 Depth=1
	s_delay_alu instid0(SALU_CYCLE_1) | instskip(SKIP_3) | instid1(VALU_DEP_1)
	s_or_b32 exec_lo, exec_lo, s2
	v_lshrrev_b32_e32 v8, 24, v3
	s_mov_b32 s2, 0
	s_mov_b32 s19, exec_lo
                                        ; implicit-def: $sgpr18
	v_cmpx_lt_i16_e32 0x7f, v8
	s_xor_b32 s19, exec_lo, s19
	s_cbranch_execnz .LBB377_55
; %bb.36:                               ;   in Loop: Header=BB377_5 Depth=1
	s_or_saveexec_b32 s19, s19
	v_mov_b32_e32 v7, s18
	s_xor_b32 exec_lo, exec_lo, s19
	s_cbranch_execnz .LBB377_58
.LBB377_37:                             ;   in Loop: Header=BB377_5 Depth=1
	s_or_b32 exec_lo, exec_lo, s19
	s_and_saveexec_b32 s18, s2
	s_cbranch_execz .LBB377_39
.LBB377_38:                             ;   in Loop: Header=BB377_5 Depth=1
	v_bfe_u32 v7, v3, 24, 3
	s_delay_alu instid0(VALU_DEP_1) | instskip(NEXT) | instid1(VALU_DEP_1)
	v_clz_i32_u32_e32 v9, v7
	v_min_u32_e32 v9, 32, v9
	s_delay_alu instid0(VALU_DEP_1) | instskip(SKIP_1) | instid1(VALU_DEP_2)
	v_subrev_nc_u32_e32 v10, 28, v9
	v_sub_nc_u32_e32 v9, 29, v9
	v_lshlrev_b32_e32 v8, v10, v8
	v_bfe_u32 v10, v3, 27, 4
	v_and_b32_e32 v3, 0x80000000, v3
	s_delay_alu instid0(VALU_DEP_2) | instskip(NEXT) | instid1(VALU_DEP_4)
	v_cmp_eq_u32_e32 vcc_lo, 0, v10
	v_dual_cndmask_b32 v9, v10, v9 :: v_dual_and_b32 v8, 7, v8
	s_delay_alu instid0(VALU_DEP_1) | instskip(NEXT) | instid1(VALU_DEP_2)
	v_cndmask_b32_e32 v7, v7, v8, vcc_lo
	v_lshl_add_u32 v8, v9, 23, 0x3b800000
	s_delay_alu instid0(VALU_DEP_2) | instskip(NEXT) | instid1(VALU_DEP_1)
	v_lshlrev_b32_e32 v7, 20, v7
	v_or3_b32 v7, v3, v8, v7
.LBB377_39:                             ;   in Loop: Header=BB377_5 Depth=1
	s_or_b32 exec_lo, exec_lo, s18
	s_delay_alu instid0(VALU_DEP_1) | instskip(SKIP_2) | instid1(VALU_DEP_2)
	v_and_b32_e32 v3, 0x7fffffff, v7
	v_mov_b32_e32 v8, 0x80
	s_mov_b32 s2, exec_lo
	v_cmpx_gt_u32_e32 0x43800000, v3
	s_cbranch_execz .LBB377_4
; %bb.40:                               ;   in Loop: Header=BB377_5 Depth=1
	v_cmp_lt_u32_e32 vcc_lo, 0x3bffffff, v3
	s_mov_b32 s18, 0
                                        ; implicit-def: $vgpr3
	s_and_saveexec_b32 s19, vcc_lo
	s_delay_alu instid0(SALU_CYCLE_1)
	s_xor_b32 s19, exec_lo, s19
	s_cbranch_execnz .LBB377_65
; %bb.41:                               ;   in Loop: Header=BB377_5 Depth=1
	s_or_saveexec_b32 s19, s19
                                        ; implicit-def: $sgpr20
	s_delay_alu instid0(SALU_CYCLE_1)
	s_xor_b32 exec_lo, exec_lo, s19
	s_cbranch_execnz .LBB377_66
.LBB377_42:                             ;   in Loop: Header=BB377_5 Depth=1
	s_or_b32 exec_lo, exec_lo, s19
	v_mov_b32_e32 v8, s20
	s_and_saveexec_b32 s19, s18
	s_cbranch_execz .LBB377_3
	s_branch .LBB377_67
.LBB377_43:                             ;   in Loop: Header=BB377_5 Depth=1
	s_mov_b32 s2, -1
	s_mov_b32 s20, exec_lo
                                        ; implicit-def: $sgpr18
	v_cmpx_eq_u16_e32 0x80, v4
; %bb.44:                               ;   in Loop: Header=BB377_5 Depth=1
	s_mov_b32 s18, 0x7f800001
	s_xor_b32 s2, exec_lo, -1
; %bb.45:                               ;   in Loop: Header=BB377_5 Depth=1
	s_or_b32 exec_lo, exec_lo, s20
	s_delay_alu instid0(SALU_CYCLE_1)
	s_and_b32 s2, s2, exec_lo
                                        ; implicit-def: $vgpr4
	s_or_saveexec_b32 s19, s19
	v_mov_b32_e32 v5, s18
	s_xor_b32 exec_lo, exec_lo, s19
	s_cbranch_execz .LBB377_7
.LBB377_46:                             ;   in Loop: Header=BB377_5 Depth=1
	v_cmp_ne_u16_e32 vcc_lo, 0, v4
	v_mov_b32_e32 v5, 0
	s_and_not1_b32 s2, s2, exec_lo
	s_and_b32 s18, vcc_lo, exec_lo
	s_delay_alu instid0(SALU_CYCLE_1)
	s_or_b32 s2, s2, s18
	s_or_b32 exec_lo, exec_lo, s19
	s_and_saveexec_b32 s18, s2
	s_cbranch_execnz .LBB377_8
	s_branch .LBB377_9
.LBB377_47:                             ;   in Loop: Header=BB377_5 Depth=1
	s_mov_b32 s2, -1
	s_mov_b32 s20, exec_lo
                                        ; implicit-def: $sgpr18
	v_cmpx_eq_u16_e32 0x80, v7
; %bb.48:                               ;   in Loop: Header=BB377_5 Depth=1
	s_mov_b32 s18, 0x7f800001
	s_xor_b32 s2, exec_lo, -1
; %bb.49:                               ;   in Loop: Header=BB377_5 Depth=1
	s_or_b32 exec_lo, exec_lo, s20
	s_delay_alu instid0(SALU_CYCLE_1)
	s_and_b32 s2, s2, exec_lo
                                        ; implicit-def: $vgpr7
	s_or_saveexec_b32 s19, s19
	v_mov_b32_e32 v6, s18
	s_xor_b32 exec_lo, exec_lo, s19
	s_cbranch_execz .LBB377_17
.LBB377_50:                             ;   in Loop: Header=BB377_5 Depth=1
	v_cmp_ne_u16_e32 vcc_lo, 0, v7
	v_mov_b32_e32 v6, 0
	s_and_not1_b32 s2, s2, exec_lo
	s_and_b32 s18, vcc_lo, exec_lo
	s_delay_alu instid0(SALU_CYCLE_1)
	s_or_b32 s2, s2, s18
	s_or_b32 exec_lo, exec_lo, s19
	s_and_saveexec_b32 s18, s2
	s_cbranch_execnz .LBB377_18
	s_branch .LBB377_19
.LBB377_51:                             ;   in Loop: Header=BB377_5 Depth=1
	s_mov_b32 s2, -1
	s_mov_b32 s20, exec_lo
                                        ; implicit-def: $sgpr18
	v_cmpx_eq_u16_e32 0x80, v8
; %bb.52:                               ;   in Loop: Header=BB377_5 Depth=1
	s_mov_b32 s18, 0x7f800001
	s_xor_b32 s2, exec_lo, -1
; %bb.53:                               ;   in Loop: Header=BB377_5 Depth=1
	s_or_b32 exec_lo, exec_lo, s20
	s_delay_alu instid0(SALU_CYCLE_1)
	s_and_b32 s2, s2, exec_lo
                                        ; implicit-def: $vgpr8
	s_or_saveexec_b32 s19, s19
	v_mov_b32_e32 v7, s18
	s_xor_b32 exec_lo, exec_lo, s19
	s_cbranch_execz .LBB377_27
.LBB377_54:                             ;   in Loop: Header=BB377_5 Depth=1
	v_cmp_ne_u16_e32 vcc_lo, 0, v8
	v_mov_b32_e32 v7, 0
	s_and_not1_b32 s2, s2, exec_lo
	s_and_b32 s18, vcc_lo, exec_lo
	s_delay_alu instid0(SALU_CYCLE_1)
	s_or_b32 s2, s2, s18
	s_or_b32 exec_lo, exec_lo, s19
	s_and_saveexec_b32 s18, s2
	s_cbranch_execnz .LBB377_28
	s_branch .LBB377_29
.LBB377_55:                             ;   in Loop: Header=BB377_5 Depth=1
	s_mov_b32 s2, -1
	s_mov_b32 s20, exec_lo
                                        ; implicit-def: $sgpr18
	v_cmpx_eq_u16_e32 0x80, v8
; %bb.56:                               ;   in Loop: Header=BB377_5 Depth=1
	s_mov_b32 s18, 0x7f800001
	s_xor_b32 s2, exec_lo, -1
; %bb.57:                               ;   in Loop: Header=BB377_5 Depth=1
	s_or_b32 exec_lo, exec_lo, s20
	s_delay_alu instid0(SALU_CYCLE_1)
	s_and_b32 s2, s2, exec_lo
	s_or_saveexec_b32 s19, s19
	v_mov_b32_e32 v7, s18
	s_xor_b32 exec_lo, exec_lo, s19
	s_cbranch_execz .LBB377_37
.LBB377_58:                             ;   in Loop: Header=BB377_5 Depth=1
	v_cmp_ne_u16_e32 vcc_lo, 0, v8
	v_mov_b32_e32 v7, 0
	s_and_not1_b32 s2, s2, exec_lo
	s_and_b32 s18, vcc_lo, exec_lo
	s_delay_alu instid0(SALU_CYCLE_1)
	s_or_b32 s2, s2, s18
	s_or_b32 exec_lo, exec_lo, s19
	s_and_saveexec_b32 s18, s2
	s_cbranch_execnz .LBB377_38
	s_branch .LBB377_39
.LBB377_59:                             ;   in Loop: Header=BB377_5 Depth=1
	v_bfe_u32 v4, v5, 20, 1
	s_mov_b32 s18, exec_lo
	s_delay_alu instid0(VALU_DEP_1) | instskip(NEXT) | instid1(VALU_DEP_1)
	v_add3_u32 v4, v5, v4, 0x487ffff
	v_lshrrev_b32_e32 v6, 20, v4
	s_or_saveexec_b32 s19, s19
                                        ; implicit-def: $sgpr20
	s_delay_alu instid0(SALU_CYCLE_1)
	s_xor_b32 exec_lo, exec_lo, s19
	s_cbranch_execz .LBB377_12
.LBB377_60:                             ;   in Loop: Header=BB377_5 Depth=1
	v_add_f32_e64 v4, 0x46000000, |v5|
	s_and_not1_b32 s18, s18, exec_lo
	s_mov_b32 s20, 0
	s_delay_alu instid0(VALU_DEP_1) | instskip(NEXT) | instid1(VALU_DEP_1)
	v_and_b32_e32 v6, 0xff, v4
	v_cmp_ne_u32_e32 vcc_lo, 0, v6
	s_and_b32 s21, vcc_lo, exec_lo
	s_delay_alu instid0(SALU_CYCLE_1)
	s_or_b32 s18, s18, s21
	s_or_b32 exec_lo, exec_lo, s19
	v_mov_b32_e32 v4, s20
	s_and_saveexec_b32 s19, s18
	s_cbranch_execnz .LBB377_13
	s_branch .LBB377_14
.LBB377_61:                             ;   in Loop: Header=BB377_5 Depth=1
	v_bfe_u32 v5, v6, 20, 1
	s_mov_b32 s18, exec_lo
	s_delay_alu instid0(VALU_DEP_1) | instskip(NEXT) | instid1(VALU_DEP_1)
	v_add3_u32 v5, v6, v5, 0x487ffff
	v_lshrrev_b32_e32 v7, 20, v5
	s_or_saveexec_b32 s19, s19
                                        ; implicit-def: $sgpr20
	s_delay_alu instid0(SALU_CYCLE_1)
	s_xor_b32 exec_lo, exec_lo, s19
	s_cbranch_execz .LBB377_22
.LBB377_62:                             ;   in Loop: Header=BB377_5 Depth=1
	v_add_f32_e64 v5, 0x46000000, |v6|
	s_and_not1_b32 s18, s18, exec_lo
	s_mov_b32 s20, 0
	s_delay_alu instid0(VALU_DEP_1) | instskip(NEXT) | instid1(VALU_DEP_1)
	v_and_b32_e32 v7, 0xff, v5
	v_cmp_ne_u32_e32 vcc_lo, 0, v7
	s_and_b32 s21, vcc_lo, exec_lo
	s_delay_alu instid0(SALU_CYCLE_1)
	s_or_b32 s18, s18, s21
	s_or_b32 exec_lo, exec_lo, s19
	v_mov_b32_e32 v5, s20
	s_and_saveexec_b32 s19, s18
	s_cbranch_execnz .LBB377_23
	s_branch .LBB377_24
.LBB377_63:                             ;   in Loop: Header=BB377_5 Depth=1
	v_bfe_u32 v6, v7, 20, 1
	s_mov_b32 s18, exec_lo
	s_delay_alu instid0(VALU_DEP_1) | instskip(NEXT) | instid1(VALU_DEP_1)
	v_add3_u32 v6, v7, v6, 0x487ffff
	v_lshrrev_b32_e32 v8, 20, v6
	s_or_saveexec_b32 s19, s19
                                        ; implicit-def: $sgpr20
	s_delay_alu instid0(SALU_CYCLE_1)
	s_xor_b32 exec_lo, exec_lo, s19
	s_cbranch_execz .LBB377_32
.LBB377_64:                             ;   in Loop: Header=BB377_5 Depth=1
	v_add_f32_e64 v6, 0x46000000, |v7|
	s_and_not1_b32 s18, s18, exec_lo
	s_mov_b32 s20, 0
	s_delay_alu instid0(VALU_DEP_1) | instskip(NEXT) | instid1(VALU_DEP_1)
	v_and_b32_e32 v8, 0xff, v6
	v_cmp_ne_u32_e32 vcc_lo, 0, v8
	s_and_b32 s21, vcc_lo, exec_lo
	s_delay_alu instid0(SALU_CYCLE_1)
	s_or_b32 s18, s18, s21
	s_or_b32 exec_lo, exec_lo, s19
	v_mov_b32_e32 v6, s20
	s_and_saveexec_b32 s19, s18
	s_cbranch_execnz .LBB377_33
	s_branch .LBB377_34
.LBB377_65:                             ;   in Loop: Header=BB377_5 Depth=1
	v_bfe_u32 v3, v7, 20, 1
	s_mov_b32 s18, exec_lo
	s_delay_alu instid0(VALU_DEP_1) | instskip(NEXT) | instid1(VALU_DEP_1)
	v_add3_u32 v3, v7, v3, 0x487ffff
	v_lshrrev_b32_e32 v3, 20, v3
	s_or_saveexec_b32 s19, s19
                                        ; implicit-def: $sgpr20
	s_delay_alu instid0(SALU_CYCLE_1)
	s_xor_b32 exec_lo, exec_lo, s19
	s_cbranch_execz .LBB377_42
.LBB377_66:                             ;   in Loop: Header=BB377_5 Depth=1
	v_add_f32_e64 v3, 0x46000000, |v7|
	s_and_not1_b32 s18, s18, exec_lo
	s_mov_b32 s20, 0
	s_delay_alu instid0(VALU_DEP_1) | instskip(NEXT) | instid1(VALU_DEP_1)
	v_and_b32_e32 v3, 0xff, v3
	v_cmp_ne_u32_e32 vcc_lo, 0, v3
	s_and_b32 s21, vcc_lo, exec_lo
	s_delay_alu instid0(SALU_CYCLE_1)
	s_or_b32 s18, s18, s21
	s_or_b32 exec_lo, exec_lo, s19
	v_mov_b32_e32 v8, s20
	s_and_saveexec_b32 s19, s18
	s_cbranch_execz .LBB377_3
.LBB377_67:                             ;   in Loop: Header=BB377_5 Depth=1
	v_lshrrev_b32_e32 v7, 24, v7
	s_delay_alu instid0(VALU_DEP_1)
	v_and_or_b32 v8, 0x80, v7, v3
	s_branch .LBB377_3
.LBB377_68:
	s_or_b32 exec_lo, exec_lo, s15
	s_mov_b32 s2, 0
.LBB377_69:
	s_delay_alu instid0(SALU_CYCLE_1)
	s_and_not1_b32 vcc_lo, exec_lo, s2
	s_cbranch_vccnz .LBB377_153
; %bb.70:
	v_cmp_lt_i64_e64 s2, s[4:5], 1
	s_delay_alu instid0(VALU_DEP_1)
	s_and_b32 vcc_lo, exec_lo, s2
	s_cbranch_vccnz .LBB377_153
; %bb.71:
	s_load_b32 s0, s[0:1], 0xc5c
	v_add_co_u32 v15, s1, s12, v0
	s_delay_alu instid0(VALU_DEP_1) | instskip(SKIP_1) | instid1(VALU_DEP_3)
	v_add_co_ci_u32_e64 v16, null, s13, 0, s1
	v_cmp_gt_u64_e64 s1, 0x10000, s[4:5]
	v_add_co_u32 v1, vcc_lo, s8, v15
	s_delay_alu instid0(VALU_DEP_3)
	v_add_co_ci_u32_e32 v2, vcc_lo, s9, v16, vcc_lo
	v_add_co_u32 v3, vcc_lo, s10, v15
	v_add_co_ci_u32_e32 v4, vcc_lo, s11, v16, vcc_lo
	s_waitcnt lgkmcnt(0)
	s_and_b32 s0, s0, 0xffff
	s_and_b32 s1, s1, exec_lo
	s_mul_i32 s2, s0, 3
	s_cselect_b32 s7, s5, 0
	s_cselect_b32 s6, s4, 0x10000
	s_lshl_b32 s1, s0, 1
	s_lshl_b32 s14, s0, 2
	s_add_u32 s3, s12, s2
	s_addc_u32 s15, s13, 0
	v_add_co_u32 v7, s3, s3, v0
	s_delay_alu instid0(VALU_DEP_1) | instskip(SKIP_1) | instid1(VALU_DEP_2)
	v_add_co_ci_u32_e64 v8, null, s15, 0, s3
	s_add_u32 s3, s12, s1
	v_add_co_u32 v5, vcc_lo, s8, v7
	s_addc_u32 s12, s13, 0
	v_add_co_u32 v13, s3, s3, v0
	v_add_co_ci_u32_e32 v6, vcc_lo, s9, v8, vcc_lo
	v_add_co_u32 v7, vcc_lo, s10, v7
	v_add_co_ci_u32_e64 v14, null, s12, 0, s3
	v_add_co_ci_u32_e32 v8, vcc_lo, s11, v8, vcc_lo
	v_add_co_u32 v11, vcc_lo, s8, v13
	s_delay_alu instid0(VALU_DEP_3)
	v_add_co_ci_u32_e32 v12, vcc_lo, s9, v14, vcc_lo
	v_add_co_u32 v13, vcc_lo, s10, v13
	v_add_co_ci_u32_e32 v14, vcc_lo, s11, v14, vcc_lo
	v_add_co_u32 v19, vcc_lo, v15, s0
	v_add_co_ci_u32_e32 v20, vcc_lo, 0, v16, vcc_lo
	v_add_co_u32 v9, s2, s2, v0
	s_delay_alu instid0(VALU_DEP_3) | instskip(NEXT) | instid1(VALU_DEP_3)
	v_add_co_u32 v17, vcc_lo, s8, v19
	v_add_co_ci_u32_e32 v18, vcc_lo, s9, v20, vcc_lo
	v_add_co_u32 v15, s1, s1, v0
	v_add_co_u32 v19, vcc_lo, s10, v19
	v_add_co_u32 v21, s0, v0, s0
	v_add_co_ci_u32_e64 v10, null, 0, 0, s2
	v_add_co_ci_u32_e64 v16, null, 0, 0, s1
	v_add_co_ci_u32_e32 v20, vcc_lo, s11, v20, vcc_lo
	v_add_co_ci_u32_e64 v22, null, 0, 0, s0
	s_mov_b64 s[8:9], 0
	s_branch .LBB377_73
.LBB377_72:                             ;   in Loop: Header=BB377_73 Depth=1
	s_or_b32 exec_lo, exec_lo, s0
	s_add_u32 s8, s8, s14
	s_addc_u32 s9, s9, 0
	s_delay_alu instid0(SALU_CYCLE_1) | instskip(SKIP_1) | instid1(VALU_DEP_1)
	v_cmp_ge_i64_e64 s0, s[8:9], s[4:5]
	v_cmp_lt_u64_e64 s1, 0xffff, s[8:9]
	s_or_b32 s0, s0, s1
	s_delay_alu instid0(SALU_CYCLE_1)
	s_and_b32 vcc_lo, exec_lo, s0
	s_cbranch_vccnz .LBB377_153
.LBB377_73:                             ; =>This Inner Loop Header: Depth=1
	v_add_co_u32 v23, s0, v0, s8
	s_delay_alu instid0(VALU_DEP_1) | instskip(NEXT) | instid1(VALU_DEP_1)
	v_add_co_ci_u32_e64 v24, null, 0, s9, s0
	v_cmp_gt_u64_e32 vcc_lo, s[6:7], v[23:24]
	v_mov_b32_e32 v24, 0
	s_and_saveexec_b32 s1, vcc_lo
	s_cbranch_execz .LBB377_75
; %bb.74:                               ;   in Loop: Header=BB377_73 Depth=1
	v_add_co_u32 v23, s0, v1, s8
	s_delay_alu instid0(VALU_DEP_1)
	v_add_co_ci_u32_e64 v24, s0, s9, v2, s0
	global_load_u8 v24, v[23:24], off
.LBB377_75:                             ;   in Loop: Header=BB377_73 Depth=1
	s_or_b32 exec_lo, exec_lo, s1
	v_add_co_u32 v25, s0, v21, s8
	s_delay_alu instid0(VALU_DEP_1) | instskip(NEXT) | instid1(VALU_DEP_1)
	v_add_co_ci_u32_e64 v26, s0, s9, v22, s0
	v_cmp_gt_u64_e64 s0, s[6:7], v[25:26]
	v_mov_b32_e32 v26, 0
	s_delay_alu instid0(VALU_DEP_2)
	s_and_saveexec_b32 s2, s0
	s_cbranch_execz .LBB377_77
; %bb.76:                               ;   in Loop: Header=BB377_73 Depth=1
	v_add_co_u32 v25, s1, v17, s8
	s_delay_alu instid0(VALU_DEP_1)
	v_add_co_ci_u32_e64 v26, s1, s9, v18, s1
	global_load_u8 v26, v[25:26], off
.LBB377_77:                             ;   in Loop: Header=BB377_73 Depth=1
	s_or_b32 exec_lo, exec_lo, s2
	v_add_co_u32 v27, s1, v15, s8
	s_delay_alu instid0(VALU_DEP_1) | instskip(SKIP_2) | instid1(VALU_DEP_3)
	v_add_co_ci_u32_e64 v28, s1, s9, v16, s1
	v_mov_b32_e32 v23, 0
	v_mov_b32_e32 v25, 0
	v_cmp_gt_u64_e64 s1, s[6:7], v[27:28]
	s_delay_alu instid0(VALU_DEP_1)
	s_and_saveexec_b32 s3, s1
	s_cbranch_execz .LBB377_79
; %bb.78:                               ;   in Loop: Header=BB377_73 Depth=1
	v_add_co_u32 v27, s2, v11, s8
	s_delay_alu instid0(VALU_DEP_1)
	v_add_co_ci_u32_e64 v28, s2, s9, v12, s2
	global_load_u8 v25, v[27:28], off
.LBB377_79:                             ;   in Loop: Header=BB377_73 Depth=1
	s_or_b32 exec_lo, exec_lo, s3
	v_add_co_u32 v27, s2, v9, s8
	s_delay_alu instid0(VALU_DEP_1) | instskip(NEXT) | instid1(VALU_DEP_1)
	v_add_co_ci_u32_e64 v28, s2, s9, v10, s2
	v_cmp_gt_u64_e64 s2, s[6:7], v[27:28]
	s_delay_alu instid0(VALU_DEP_1)
	s_and_saveexec_b32 s10, s2
	s_cbranch_execz .LBB377_81
; %bb.80:                               ;   in Loop: Header=BB377_73 Depth=1
	v_add_co_u32 v27, s3, v5, s8
	s_delay_alu instid0(VALU_DEP_1)
	v_add_co_ci_u32_e64 v28, s3, s9, v6, s3
	global_load_u8 v23, v[27:28], off
.LBB377_81:                             ;   in Loop: Header=BB377_73 Depth=1
	s_or_b32 exec_lo, exec_lo, s10
	s_waitcnt vmcnt(0)
	v_and_b32_e32 v28, 0xff, v24
	s_mov_b32 s10, 0
	s_mov_b32 s12, exec_lo
                                        ; implicit-def: $sgpr11
	s_delay_alu instid0(VALU_DEP_1)
	v_cmpx_lt_i16_e32 0x7f, v28
	s_xor_b32 s12, exec_lo, s12
	s_cbranch_execnz .LBB377_120
; %bb.82:                               ;   in Loop: Header=BB377_73 Depth=1
	s_or_saveexec_b32 s12, s12
	v_mov_b32_e32 v27, s11
	s_xor_b32 exec_lo, exec_lo, s12
	s_cbranch_execnz .LBB377_123
.LBB377_83:                             ;   in Loop: Header=BB377_73 Depth=1
	s_or_b32 exec_lo, exec_lo, s12
	s_and_saveexec_b32 s11, s10
	s_cbranch_execz .LBB377_85
.LBB377_84:                             ;   in Loop: Header=BB377_73 Depth=1
	v_and_b32_e32 v27, 7, v24
	v_lshrrev_b16 v30, 3, v24
	s_delay_alu instid0(VALU_DEP_2) | instskip(NEXT) | instid1(VALU_DEP_2)
	v_clz_i32_u32_e32 v28, v27
	v_and_b32_e32 v30, 15, v30
	s_delay_alu instid0(VALU_DEP_2) | instskip(NEXT) | instid1(VALU_DEP_2)
	v_min_u32_e32 v28, 32, v28
	v_cmp_eq_u32_e64 s3, 0, v30
	s_delay_alu instid0(VALU_DEP_2) | instskip(SKIP_1) | instid1(VALU_DEP_2)
	v_subrev_nc_u32_e32 v29, 28, v28
	v_sub_nc_u32_e32 v28, 29, v28
	v_lshlrev_b32_e32 v29, v29, v24
	v_lshlrev_b32_e32 v24, 24, v24
	s_delay_alu instid0(VALU_DEP_3) | instskip(NEXT) | instid1(VALU_DEP_3)
	v_cndmask_b32_e64 v28, v30, v28, s3
	v_and_b32_e32 v29, 7, v29
	s_delay_alu instid0(VALU_DEP_3) | instskip(NEXT) | instid1(VALU_DEP_3)
	v_and_b32_e32 v24, 0x80000000, v24
	v_lshl_add_u32 v28, v28, 23, 0x3b800000
	s_delay_alu instid0(VALU_DEP_3) | instskip(NEXT) | instid1(VALU_DEP_1)
	v_cndmask_b32_e64 v27, v27, v29, s3
	v_lshlrev_b32_e32 v27, 20, v27
	s_delay_alu instid0(VALU_DEP_1)
	v_or3_b32 v27, v24, v28, v27
.LBB377_85:                             ;   in Loop: Header=BB377_73 Depth=1
	s_or_b32 exec_lo, exec_lo, s11
	s_delay_alu instid0(VALU_DEP_1) | instskip(SKIP_2) | instid1(VALU_DEP_2)
	v_and_b32_e32 v28, 0x7fffffff, v27
	v_mov_b32_e32 v24, 0x80
	s_mov_b32 s10, exec_lo
	v_cmpx_gt_u32_e32 0x43800000, v28
	s_cbranch_execz .LBB377_91
; %bb.86:                               ;   in Loop: Header=BB377_73 Depth=1
	v_cmp_lt_u32_e64 s3, 0x3bffffff, v28
	s_mov_b32 s11, 0
                                        ; implicit-def: $vgpr28
	s_delay_alu instid0(VALU_DEP_1) | instskip(NEXT) | instid1(SALU_CYCLE_1)
	s_and_saveexec_b32 s12, s3
	s_xor_b32 s3, exec_lo, s12
	s_cbranch_execnz .LBB377_145
; %bb.87:                               ;   in Loop: Header=BB377_73 Depth=1
	s_or_saveexec_b32 s12, s3
                                        ; implicit-def: $sgpr3
	s_delay_alu instid0(SALU_CYCLE_1)
	s_xor_b32 exec_lo, exec_lo, s12
	s_cbranch_execnz .LBB377_146
.LBB377_88:                             ;   in Loop: Header=BB377_73 Depth=1
	s_or_b32 exec_lo, exec_lo, s12
	v_mov_b32_e32 v24, s3
	s_and_saveexec_b32 s3, s11
.LBB377_89:                             ;   in Loop: Header=BB377_73 Depth=1
	v_lshrrev_b32_e32 v24, 24, v27
	s_delay_alu instid0(VALU_DEP_1)
	v_and_or_b32 v24, 0x80, v24, v28
.LBB377_90:                             ;   in Loop: Header=BB377_73 Depth=1
	s_or_b32 exec_lo, exec_lo, s3
.LBB377_91:                             ;   in Loop: Header=BB377_73 Depth=1
	s_delay_alu instid0(SALU_CYCLE_1) | instskip(SKIP_3) | instid1(VALU_DEP_1)
	s_or_b32 exec_lo, exec_lo, s10
	v_and_b32_e32 v28, 0xff, v26
	s_mov_b32 s10, 0
	s_mov_b32 s12, exec_lo
                                        ; implicit-def: $sgpr11
	v_cmpx_lt_i16_e32 0x7f, v28
	s_xor_b32 s12, exec_lo, s12
	s_cbranch_execnz .LBB377_124
; %bb.92:                               ;   in Loop: Header=BB377_73 Depth=1
	s_or_saveexec_b32 s12, s12
	v_mov_b32_e32 v27, s11
	s_xor_b32 exec_lo, exec_lo, s12
	s_cbranch_execnz .LBB377_127
.LBB377_93:                             ;   in Loop: Header=BB377_73 Depth=1
	s_or_b32 exec_lo, exec_lo, s12
	s_and_saveexec_b32 s11, s10
	s_cbranch_execz .LBB377_95
.LBB377_94:                             ;   in Loop: Header=BB377_73 Depth=1
	v_and_b32_e32 v27, 7, v26
	v_lshrrev_b16 v30, 3, v26
	s_delay_alu instid0(VALU_DEP_2) | instskip(NEXT) | instid1(VALU_DEP_2)
	v_clz_i32_u32_e32 v28, v27
	v_and_b32_e32 v30, 15, v30
	s_delay_alu instid0(VALU_DEP_2) | instskip(NEXT) | instid1(VALU_DEP_2)
	v_min_u32_e32 v28, 32, v28
	v_cmp_eq_u32_e64 s3, 0, v30
	s_delay_alu instid0(VALU_DEP_2) | instskip(SKIP_1) | instid1(VALU_DEP_2)
	v_subrev_nc_u32_e32 v29, 28, v28
	v_sub_nc_u32_e32 v28, 29, v28
	v_lshlrev_b32_e32 v29, v29, v26
	v_lshlrev_b32_e32 v26, 24, v26
	s_delay_alu instid0(VALU_DEP_3) | instskip(NEXT) | instid1(VALU_DEP_3)
	v_cndmask_b32_e64 v28, v30, v28, s3
	v_and_b32_e32 v29, 7, v29
	s_delay_alu instid0(VALU_DEP_3) | instskip(NEXT) | instid1(VALU_DEP_3)
	v_and_b32_e32 v26, 0x80000000, v26
	v_lshl_add_u32 v28, v28, 23, 0x3b800000
	s_delay_alu instid0(VALU_DEP_3) | instskip(NEXT) | instid1(VALU_DEP_1)
	v_cndmask_b32_e64 v27, v27, v29, s3
	v_lshlrev_b32_e32 v27, 20, v27
	s_delay_alu instid0(VALU_DEP_1)
	v_or3_b32 v27, v26, v28, v27
.LBB377_95:                             ;   in Loop: Header=BB377_73 Depth=1
	s_or_b32 exec_lo, exec_lo, s11
	s_delay_alu instid0(VALU_DEP_1) | instskip(SKIP_2) | instid1(VALU_DEP_2)
	v_and_b32_e32 v28, 0x7fffffff, v27
	v_mov_b32_e32 v26, 0x80
	s_mov_b32 s10, exec_lo
	v_cmpx_gt_u32_e32 0x43800000, v28
	s_cbranch_execz .LBB377_101
; %bb.96:                               ;   in Loop: Header=BB377_73 Depth=1
	v_cmp_lt_u32_e64 s3, 0x3bffffff, v28
	s_mov_b32 s11, 0
                                        ; implicit-def: $vgpr28
	s_delay_alu instid0(VALU_DEP_1) | instskip(NEXT) | instid1(SALU_CYCLE_1)
	s_and_saveexec_b32 s12, s3
	s_xor_b32 s3, exec_lo, s12
	s_cbranch_execnz .LBB377_147
; %bb.97:                               ;   in Loop: Header=BB377_73 Depth=1
	s_or_saveexec_b32 s12, s3
                                        ; implicit-def: $sgpr3
	s_delay_alu instid0(SALU_CYCLE_1)
	s_xor_b32 exec_lo, exec_lo, s12
	s_cbranch_execnz .LBB377_148
.LBB377_98:                             ;   in Loop: Header=BB377_73 Depth=1
	s_or_b32 exec_lo, exec_lo, s12
	v_mov_b32_e32 v26, s3
	s_and_saveexec_b32 s3, s11
.LBB377_99:                             ;   in Loop: Header=BB377_73 Depth=1
	v_lshrrev_b32_e32 v26, 24, v27
	s_delay_alu instid0(VALU_DEP_1)
	v_and_or_b32 v26, 0x80, v26, v28
.LBB377_100:                            ;   in Loop: Header=BB377_73 Depth=1
	s_or_b32 exec_lo, exec_lo, s3
.LBB377_101:                            ;   in Loop: Header=BB377_73 Depth=1
	s_delay_alu instid0(SALU_CYCLE_1) | instskip(SKIP_3) | instid1(VALU_DEP_1)
	s_or_b32 exec_lo, exec_lo, s10
	v_and_b32_e32 v28, 0xff, v25
	s_mov_b32 s10, 0
	s_mov_b32 s12, exec_lo
                                        ; implicit-def: $sgpr11
	v_cmpx_lt_i16_e32 0x7f, v28
	s_xor_b32 s12, exec_lo, s12
	s_cbranch_execnz .LBB377_128
; %bb.102:                              ;   in Loop: Header=BB377_73 Depth=1
	s_or_saveexec_b32 s12, s12
	v_mov_b32_e32 v27, s11
	s_xor_b32 exec_lo, exec_lo, s12
	s_cbranch_execnz .LBB377_131
.LBB377_103:                            ;   in Loop: Header=BB377_73 Depth=1
	s_or_b32 exec_lo, exec_lo, s12
	s_and_saveexec_b32 s11, s10
	s_cbranch_execz .LBB377_105
.LBB377_104:                            ;   in Loop: Header=BB377_73 Depth=1
	v_and_b32_e32 v27, 7, v25
	v_lshrrev_b16 v30, 3, v25
	s_delay_alu instid0(VALU_DEP_2) | instskip(NEXT) | instid1(VALU_DEP_2)
	v_clz_i32_u32_e32 v28, v27
	v_and_b32_e32 v30, 15, v30
	s_delay_alu instid0(VALU_DEP_2) | instskip(NEXT) | instid1(VALU_DEP_2)
	v_min_u32_e32 v28, 32, v28
	v_cmp_eq_u32_e64 s3, 0, v30
	s_delay_alu instid0(VALU_DEP_2) | instskip(SKIP_1) | instid1(VALU_DEP_2)
	v_subrev_nc_u32_e32 v29, 28, v28
	v_sub_nc_u32_e32 v28, 29, v28
	v_lshlrev_b32_e32 v29, v29, v25
	v_lshlrev_b32_e32 v25, 24, v25
	s_delay_alu instid0(VALU_DEP_3) | instskip(NEXT) | instid1(VALU_DEP_3)
	v_cndmask_b32_e64 v28, v30, v28, s3
	v_and_b32_e32 v29, 7, v29
	s_delay_alu instid0(VALU_DEP_3) | instskip(NEXT) | instid1(VALU_DEP_3)
	v_and_b32_e32 v25, 0x80000000, v25
	v_lshl_add_u32 v28, v28, 23, 0x3b800000
	s_delay_alu instid0(VALU_DEP_3) | instskip(NEXT) | instid1(VALU_DEP_1)
	v_cndmask_b32_e64 v27, v27, v29, s3
	v_lshlrev_b32_e32 v27, 20, v27
	s_delay_alu instid0(VALU_DEP_1)
	v_or3_b32 v27, v25, v28, v27
.LBB377_105:                            ;   in Loop: Header=BB377_73 Depth=1
	s_or_b32 exec_lo, exec_lo, s11
	s_delay_alu instid0(VALU_DEP_1) | instskip(SKIP_2) | instid1(VALU_DEP_2)
	v_and_b32_e32 v28, 0x7fffffff, v27
	v_mov_b32_e32 v25, 0x80
	s_mov_b32 s10, exec_lo
	v_cmpx_gt_u32_e32 0x43800000, v28
	s_cbranch_execz .LBB377_111
; %bb.106:                              ;   in Loop: Header=BB377_73 Depth=1
	v_cmp_lt_u32_e64 s3, 0x3bffffff, v28
	s_mov_b32 s11, 0
                                        ; implicit-def: $vgpr28
	s_delay_alu instid0(VALU_DEP_1) | instskip(NEXT) | instid1(SALU_CYCLE_1)
	s_and_saveexec_b32 s12, s3
	s_xor_b32 s3, exec_lo, s12
	s_cbranch_execnz .LBB377_149
; %bb.107:                              ;   in Loop: Header=BB377_73 Depth=1
	s_or_saveexec_b32 s12, s3
                                        ; implicit-def: $sgpr3
	s_delay_alu instid0(SALU_CYCLE_1)
	s_xor_b32 exec_lo, exec_lo, s12
	s_cbranch_execnz .LBB377_150
.LBB377_108:                            ;   in Loop: Header=BB377_73 Depth=1
	s_or_b32 exec_lo, exec_lo, s12
	v_mov_b32_e32 v25, s3
	s_and_saveexec_b32 s3, s11
.LBB377_109:                            ;   in Loop: Header=BB377_73 Depth=1
	v_lshrrev_b32_e32 v25, 24, v27
	s_delay_alu instid0(VALU_DEP_1)
	v_and_or_b32 v25, 0x80, v25, v28
.LBB377_110:                            ;   in Loop: Header=BB377_73 Depth=1
	s_or_b32 exec_lo, exec_lo, s3
.LBB377_111:                            ;   in Loop: Header=BB377_73 Depth=1
	s_delay_alu instid0(SALU_CYCLE_1) | instskip(SKIP_3) | instid1(VALU_DEP_1)
	s_or_b32 exec_lo, exec_lo, s10
	v_and_b32_e32 v28, 0xff, v23
	s_mov_b32 s10, 0
	s_mov_b32 s12, exec_lo
                                        ; implicit-def: $sgpr11
	v_cmpx_lt_i16_e32 0x7f, v28
	s_xor_b32 s12, exec_lo, s12
	s_cbranch_execnz .LBB377_132
; %bb.112:                              ;   in Loop: Header=BB377_73 Depth=1
	s_or_saveexec_b32 s12, s12
	v_mov_b32_e32 v27, s11
	s_xor_b32 exec_lo, exec_lo, s12
	s_cbranch_execnz .LBB377_135
.LBB377_113:                            ;   in Loop: Header=BB377_73 Depth=1
	s_or_b32 exec_lo, exec_lo, s12
	s_and_saveexec_b32 s11, s10
	s_cbranch_execz .LBB377_115
.LBB377_114:                            ;   in Loop: Header=BB377_73 Depth=1
	v_and_b32_e32 v27, 7, v23
	v_lshrrev_b16 v30, 3, v23
	s_delay_alu instid0(VALU_DEP_2) | instskip(NEXT) | instid1(VALU_DEP_2)
	v_clz_i32_u32_e32 v28, v27
	v_and_b32_e32 v30, 15, v30
	s_delay_alu instid0(VALU_DEP_2) | instskip(NEXT) | instid1(VALU_DEP_2)
	v_min_u32_e32 v28, 32, v28
	v_cmp_eq_u32_e64 s3, 0, v30
	s_delay_alu instid0(VALU_DEP_2) | instskip(SKIP_1) | instid1(VALU_DEP_2)
	v_subrev_nc_u32_e32 v29, 28, v28
	v_sub_nc_u32_e32 v28, 29, v28
	v_lshlrev_b32_e32 v29, v29, v23
	v_lshlrev_b32_e32 v23, 24, v23
	s_delay_alu instid0(VALU_DEP_3) | instskip(NEXT) | instid1(VALU_DEP_3)
	v_cndmask_b32_e64 v28, v30, v28, s3
	v_and_b32_e32 v29, 7, v29
	s_delay_alu instid0(VALU_DEP_3) | instskip(NEXT) | instid1(VALU_DEP_3)
	v_and_b32_e32 v23, 0x80000000, v23
	v_lshl_add_u32 v28, v28, 23, 0x3b800000
	s_delay_alu instid0(VALU_DEP_3) | instskip(NEXT) | instid1(VALU_DEP_1)
	v_cndmask_b32_e64 v27, v27, v29, s3
	v_lshlrev_b32_e32 v27, 20, v27
	s_delay_alu instid0(VALU_DEP_1)
	v_or3_b32 v27, v23, v28, v27
.LBB377_115:                            ;   in Loop: Header=BB377_73 Depth=1
	s_or_b32 exec_lo, exec_lo, s11
	s_delay_alu instid0(VALU_DEP_1) | instskip(SKIP_2) | instid1(VALU_DEP_2)
	v_and_b32_e32 v28, 0x7fffffff, v27
	v_mov_b32_e32 v23, 0x80
	s_mov_b32 s10, exec_lo
	v_cmpx_gt_u32_e32 0x43800000, v28
	s_cbranch_execnz .LBB377_136
; %bb.116:                              ;   in Loop: Header=BB377_73 Depth=1
	s_or_b32 exec_lo, exec_lo, s10
	s_and_saveexec_b32 s3, vcc_lo
	s_delay_alu instid0(SALU_CYCLE_1)
	s_xor_b32 s3, exec_lo, s3
	s_cbranch_execnz .LBB377_141
.LBB377_117:                            ;   in Loop: Header=BB377_73 Depth=1
	s_or_b32 exec_lo, exec_lo, s3
	s_and_saveexec_b32 s3, s0
	s_cbranch_execnz .LBB377_142
.LBB377_118:                            ;   in Loop: Header=BB377_73 Depth=1
	s_or_b32 exec_lo, exec_lo, s3
	s_and_saveexec_b32 s0, s1
	s_cbranch_execnz .LBB377_143
.LBB377_119:                            ;   in Loop: Header=BB377_73 Depth=1
	s_or_b32 exec_lo, exec_lo, s0
	s_and_saveexec_b32 s0, s2
	s_cbranch_execz .LBB377_72
	s_branch .LBB377_144
.LBB377_120:                            ;   in Loop: Header=BB377_73 Depth=1
	s_mov_b32 s10, -1
	s_mov_b32 s13, exec_lo
                                        ; implicit-def: $sgpr11
	v_cmpx_eq_u16_e32 0x80, v28
; %bb.121:                              ;   in Loop: Header=BB377_73 Depth=1
	s_mov_b32 s11, 0x7f800001
	s_xor_b32 s10, exec_lo, -1
; %bb.122:                              ;   in Loop: Header=BB377_73 Depth=1
	s_or_b32 exec_lo, exec_lo, s13
	s_delay_alu instid0(SALU_CYCLE_1)
	s_and_b32 s10, s10, exec_lo
                                        ; implicit-def: $vgpr28
	s_or_saveexec_b32 s12, s12
	v_mov_b32_e32 v27, s11
	s_xor_b32 exec_lo, exec_lo, s12
	s_cbranch_execz .LBB377_83
.LBB377_123:                            ;   in Loop: Header=BB377_73 Depth=1
	v_cmp_ne_u16_e64 s3, 0, v28
	v_mov_b32_e32 v27, 0
	s_and_not1_b32 s10, s10, exec_lo
	s_delay_alu instid0(VALU_DEP_2) | instskip(NEXT) | instid1(SALU_CYCLE_1)
	s_and_b32 s3, s3, exec_lo
	s_or_b32 s10, s10, s3
	s_or_b32 exec_lo, exec_lo, s12
	s_and_saveexec_b32 s11, s10
	s_cbranch_execnz .LBB377_84
	s_branch .LBB377_85
.LBB377_124:                            ;   in Loop: Header=BB377_73 Depth=1
	s_mov_b32 s10, -1
	s_mov_b32 s13, exec_lo
                                        ; implicit-def: $sgpr11
	v_cmpx_eq_u16_e32 0x80, v28
; %bb.125:                              ;   in Loop: Header=BB377_73 Depth=1
	s_mov_b32 s11, 0x7f800001
	s_xor_b32 s10, exec_lo, -1
; %bb.126:                              ;   in Loop: Header=BB377_73 Depth=1
	s_or_b32 exec_lo, exec_lo, s13
	s_delay_alu instid0(SALU_CYCLE_1)
	s_and_b32 s10, s10, exec_lo
                                        ; implicit-def: $vgpr28
	s_or_saveexec_b32 s12, s12
	v_mov_b32_e32 v27, s11
	s_xor_b32 exec_lo, exec_lo, s12
	s_cbranch_execz .LBB377_93
.LBB377_127:                            ;   in Loop: Header=BB377_73 Depth=1
	v_cmp_ne_u16_e64 s3, 0, v28
	v_mov_b32_e32 v27, 0
	s_and_not1_b32 s10, s10, exec_lo
	s_delay_alu instid0(VALU_DEP_2) | instskip(NEXT) | instid1(SALU_CYCLE_1)
	s_and_b32 s3, s3, exec_lo
	s_or_b32 s10, s10, s3
	s_or_b32 exec_lo, exec_lo, s12
	s_and_saveexec_b32 s11, s10
	s_cbranch_execnz .LBB377_94
	s_branch .LBB377_95
.LBB377_128:                            ;   in Loop: Header=BB377_73 Depth=1
	s_mov_b32 s10, -1
	s_mov_b32 s13, exec_lo
                                        ; implicit-def: $sgpr11
	v_cmpx_eq_u16_e32 0x80, v28
; %bb.129:                              ;   in Loop: Header=BB377_73 Depth=1
	s_mov_b32 s11, 0x7f800001
	s_xor_b32 s10, exec_lo, -1
; %bb.130:                              ;   in Loop: Header=BB377_73 Depth=1
	s_or_b32 exec_lo, exec_lo, s13
	s_delay_alu instid0(SALU_CYCLE_1)
	s_and_b32 s10, s10, exec_lo
                                        ; implicit-def: $vgpr28
	s_or_saveexec_b32 s12, s12
	v_mov_b32_e32 v27, s11
	s_xor_b32 exec_lo, exec_lo, s12
	s_cbranch_execz .LBB377_103
.LBB377_131:                            ;   in Loop: Header=BB377_73 Depth=1
	v_cmp_ne_u16_e64 s3, 0, v28
	v_mov_b32_e32 v27, 0
	s_and_not1_b32 s10, s10, exec_lo
	s_delay_alu instid0(VALU_DEP_2) | instskip(NEXT) | instid1(SALU_CYCLE_1)
	s_and_b32 s3, s3, exec_lo
	s_or_b32 s10, s10, s3
	s_or_b32 exec_lo, exec_lo, s12
	s_and_saveexec_b32 s11, s10
	s_cbranch_execnz .LBB377_104
	s_branch .LBB377_105
.LBB377_132:                            ;   in Loop: Header=BB377_73 Depth=1
	s_mov_b32 s10, -1
	s_mov_b32 s13, exec_lo
                                        ; implicit-def: $sgpr11
	v_cmpx_eq_u16_e32 0x80, v28
; %bb.133:                              ;   in Loop: Header=BB377_73 Depth=1
	s_mov_b32 s11, 0x7f800001
	s_xor_b32 s10, exec_lo, -1
; %bb.134:                              ;   in Loop: Header=BB377_73 Depth=1
	s_or_b32 exec_lo, exec_lo, s13
	s_delay_alu instid0(SALU_CYCLE_1)
	s_and_b32 s10, s10, exec_lo
                                        ; implicit-def: $vgpr28
	s_or_saveexec_b32 s12, s12
	v_mov_b32_e32 v27, s11
	s_xor_b32 exec_lo, exec_lo, s12
	s_cbranch_execz .LBB377_113
.LBB377_135:                            ;   in Loop: Header=BB377_73 Depth=1
	v_cmp_ne_u16_e64 s3, 0, v28
	v_mov_b32_e32 v27, 0
	s_and_not1_b32 s10, s10, exec_lo
	s_delay_alu instid0(VALU_DEP_2) | instskip(NEXT) | instid1(SALU_CYCLE_1)
	s_and_b32 s3, s3, exec_lo
	s_or_b32 s10, s10, s3
	s_or_b32 exec_lo, exec_lo, s12
	s_and_saveexec_b32 s11, s10
	s_cbranch_execnz .LBB377_114
	s_branch .LBB377_115
.LBB377_136:                            ;   in Loop: Header=BB377_73 Depth=1
	v_cmp_lt_u32_e64 s3, 0x3bffffff, v28
	s_mov_b32 s11, 0
                                        ; implicit-def: $vgpr28
	s_delay_alu instid0(VALU_DEP_1) | instskip(NEXT) | instid1(SALU_CYCLE_1)
	s_and_saveexec_b32 s12, s3
	s_xor_b32 s3, exec_lo, s12
	s_cbranch_execnz .LBB377_151
; %bb.137:                              ;   in Loop: Header=BB377_73 Depth=1
	s_or_saveexec_b32 s12, s3
                                        ; implicit-def: $sgpr3
	s_delay_alu instid0(SALU_CYCLE_1)
	s_xor_b32 exec_lo, exec_lo, s12
	s_cbranch_execnz .LBB377_152
.LBB377_138:                            ;   in Loop: Header=BB377_73 Depth=1
	s_or_b32 exec_lo, exec_lo, s12
	v_mov_b32_e32 v23, s3
	s_and_saveexec_b32 s3, s11
.LBB377_139:                            ;   in Loop: Header=BB377_73 Depth=1
	v_lshrrev_b32_e32 v23, 24, v27
	s_delay_alu instid0(VALU_DEP_1)
	v_and_or_b32 v23, 0x80, v23, v28
.LBB377_140:                            ;   in Loop: Header=BB377_73 Depth=1
	s_or_b32 exec_lo, exec_lo, s3
	s_delay_alu instid0(SALU_CYCLE_1) | instskip(SKIP_1) | instid1(SALU_CYCLE_1)
	s_or_b32 exec_lo, exec_lo, s10
	s_and_saveexec_b32 s3, vcc_lo
	s_xor_b32 s3, exec_lo, s3
	s_cbranch_execz .LBB377_117
.LBB377_141:                            ;   in Loop: Header=BB377_73 Depth=1
	v_add_co_u32 v27, vcc_lo, v3, s8
	v_add_co_ci_u32_e32 v28, vcc_lo, s9, v4, vcc_lo
	global_store_b8 v[27:28], v24, off
	s_or_b32 exec_lo, exec_lo, s3
	s_and_saveexec_b32 s3, s0
	s_cbranch_execz .LBB377_118
.LBB377_142:                            ;   in Loop: Header=BB377_73 Depth=1
	v_add_co_u32 v27, vcc_lo, v19, s8
	v_add_co_ci_u32_e32 v28, vcc_lo, s9, v20, vcc_lo
	global_store_b8 v[27:28], v26, off
	s_or_b32 exec_lo, exec_lo, s3
	s_and_saveexec_b32 s0, s1
	s_cbranch_execz .LBB377_119
.LBB377_143:                            ;   in Loop: Header=BB377_73 Depth=1
	v_add_co_u32 v26, vcc_lo, v13, s8
	v_add_co_ci_u32_e32 v27, vcc_lo, s9, v14, vcc_lo
	global_store_b8 v[26:27], v25, off
	s_or_b32 exec_lo, exec_lo, s0
	s_and_saveexec_b32 s0, s2
	s_cbranch_execz .LBB377_72
.LBB377_144:                            ;   in Loop: Header=BB377_73 Depth=1
	v_add_co_u32 v24, vcc_lo, v7, s8
	v_add_co_ci_u32_e32 v25, vcc_lo, s9, v8, vcc_lo
	global_store_b8 v[24:25], v23, off
	s_branch .LBB377_72
.LBB377_145:                            ;   in Loop: Header=BB377_73 Depth=1
	v_bfe_u32 v24, v27, 20, 1
	s_mov_b32 s11, exec_lo
	s_delay_alu instid0(VALU_DEP_1) | instskip(NEXT) | instid1(VALU_DEP_1)
	v_add3_u32 v24, v27, v24, 0x487ffff
	v_lshrrev_b32_e32 v28, 20, v24
	s_or_saveexec_b32 s12, s3
                                        ; implicit-def: $sgpr3
	s_delay_alu instid0(SALU_CYCLE_1)
	s_xor_b32 exec_lo, exec_lo, s12
	s_cbranch_execz .LBB377_88
.LBB377_146:                            ;   in Loop: Header=BB377_73 Depth=1
	v_add_f32_e64 v24, 0x46000000, |v27|
	s_and_not1_b32 s11, s11, exec_lo
	s_delay_alu instid0(VALU_DEP_1) | instskip(NEXT) | instid1(VALU_DEP_1)
	v_and_b32_e32 v28, 0xff, v24
	v_cmp_ne_u32_e64 s3, 0, v28
	s_delay_alu instid0(VALU_DEP_1)
	s_and_b32 s13, s3, exec_lo
	s_mov_b32 s3, 0
	s_or_b32 s11, s11, s13
	s_or_b32 exec_lo, exec_lo, s12
	v_mov_b32_e32 v24, s3
	s_and_saveexec_b32 s3, s11
	s_cbranch_execnz .LBB377_89
	s_branch .LBB377_90
.LBB377_147:                            ;   in Loop: Header=BB377_73 Depth=1
	v_bfe_u32 v26, v27, 20, 1
	s_mov_b32 s11, exec_lo
	s_delay_alu instid0(VALU_DEP_1) | instskip(NEXT) | instid1(VALU_DEP_1)
	v_add3_u32 v26, v27, v26, 0x487ffff
	v_lshrrev_b32_e32 v28, 20, v26
	s_or_saveexec_b32 s12, s3
                                        ; implicit-def: $sgpr3
	s_delay_alu instid0(SALU_CYCLE_1)
	s_xor_b32 exec_lo, exec_lo, s12
	s_cbranch_execz .LBB377_98
.LBB377_148:                            ;   in Loop: Header=BB377_73 Depth=1
	v_add_f32_e64 v26, 0x46000000, |v27|
	s_and_not1_b32 s11, s11, exec_lo
	s_delay_alu instid0(VALU_DEP_1) | instskip(NEXT) | instid1(VALU_DEP_1)
	v_and_b32_e32 v28, 0xff, v26
	v_cmp_ne_u32_e64 s3, 0, v28
	s_delay_alu instid0(VALU_DEP_1)
	s_and_b32 s13, s3, exec_lo
	s_mov_b32 s3, 0
	s_or_b32 s11, s11, s13
	s_or_b32 exec_lo, exec_lo, s12
	v_mov_b32_e32 v26, s3
	s_and_saveexec_b32 s3, s11
	s_cbranch_execnz .LBB377_99
	s_branch .LBB377_100
.LBB377_149:                            ;   in Loop: Header=BB377_73 Depth=1
	v_bfe_u32 v25, v27, 20, 1
	s_mov_b32 s11, exec_lo
	s_delay_alu instid0(VALU_DEP_1) | instskip(NEXT) | instid1(VALU_DEP_1)
	v_add3_u32 v25, v27, v25, 0x487ffff
	v_lshrrev_b32_e32 v28, 20, v25
	s_or_saveexec_b32 s12, s3
                                        ; implicit-def: $sgpr3
	s_delay_alu instid0(SALU_CYCLE_1)
	s_xor_b32 exec_lo, exec_lo, s12
	s_cbranch_execz .LBB377_108
.LBB377_150:                            ;   in Loop: Header=BB377_73 Depth=1
	v_add_f32_e64 v25, 0x46000000, |v27|
	s_and_not1_b32 s11, s11, exec_lo
	s_delay_alu instid0(VALU_DEP_1) | instskip(NEXT) | instid1(VALU_DEP_1)
	v_and_b32_e32 v28, 0xff, v25
	v_cmp_ne_u32_e64 s3, 0, v28
	s_delay_alu instid0(VALU_DEP_1)
	s_and_b32 s13, s3, exec_lo
	s_mov_b32 s3, 0
	s_or_b32 s11, s11, s13
	s_or_b32 exec_lo, exec_lo, s12
	v_mov_b32_e32 v25, s3
	s_and_saveexec_b32 s3, s11
	s_cbranch_execnz .LBB377_109
	s_branch .LBB377_110
.LBB377_151:                            ;   in Loop: Header=BB377_73 Depth=1
	v_bfe_u32 v23, v27, 20, 1
	s_mov_b32 s11, exec_lo
	s_delay_alu instid0(VALU_DEP_1) | instskip(NEXT) | instid1(VALU_DEP_1)
	v_add3_u32 v23, v27, v23, 0x487ffff
	v_lshrrev_b32_e32 v28, 20, v23
	s_or_saveexec_b32 s12, s3
                                        ; implicit-def: $sgpr3
	s_delay_alu instid0(SALU_CYCLE_1)
	s_xor_b32 exec_lo, exec_lo, s12
	s_cbranch_execz .LBB377_138
.LBB377_152:                            ;   in Loop: Header=BB377_73 Depth=1
	v_add_f32_e64 v23, 0x46000000, |v27|
	s_and_not1_b32 s11, s11, exec_lo
	s_delay_alu instid0(VALU_DEP_1) | instskip(NEXT) | instid1(VALU_DEP_1)
	v_and_b32_e32 v28, 0xff, v23
	v_cmp_ne_u32_e64 s3, 0, v28
	s_delay_alu instid0(VALU_DEP_1)
	s_and_b32 s13, s3, exec_lo
	s_mov_b32 s3, 0
	s_or_b32 s11, s11, s13
	s_or_b32 exec_lo, exec_lo, s12
	v_mov_b32_e32 v23, s3
	s_and_saveexec_b32 s3, s11
	s_cbranch_execnz .LBB377_139
	s_branch .LBB377_140
.LBB377_153:
	s_nop 0
	s_sendmsg sendmsg(MSG_DEALLOC_VGPRS)
	s_endpgm
	.section	.rodata,"a",@progbits
	.p2align	6, 0x0
	.amdhsa_kernel _ZN2at6native12_GLOBAL__N_125multi_tensor_apply_kernelINS1_18TensorListMetadataILi2EEENS1_14UnaryOpFunctorIN3c1015Float8_e4m3fnuzELi2ELi1ELi1EEEJNS0_4CopyIS7_S7_EEEEEvT_T0_DpT1_
		.amdhsa_group_segment_fixed_size 0
		.amdhsa_private_segment_fixed_size 0
		.amdhsa_kernarg_size 3408
		.amdhsa_user_sgpr_count 15
		.amdhsa_user_sgpr_dispatch_ptr 0
		.amdhsa_user_sgpr_queue_ptr 0
		.amdhsa_user_sgpr_kernarg_segment_ptr 1
		.amdhsa_user_sgpr_dispatch_id 0
		.amdhsa_user_sgpr_private_segment_size 0
		.amdhsa_wavefront_size32 1
		.amdhsa_uses_dynamic_stack 0
		.amdhsa_enable_private_segment 0
		.amdhsa_system_sgpr_workgroup_id_x 1
		.amdhsa_system_sgpr_workgroup_id_y 0
		.amdhsa_system_sgpr_workgroup_id_z 0
		.amdhsa_system_sgpr_workgroup_info 0
		.amdhsa_system_vgpr_workitem_id 0
		.amdhsa_next_free_vgpr 31
		.amdhsa_next_free_sgpr 22
		.amdhsa_reserve_vcc 1
		.amdhsa_float_round_mode_32 0
		.amdhsa_float_round_mode_16_64 0
		.amdhsa_float_denorm_mode_32 3
		.amdhsa_float_denorm_mode_16_64 3
		.amdhsa_dx10_clamp 1
		.amdhsa_ieee_mode 1
		.amdhsa_fp16_overflow 0
		.amdhsa_workgroup_processor_mode 1
		.amdhsa_memory_ordered 1
		.amdhsa_forward_progress 0
		.amdhsa_shared_vgpr_count 0
		.amdhsa_exception_fp_ieee_invalid_op 0
		.amdhsa_exception_fp_denorm_src 0
		.amdhsa_exception_fp_ieee_div_zero 0
		.amdhsa_exception_fp_ieee_overflow 0
		.amdhsa_exception_fp_ieee_underflow 0
		.amdhsa_exception_fp_ieee_inexact 0
		.amdhsa_exception_int_div_zero 0
	.end_amdhsa_kernel
	.section	.text._ZN2at6native12_GLOBAL__N_125multi_tensor_apply_kernelINS1_18TensorListMetadataILi2EEENS1_14UnaryOpFunctorIN3c1015Float8_e4m3fnuzELi2ELi1ELi1EEEJNS0_4CopyIS7_S7_EEEEEvT_T0_DpT1_,"axG",@progbits,_ZN2at6native12_GLOBAL__N_125multi_tensor_apply_kernelINS1_18TensorListMetadataILi2EEENS1_14UnaryOpFunctorIN3c1015Float8_e4m3fnuzELi2ELi1ELi1EEEJNS0_4CopyIS7_S7_EEEEEvT_T0_DpT1_,comdat
.Lfunc_end377:
	.size	_ZN2at6native12_GLOBAL__N_125multi_tensor_apply_kernelINS1_18TensorListMetadataILi2EEENS1_14UnaryOpFunctorIN3c1015Float8_e4m3fnuzELi2ELi1ELi1EEEJNS0_4CopyIS7_S7_EEEEEvT_T0_DpT1_, .Lfunc_end377-_ZN2at6native12_GLOBAL__N_125multi_tensor_apply_kernelINS1_18TensorListMetadataILi2EEENS1_14UnaryOpFunctorIN3c1015Float8_e4m3fnuzELi2ELi1ELi1EEEJNS0_4CopyIS7_S7_EEEEEvT_T0_DpT1_
                                        ; -- End function
	.section	.AMDGPU.csdata,"",@progbits
; Kernel info:
; codeLenInByte = 5480
; NumSgprs: 24
; NumVgprs: 31
; ScratchSize: 0
; MemoryBound: 0
; FloatMode: 240
; IeeeMode: 1
; LDSByteSize: 0 bytes/workgroup (compile time only)
; SGPRBlocks: 2
; VGPRBlocks: 3
; NumSGPRsForWavesPerEU: 24
; NumVGPRsForWavesPerEU: 31
; Occupancy: 16
; WaveLimiterHint : 0
; COMPUTE_PGM_RSRC2:SCRATCH_EN: 0
; COMPUTE_PGM_RSRC2:USER_SGPR: 15
; COMPUTE_PGM_RSRC2:TRAP_HANDLER: 0
; COMPUTE_PGM_RSRC2:TGID_X_EN: 1
; COMPUTE_PGM_RSRC2:TGID_Y_EN: 0
; COMPUTE_PGM_RSRC2:TGID_Z_EN: 0
; COMPUTE_PGM_RSRC2:TIDIG_COMP_CNT: 0
	.section	.text._ZN2at6native12_GLOBAL__N_125multi_tensor_apply_kernelINS1_18TensorListMetadataILi2EEENS1_11CopyFunctorIN3c1015Float8_e4m3fnuzENS6_11Float8_e5m2ELi2ELi1ELi1EEEJNS0_4CopyIS7_S8_EEEEEvT_T0_DpT1_,"axG",@progbits,_ZN2at6native12_GLOBAL__N_125multi_tensor_apply_kernelINS1_18TensorListMetadataILi2EEENS1_11CopyFunctorIN3c1015Float8_e4m3fnuzENS6_11Float8_e5m2ELi2ELi1ELi1EEEJNS0_4CopyIS7_S8_EEEEEvT_T0_DpT1_,comdat
	.globl	_ZN2at6native12_GLOBAL__N_125multi_tensor_apply_kernelINS1_18TensorListMetadataILi2EEENS1_11CopyFunctorIN3c1015Float8_e4m3fnuzENS6_11Float8_e5m2ELi2ELi1ELi1EEEJNS0_4CopyIS7_S8_EEEEEvT_T0_DpT1_ ; -- Begin function _ZN2at6native12_GLOBAL__N_125multi_tensor_apply_kernelINS1_18TensorListMetadataILi2EEENS1_11CopyFunctorIN3c1015Float8_e4m3fnuzENS6_11Float8_e5m2ELi2ELi1ELi1EEEJNS0_4CopyIS7_S8_EEEEEvT_T0_DpT1_
	.p2align	8
	.type	_ZN2at6native12_GLOBAL__N_125multi_tensor_apply_kernelINS1_18TensorListMetadataILi2EEENS1_11CopyFunctorIN3c1015Float8_e4m3fnuzENS6_11Float8_e5m2ELi2ELi1ELi1EEEJNS0_4CopyIS7_S8_EEEEEvT_T0_DpT1_,@function
_ZN2at6native12_GLOBAL__N_125multi_tensor_apply_kernelINS1_18TensorListMetadataILi2EEENS1_11CopyFunctorIN3c1015Float8_e4m3fnuzENS6_11Float8_e5m2ELi2ELi1ELi1EEEJNS0_4CopyIS7_S8_EEEEEvT_T0_DpT1_: ; @_ZN2at6native12_GLOBAL__N_125multi_tensor_apply_kernelINS1_18TensorListMetadataILi2EEENS1_11CopyFunctorIN3c1015Float8_e4m3fnuzENS6_11Float8_e5m2ELi2ELi1ELi1EEEJNS0_4CopyIS7_S8_EEEEEvT_T0_DpT1_
; %bb.0:
	v_mov_b32_e32 v1, s15
	s_add_u32 s2, s0, s15
	s_mul_i32 s4, s15, 3
	s_addc_u32 s3, s1, 0
	s_mul_hi_u32 s5, s15, 3
	global_load_u8 v1, v1, s[0:1] offset:1536
	s_add_u32 s2, s2, s4
	s_addc_u32 s3, s3, s5
	s_load_b32 s2, s[2:3], 0x740
	s_waitcnt vmcnt(0)
	v_readfirstlane_b32 s4, v1
	s_delay_alu instid0(VALU_DEP_1)
	s_lshl_b32 s3, s4, 3
	s_clause 0x2
	s_load_b64 s[6:7], s[0:1], s3 offset:0x0
	s_load_b64 s[8:9], s[0:1], s3 offset:0x200
	;; [unrolled: 1-line block ×3, first 2 shown]
	s_waitcnt lgkmcnt(0)
	s_ashr_i32 s3, s2, 31
	s_delay_alu instid0(SALU_CYCLE_1) | instskip(NEXT) | instid1(SALU_CYCLE_1)
	s_lshl_b64 s[10:11], s[2:3], 16
	s_add_u32 s3, s6, s10
	s_addc_u32 s14, s7, s11
	s_add_u32 s12, s8, s10
	s_addc_u32 s13, s9, s11
	s_delay_alu instid0(SALU_CYCLE_1) | instskip(NEXT) | instid1(SALU_CYCLE_1)
	s_or_b64 s[16:17], s[4:5], s[12:13]
	s_or_b32 s2, s3, s16
	s_delay_alu instid0(SALU_CYCLE_1)
	s_and_b32 s2, s2, 3
	s_sub_u32 s4, s4, s10
	s_subb_u32 s5, s5, s11
	s_cmp_eq_u32 s2, 0
	s_mov_b32 s2, -1
	s_cbranch_scc0 .LBB378_37
; %bb.1:
	v_dual_mov_b32 v2, 0 :: v_dual_lshlrev_b32 v1, 2, v0
	s_mov_b32 s15, exec_lo
	s_delay_alu instid0(VALU_DEP_1)
	v_cmpx_gt_i64_e64 s[4:5], v[1:2]
	s_cbranch_execz .LBB378_36
; %bb.2:
	s_load_b32 s2, s[0:1], 0xc5c
	s_mov_b32 s16, 0
	s_mov_b32 s18, 0xfe00000
	s_waitcnt lgkmcnt(0)
	s_and_b32 s2, s2, 0xffff
	s_delay_alu instid0(SALU_CYCLE_1)
	s_lshl_b32 s17, s2, 2
	s_branch .LBB378_5
.LBB378_3:                              ;   in Loop: Header=BB378_5 Depth=1
	s_or_b32 exec_lo, exec_lo, s20
.LBB378_4:                              ;   in Loop: Header=BB378_5 Depth=1
	s_delay_alu instid0(SALU_CYCLE_1)
	s_or_b32 exec_lo, exec_lo, s2
	v_add_co_u32 v8, vcc_lo, s12, v1
	v_add_co_ci_u32_e32 v9, vcc_lo, s13, v2, vcc_lo
	v_add_co_u32 v1, vcc_lo, s17, v1
	v_add_co_ci_u32_e32 v2, vcc_lo, 0, v2, vcc_lo
	v_lshlrev_b32_e32 v5, 16, v7
	v_lshlrev_b32_e32 v4, 8, v4
	v_and_b32_e32 v3, 0xff, v3
	s_delay_alu instid0(VALU_DEP_4) | instskip(SKIP_3) | instid1(VALU_DEP_3)
	v_cmp_le_i64_e32 vcc_lo, s[4:5], v[1:2]
	v_cmp_lt_u64_e64 s2, 0xffff, v[1:2]
	v_perm_b32 v5, v6, v5, 0x4020c0c
	v_and_b32_e32 v4, 0xff00, v4
	s_or_b32 s2, vcc_lo, s2
	s_delay_alu instid0(VALU_DEP_1) | instskip(SKIP_1) | instid1(SALU_CYCLE_1)
	v_or3_b32 v3, v5, v4, v3
	s_and_b32 s2, exec_lo, s2
	s_or_b32 s16, s2, s16
	global_store_b32 v[8:9], v3, off
	s_and_not1_b32 exec_lo, exec_lo, s16
	s_cbranch_execz .LBB378_36
.LBB378_5:                              ; =>This Inner Loop Header: Depth=1
	v_add_co_u32 v3, vcc_lo, s3, v1
	v_add_co_ci_u32_e32 v4, vcc_lo, s14, v2, vcc_lo
	s_mov_b32 s2, exec_lo
	global_load_b32 v5, v[3:4], off
	s_waitcnt vmcnt(0)
	v_lshlrev_b32_e32 v3, 25, v5
	v_lshlrev_b16 v4, 8, v5
	s_delay_alu instid0(VALU_DEP_2) | instskip(NEXT) | instid1(VALU_DEP_2)
	v_lshrrev_b32_e32 v6, 4, v3
	v_and_or_b32 v7, 0x7f00, v4, 0.5
	v_bfe_i32 v4, v4, 0, 16
	s_delay_alu instid0(VALU_DEP_3) | instskip(NEXT) | instid1(VALU_DEP_1)
	v_or_b32_e32 v6, 0x70000000, v6
	v_dual_add_f32 v7, -0.5, v7 :: v_dual_mul_f32 v6, 0x7800000, v6
	v_cmp_gt_u32_e32 vcc_lo, 0x8000000, v3
	s_delay_alu instid0(VALU_DEP_2) | instskip(NEXT) | instid1(VALU_DEP_1)
	v_dual_mov_b32 v3, 0x80 :: v_dual_cndmask_b32 v8, v6, v7
	v_and_or_b32 v6, 0x80000000, v4, v8
	v_mov_b32_e32 v4, 0x80
	s_delay_alu instid0(VALU_DEP_2) | instskip(NEXT) | instid1(VALU_DEP_1)
	v_and_b32_e32 v7, 0x7fffffff, v6
	v_cmpx_gt_u32_e32 0x43800000, v7
	s_cbranch_execz .LBB378_11
; %bb.6:                                ;   in Loop: Header=BB378_5 Depth=1
	v_cmp_lt_u32_e32 vcc_lo, 0x3bffffff, v7
	s_mov_b32 s19, 0
                                        ; implicit-def: $vgpr7
	s_and_saveexec_b32 s20, vcc_lo
	s_delay_alu instid0(SALU_CYCLE_1)
	s_xor_b32 s20, exec_lo, s20
	s_cbranch_execnz .LBB378_27
; %bb.7:                                ;   in Loop: Header=BB378_5 Depth=1
	s_or_saveexec_b32 s20, s20
                                        ; implicit-def: $sgpr21
	s_delay_alu instid0(SALU_CYCLE_1)
	s_xor_b32 exec_lo, exec_lo, s20
	s_cbranch_execnz .LBB378_28
.LBB378_8:                              ;   in Loop: Header=BB378_5 Depth=1
	s_or_b32 exec_lo, exec_lo, s20
	v_mov_b32_e32 v3, s21
	s_and_saveexec_b32 s20, s19
.LBB378_9:                              ;   in Loop: Header=BB378_5 Depth=1
	v_lshrrev_b32_e32 v3, 24, v6
	s_delay_alu instid0(VALU_DEP_1)
	v_and_or_b32 v3, 0x80, v3, v7
.LBB378_10:                             ;   in Loop: Header=BB378_5 Depth=1
	s_or_b32 exec_lo, exec_lo, s20
.LBB378_11:                             ;   in Loop: Header=BB378_5 Depth=1
	s_delay_alu instid0(SALU_CYCLE_1) | instskip(SKIP_4) | instid1(VALU_DEP_3)
	s_or_b32 exec_lo, exec_lo, s2
	v_and_or_b32 v7, 0x7f00, v5, 0.5
	v_lshlrev_b32_e32 v6, 13, v5
	v_lshlrev_b32_e32 v8, 17, v5
	s_mov_b32 s2, exec_lo
	v_add_f32_e32 v7, -0.5, v7
	s_delay_alu instid0(VALU_DEP_3) | instskip(NEXT) | instid1(VALU_DEP_3)
	v_and_or_b32 v6, v6, s18, 0x70000000
	v_cmp_gt_u32_e32 vcc_lo, 0x8000000, v8
	s_delay_alu instid0(VALU_DEP_2) | instskip(NEXT) | instid1(VALU_DEP_1)
	v_mul_f32_e32 v6, 0x7800000, v6
	v_cndmask_b32_e32 v8, v6, v7, vcc_lo
	v_lshlrev_b32_e32 v6, 16, v5
	s_delay_alu instid0(VALU_DEP_1) | instskip(NEXT) | instid1(VALU_DEP_1)
	v_and_or_b32 v6, 0x80000000, v6, v8
	v_and_b32_e32 v7, 0x7fffffff, v6
	s_delay_alu instid0(VALU_DEP_1)
	v_cmpx_gt_u32_e32 0x43800000, v7
	s_cbranch_execz .LBB378_17
; %bb.12:                               ;   in Loop: Header=BB378_5 Depth=1
	v_cmp_lt_u32_e32 vcc_lo, 0x3bffffff, v7
	s_mov_b32 s19, 0
                                        ; implicit-def: $vgpr7
	s_and_saveexec_b32 s20, vcc_lo
	s_delay_alu instid0(SALU_CYCLE_1)
	s_xor_b32 s20, exec_lo, s20
	s_cbranch_execnz .LBB378_29
; %bb.13:                               ;   in Loop: Header=BB378_5 Depth=1
	s_or_saveexec_b32 s20, s20
                                        ; implicit-def: $sgpr21
	s_delay_alu instid0(SALU_CYCLE_1)
	s_xor_b32 exec_lo, exec_lo, s20
	s_cbranch_execnz .LBB378_30
.LBB378_14:                             ;   in Loop: Header=BB378_5 Depth=1
	s_or_b32 exec_lo, exec_lo, s20
	v_mov_b32_e32 v4, s21
	s_and_saveexec_b32 s20, s19
.LBB378_15:                             ;   in Loop: Header=BB378_5 Depth=1
	v_lshrrev_b32_e32 v4, 24, v6
	s_delay_alu instid0(VALU_DEP_1)
	v_and_or_b32 v4, 0x80, v4, v7
.LBB378_16:                             ;   in Loop: Header=BB378_5 Depth=1
	s_or_b32 exec_lo, exec_lo, s20
.LBB378_17:                             ;   in Loop: Header=BB378_5 Depth=1
	s_delay_alu instid0(SALU_CYCLE_1) | instskip(SKIP_2) | instid1(VALU_DEP_1)
	s_or_b32 exec_lo, exec_lo, s2
	v_lshrrev_b32_e32 v6, 8, v5
	s_mov_b32 s2, exec_lo
	v_and_or_b32 v8, 0x7f00, v6, 0.5
	s_delay_alu instid0(VALU_DEP_1) | instskip(NEXT) | instid1(VALU_DEP_1)
	v_dual_add_f32 v8, -0.5, v8 :: v_dual_lshlrev_b32 v7, 5, v5
	v_and_or_b32 v7, v7, s18, 0x70000000
	s_delay_alu instid0(VALU_DEP_1) | instskip(NEXT) | instid1(VALU_DEP_1)
	v_dual_mul_f32 v7, 0x7800000, v7 :: v_dual_lshlrev_b32 v6, 17, v6
	v_cmp_gt_u32_e32 vcc_lo, 0x8000000, v6
	v_dual_mov_b32 v6, 0x80 :: v_dual_lshlrev_b32 v9, 8, v5
	s_delay_alu instid0(VALU_DEP_3) | instskip(NEXT) | instid1(VALU_DEP_1)
	v_dual_cndmask_b32 v10, v7, v8 :: v_dual_mov_b32 v7, 0x80
	v_and_or_b32 v8, 0x80000000, v9, v10
	s_delay_alu instid0(VALU_DEP_1) | instskip(NEXT) | instid1(VALU_DEP_1)
	v_and_b32_e32 v9, 0x7fffffff, v8
	v_cmpx_gt_u32_e32 0x43800000, v9
	s_cbranch_execz .LBB378_23
; %bb.18:                               ;   in Loop: Header=BB378_5 Depth=1
	v_cmp_lt_u32_e32 vcc_lo, 0x3bffffff, v9
	s_mov_b32 s19, 0
                                        ; implicit-def: $vgpr9
	s_and_saveexec_b32 s20, vcc_lo
	s_delay_alu instid0(SALU_CYCLE_1)
	s_xor_b32 s20, exec_lo, s20
	s_cbranch_execnz .LBB378_31
; %bb.19:                               ;   in Loop: Header=BB378_5 Depth=1
	s_or_saveexec_b32 s20, s20
                                        ; implicit-def: $sgpr21
	s_delay_alu instid0(SALU_CYCLE_1)
	s_xor_b32 exec_lo, exec_lo, s20
	s_cbranch_execnz .LBB378_32
.LBB378_20:                             ;   in Loop: Header=BB378_5 Depth=1
	s_or_b32 exec_lo, exec_lo, s20
	v_mov_b32_e32 v7, s21
	s_and_saveexec_b32 s20, s19
.LBB378_21:                             ;   in Loop: Header=BB378_5 Depth=1
	v_lshrrev_b32_e32 v7, 24, v8
	s_delay_alu instid0(VALU_DEP_1)
	v_and_or_b32 v7, 0x80, v7, v9
.LBB378_22:                             ;   in Loop: Header=BB378_5 Depth=1
	s_or_b32 exec_lo, exec_lo, s20
.LBB378_23:                             ;   in Loop: Header=BB378_5 Depth=1
	s_delay_alu instid0(SALU_CYCLE_1) | instskip(SKIP_3) | instid1(VALU_DEP_2)
	s_or_b32 exec_lo, exec_lo, s2
	v_lshrrev_b32_e32 v8, 16, v5
	v_lshrrev_b32_e32 v9, 3, v5
	s_mov_b32 s2, exec_lo
	v_and_or_b32 v10, 0x7f00, v8, 0.5
	s_delay_alu instid0(VALU_DEP_2) | instskip(SKIP_1) | instid1(VALU_DEP_2)
	v_and_or_b32 v9, v9, s18, 0x70000000
	v_lshlrev_b32_e32 v8, 17, v8
	v_dual_add_f32 v10, -0.5, v10 :: v_dual_mul_f32 v9, 0x7800000, v9
	s_delay_alu instid0(VALU_DEP_2) | instskip(NEXT) | instid1(VALU_DEP_2)
	v_cmp_gt_u32_e32 vcc_lo, 0x8000000, v8
	v_cndmask_b32_e32 v9, v9, v10, vcc_lo
	s_delay_alu instid0(VALU_DEP_1) | instskip(NEXT) | instid1(VALU_DEP_1)
	v_and_or_b32 v5, 0x80000000, v5, v9
	v_and_b32_e32 v8, 0x7fffffff, v5
	s_delay_alu instid0(VALU_DEP_1)
	v_cmpx_gt_u32_e32 0x43800000, v8
	s_cbranch_execz .LBB378_4
; %bb.24:                               ;   in Loop: Header=BB378_5 Depth=1
	v_cmp_lt_u32_e32 vcc_lo, 0x3bffffff, v8
	s_mov_b32 s19, 0
                                        ; implicit-def: $vgpr8
	s_and_saveexec_b32 s20, vcc_lo
	s_delay_alu instid0(SALU_CYCLE_1)
	s_xor_b32 s20, exec_lo, s20
	s_cbranch_execnz .LBB378_33
; %bb.25:                               ;   in Loop: Header=BB378_5 Depth=1
	s_or_saveexec_b32 s20, s20
                                        ; implicit-def: $sgpr21
	s_delay_alu instid0(SALU_CYCLE_1)
	s_xor_b32 exec_lo, exec_lo, s20
	s_cbranch_execnz .LBB378_34
.LBB378_26:                             ;   in Loop: Header=BB378_5 Depth=1
	s_or_b32 exec_lo, exec_lo, s20
	v_mov_b32_e32 v6, s21
	s_and_saveexec_b32 s20, s19
	s_cbranch_execz .LBB378_3
	s_branch .LBB378_35
.LBB378_27:                             ;   in Loop: Header=BB378_5 Depth=1
	v_bfe_u32 v3, v8, 20, 1
	s_mov_b32 s19, exec_lo
	s_delay_alu instid0(VALU_DEP_1) | instskip(NEXT) | instid1(VALU_DEP_1)
	v_add3_u32 v3, v6, v3, 0x487ffff
	v_lshrrev_b32_e32 v7, 20, v3
	s_or_saveexec_b32 s20, s20
                                        ; implicit-def: $sgpr21
	s_delay_alu instid0(SALU_CYCLE_1)
	s_xor_b32 exec_lo, exec_lo, s20
	s_cbranch_execz .LBB378_8
.LBB378_28:                             ;   in Loop: Header=BB378_5 Depth=1
	v_add_f32_e64 v3, 0x46000000, |v6|
	s_and_not1_b32 s19, s19, exec_lo
	s_mov_b32 s21, 0
	s_delay_alu instid0(VALU_DEP_1) | instskip(NEXT) | instid1(VALU_DEP_1)
	v_and_b32_e32 v7, 0xff, v3
	v_cmp_ne_u32_e32 vcc_lo, 0, v7
	s_and_b32 s22, vcc_lo, exec_lo
	s_delay_alu instid0(SALU_CYCLE_1)
	s_or_b32 s19, s19, s22
	s_or_b32 exec_lo, exec_lo, s20
	v_mov_b32_e32 v3, s21
	s_and_saveexec_b32 s20, s19
	s_cbranch_execnz .LBB378_9
	s_branch .LBB378_10
.LBB378_29:                             ;   in Loop: Header=BB378_5 Depth=1
	v_bfe_u32 v4, v8, 20, 1
	s_mov_b32 s19, exec_lo
	s_delay_alu instid0(VALU_DEP_1) | instskip(NEXT) | instid1(VALU_DEP_1)
	v_add3_u32 v4, v6, v4, 0x487ffff
	v_lshrrev_b32_e32 v7, 20, v4
	s_or_saveexec_b32 s20, s20
                                        ; implicit-def: $sgpr21
	s_delay_alu instid0(SALU_CYCLE_1)
	s_xor_b32 exec_lo, exec_lo, s20
	s_cbranch_execz .LBB378_14
.LBB378_30:                             ;   in Loop: Header=BB378_5 Depth=1
	v_add_f32_e64 v4, 0x46000000, |v6|
	s_and_not1_b32 s19, s19, exec_lo
	s_mov_b32 s21, 0
	s_delay_alu instid0(VALU_DEP_1) | instskip(NEXT) | instid1(VALU_DEP_1)
	v_and_b32_e32 v7, 0xff, v4
	v_cmp_ne_u32_e32 vcc_lo, 0, v7
	s_and_b32 s22, vcc_lo, exec_lo
	s_delay_alu instid0(SALU_CYCLE_1)
	s_or_b32 s19, s19, s22
	s_or_b32 exec_lo, exec_lo, s20
	v_mov_b32_e32 v4, s21
	s_and_saveexec_b32 s20, s19
	s_cbranch_execnz .LBB378_15
	s_branch .LBB378_16
.LBB378_31:                             ;   in Loop: Header=BB378_5 Depth=1
	v_bfe_u32 v7, v10, 20, 1
	s_mov_b32 s19, exec_lo
	s_delay_alu instid0(VALU_DEP_1) | instskip(NEXT) | instid1(VALU_DEP_1)
	v_add3_u32 v7, v8, v7, 0x487ffff
	v_lshrrev_b32_e32 v9, 20, v7
	s_or_saveexec_b32 s20, s20
                                        ; implicit-def: $sgpr21
	s_delay_alu instid0(SALU_CYCLE_1)
	s_xor_b32 exec_lo, exec_lo, s20
	s_cbranch_execz .LBB378_20
.LBB378_32:                             ;   in Loop: Header=BB378_5 Depth=1
	v_add_f32_e64 v7, 0x46000000, |v8|
	s_and_not1_b32 s19, s19, exec_lo
	s_mov_b32 s21, 0
	s_delay_alu instid0(VALU_DEP_1) | instskip(NEXT) | instid1(VALU_DEP_1)
	v_and_b32_e32 v9, 0xff, v7
	v_cmp_ne_u32_e32 vcc_lo, 0, v9
	s_and_b32 s22, vcc_lo, exec_lo
	s_delay_alu instid0(SALU_CYCLE_1)
	s_or_b32 s19, s19, s22
	s_or_b32 exec_lo, exec_lo, s20
	v_mov_b32_e32 v7, s21
	s_and_saveexec_b32 s20, s19
	s_cbranch_execnz .LBB378_21
	s_branch .LBB378_22
.LBB378_33:                             ;   in Loop: Header=BB378_5 Depth=1
	v_bfe_u32 v6, v9, 20, 1
	s_mov_b32 s19, exec_lo
	s_delay_alu instid0(VALU_DEP_1) | instskip(NEXT) | instid1(VALU_DEP_1)
	v_add3_u32 v6, v5, v6, 0x487ffff
	v_lshrrev_b32_e32 v8, 20, v6
	s_or_saveexec_b32 s20, s20
                                        ; implicit-def: $sgpr21
	s_delay_alu instid0(SALU_CYCLE_1)
	s_xor_b32 exec_lo, exec_lo, s20
	s_cbranch_execz .LBB378_26
.LBB378_34:                             ;   in Loop: Header=BB378_5 Depth=1
	v_add_f32_e64 v6, 0x46000000, |v5|
	s_and_not1_b32 s19, s19, exec_lo
	s_mov_b32 s21, 0
	s_delay_alu instid0(VALU_DEP_1) | instskip(NEXT) | instid1(VALU_DEP_1)
	v_and_b32_e32 v8, 0xff, v6
	v_cmp_ne_u32_e32 vcc_lo, 0, v8
	s_and_b32 s22, vcc_lo, exec_lo
	s_delay_alu instid0(SALU_CYCLE_1)
	s_or_b32 s19, s19, s22
	s_or_b32 exec_lo, exec_lo, s20
	v_mov_b32_e32 v6, s21
	s_and_saveexec_b32 s20, s19
	s_cbranch_execz .LBB378_3
.LBB378_35:                             ;   in Loop: Header=BB378_5 Depth=1
	v_lshrrev_b32_e32 v5, 24, v5
	s_delay_alu instid0(VALU_DEP_1)
	v_and_or_b32 v6, 0x80, v5, v8
	s_branch .LBB378_3
.LBB378_36:
	s_or_b32 exec_lo, exec_lo, s15
	s_mov_b32 s2, 0
.LBB378_37:
	s_delay_alu instid0(SALU_CYCLE_1)
	s_and_not1_b32 vcc_lo, exec_lo, s2
	s_cbranch_vccnz .LBB378_89
; %bb.38:
	v_cmp_lt_i64_e64 s2, s[4:5], 1
	s_delay_alu instid0(VALU_DEP_1)
	s_and_b32 vcc_lo, exec_lo, s2
	s_cbranch_vccnz .LBB378_89
; %bb.39:
	s_load_b32 s0, s[0:1], 0xc5c
	v_add_co_u32 v1, s1, s10, v0
	s_delay_alu instid0(VALU_DEP_1) | instskip(SKIP_1) | instid1(VALU_DEP_3)
	v_add_co_ci_u32_e64 v2, null, s11, 0, s1
	v_cmp_gt_u64_e64 s1, 0x10000, s[4:5]
	v_add_co_u32 v9, vcc_lo, s6, v1
	s_delay_alu instid0(VALU_DEP_3)
	v_add_co_ci_u32_e32 v10, vcc_lo, s7, v2, vcc_lo
	v_add_co_u32 v11, vcc_lo, s8, v1
	v_add_co_ci_u32_e32 v12, vcc_lo, s9, v2, vcc_lo
                                        ; implicit-def: $vgpr31
                                        ; implicit-def: $vgpr32
                                        ; implicit-def: $vgpr33
                                        ; implicit-def: $vgpr34
	s_waitcnt lgkmcnt(0)
	s_and_b32 s0, s0, 0xffff
	s_and_b32 s1, s1, exec_lo
	s_mul_i32 s13, s0, 3
	s_cselect_b32 s3, s5, 0
	s_cselect_b32 s2, s4, 0x10000
	s_lshl_b32 s12, s0, 1
	s_lshl_b32 s1, s0, 2
	s_add_u32 s14, s10, s13
	s_addc_u32 s15, s11, 0
	v_add_co_u32 v3, s14, s14, v0
	s_delay_alu instid0(VALU_DEP_1) | instskip(SKIP_1) | instid1(VALU_DEP_2)
	v_add_co_ci_u32_e64 v4, null, s15, 0, s14
	s_add_u32 s10, s10, s12
	v_add_co_u32 v13, vcc_lo, s6, v3
	s_delay_alu instid0(VALU_DEP_2)
	v_add_co_ci_u32_e32 v14, vcc_lo, s7, v4, vcc_lo
	v_add_co_u32 v15, vcc_lo, s8, v3
	s_addc_u32 s11, s11, 0
	v_add_co_u32 v3, s10, s10, v0
	v_add_co_ci_u32_e32 v16, vcc_lo, s9, v4, vcc_lo
	v_add_co_ci_u32_e64 v4, null, s11, 0, s10
	s_delay_alu instid0(VALU_DEP_3) | instskip(SKIP_1) | instid1(VALU_DEP_3)
	v_add_co_u32 v19, vcc_lo, s6, v3
	v_add_co_u32 v17, s10, s13, v0
	v_add_co_ci_u32_e32 v20, vcc_lo, s7, v4, vcc_lo
	v_add_co_u32 v21, vcc_lo, s8, v3
	v_add_co_ci_u32_e32 v22, vcc_lo, s9, v4, vcc_lo
	v_add_co_u32 v1, vcc_lo, v1, s0
	v_add_co_ci_u32_e32 v2, vcc_lo, 0, v2, vcc_lo
	v_add_co_ci_u32_e64 v18, null, 0, 0, s10
	s_delay_alu instid0(VALU_DEP_3) | instskip(NEXT) | instid1(VALU_DEP_3)
	v_add_co_u32 v25, vcc_lo, s6, v1
	v_add_co_ci_u32_e32 v26, vcc_lo, s7, v2, vcc_lo
	v_add_co_u32 v23, s10, s12, v0
	v_add_co_u32 v27, vcc_lo, s8, v1
	v_add_co_u32 v29, s0, v0, s0
	v_add_co_ci_u32_e64 v24, null, 0, 0, s10
	v_add_co_ci_u32_e32 v28, vcc_lo, s9, v2, vcc_lo
	v_add_co_ci_u32_e64 v30, null, 0, 0, s0
	s_mov_b64 s[6:7], 0
	s_branch .LBB378_41
.LBB378_40:                             ;   in Loop: Header=BB378_41 Depth=1
	s_or_b32 exec_lo, exec_lo, s0
	s_add_u32 s6, s6, s1
	s_addc_u32 s7, s7, 0
	s_delay_alu instid0(SALU_CYCLE_1) | instskip(SKIP_1) | instid1(VALU_DEP_1)
	v_cmp_ge_i64_e64 s0, s[6:7], s[4:5]
	v_cmp_lt_u64_e64 s8, 0xffff, s[6:7]
	s_or_b32 s0, s0, s8
	s_delay_alu instid0(SALU_CYCLE_1)
	s_and_b32 vcc_lo, exec_lo, s0
	s_cbranch_vccnz .LBB378_89
.LBB378_41:                             ; =>This Inner Loop Header: Depth=1
	v_add_co_u32 v1, s0, v0, s6
	s_delay_alu instid0(VALU_DEP_1) | instskip(NEXT) | instid1(VALU_DEP_1)
	v_add_co_ci_u32_e64 v2, null, 0, s7, s0
	v_cmp_gt_i64_e32 vcc_lo, s[4:5], v[1:2]
	v_cmp_gt_u64_e64 s0, 0x10000, v[1:2]
	s_delay_alu instid0(VALU_DEP_1) | instskip(NEXT) | instid1(SALU_CYCLE_1)
	s_and_b32 s8, vcc_lo, s0
	s_and_saveexec_b32 s0, s8
	s_cbranch_execz .LBB378_43
; %bb.42:                               ;   in Loop: Header=BB378_41 Depth=1
	v_add_co_u32 v3, vcc_lo, v9, s6
	v_add_co_ci_u32_e32 v4, vcc_lo, s7, v10, vcc_lo
	global_load_u8 v34, v[3:4], off
.LBB378_43:                             ;   in Loop: Header=BB378_41 Depth=1
	s_or_b32 exec_lo, exec_lo, s0
	v_add_co_u32 v3, vcc_lo, v29, s6
	v_add_co_ci_u32_e32 v4, vcc_lo, s7, v30, vcc_lo
	s_delay_alu instid0(VALU_DEP_1) | instskip(SKIP_1) | instid1(VALU_DEP_1)
	v_cmp_gt_i64_e32 vcc_lo, s[4:5], v[3:4]
	v_cmp_gt_u64_e64 s0, 0x10000, v[3:4]
	s_and_b32 s8, vcc_lo, s0
	s_delay_alu instid0(SALU_CYCLE_1)
	s_and_saveexec_b32 s0, s8
	s_cbranch_execz .LBB378_45
; %bb.44:                               ;   in Loop: Header=BB378_41 Depth=1
	v_add_co_u32 v5, vcc_lo, v25, s6
	v_add_co_ci_u32_e32 v6, vcc_lo, s7, v26, vcc_lo
	global_load_u8 v33, v[5:6], off
.LBB378_45:                             ;   in Loop: Header=BB378_41 Depth=1
	s_or_b32 exec_lo, exec_lo, s0
	v_add_co_u32 v5, vcc_lo, v23, s6
	v_add_co_ci_u32_e32 v6, vcc_lo, s7, v24, vcc_lo
	s_delay_alu instid0(VALU_DEP_1) | instskip(SKIP_1) | instid1(VALU_DEP_1)
	v_cmp_gt_i64_e32 vcc_lo, s[4:5], v[5:6]
	v_cmp_gt_u64_e64 s0, 0x10000, v[5:6]
	s_and_b32 s8, vcc_lo, s0
	s_delay_alu instid0(SALU_CYCLE_1)
	s_and_saveexec_b32 s0, s8
	s_cbranch_execz .LBB378_47
; %bb.46:                               ;   in Loop: Header=BB378_41 Depth=1
	v_add_co_u32 v7, vcc_lo, v19, s6
	v_add_co_ci_u32_e32 v8, vcc_lo, s7, v20, vcc_lo
	global_load_u8 v32, v[7:8], off
.LBB378_47:                             ;   in Loop: Header=BB378_41 Depth=1
	s_or_b32 exec_lo, exec_lo, s0
	v_add_co_u32 v7, vcc_lo, v17, s6
	v_add_co_ci_u32_e32 v8, vcc_lo, s7, v18, vcc_lo
	s_delay_alu instid0(VALU_DEP_1) | instskip(SKIP_1) | instid1(VALU_DEP_1)
	v_cmp_gt_i64_e32 vcc_lo, s[4:5], v[7:8]
	v_cmp_gt_u64_e64 s0, 0x10000, v[7:8]
	s_and_b32 s8, vcc_lo, s0
	s_delay_alu instid0(SALU_CYCLE_1)
	s_and_saveexec_b32 s0, s8
	s_cbranch_execz .LBB378_49
; %bb.48:                               ;   in Loop: Header=BB378_41 Depth=1
	v_add_co_u32 v35, vcc_lo, v13, s6
	v_add_co_ci_u32_e32 v36, vcc_lo, s7, v14, vcc_lo
	global_load_u8 v31, v[35:36], off
.LBB378_49:                             ;   in Loop: Header=BB378_41 Depth=1
	s_or_b32 exec_lo, exec_lo, s0
	s_waitcnt vmcnt(0)
	v_lshlrev_b32_e32 v35, 25, v34
	v_lshlrev_b16 v36, 8, v34
	s_mov_b32 s0, exec_lo
	s_delay_alu instid0(VALU_DEP_2) | instskip(NEXT) | instid1(VALU_DEP_2)
	v_lshrrev_b32_e32 v37, 4, v35
	v_and_or_b32 v38, 0x7f00, v36, 0.5
	v_cmp_gt_u32_e32 vcc_lo, 0x8000000, v35
	v_bfe_i32 v36, v36, 0, 16
	v_mov_b32_e32 v35, 0x80
	v_or_b32_e32 v37, 0x70000000, v37
	s_delay_alu instid0(VALU_DEP_1) | instskip(NEXT) | instid1(VALU_DEP_1)
	v_dual_add_f32 v38, -0.5, v38 :: v_dual_mul_f32 v37, 0x7800000, v37
	v_cndmask_b32_e32 v39, v37, v38, vcc_lo
	s_delay_alu instid0(VALU_DEP_1) | instskip(SKIP_1) | instid1(VALU_DEP_2)
	v_and_or_b32 v37, 0x80000000, v36, v39
	v_mov_b32_e32 v36, 0x80
	v_and_b32_e32 v38, 0x7fffffff, v37
	s_delay_alu instid0(VALU_DEP_1)
	v_cmpx_gt_u32_e32 0x43800000, v38
	s_cbranch_execz .LBB378_55
; %bb.50:                               ;   in Loop: Header=BB378_41 Depth=1
	v_cmp_lt_u32_e32 vcc_lo, 0x3bffffff, v38
	s_mov_b32 s8, 0
                                        ; implicit-def: $vgpr38
	s_and_saveexec_b32 s9, vcc_lo
	s_delay_alu instid0(SALU_CYCLE_1)
	s_xor_b32 s9, exec_lo, s9
	s_cbranch_execnz .LBB378_81
; %bb.51:                               ;   in Loop: Header=BB378_41 Depth=1
	s_or_saveexec_b32 s9, s9
                                        ; implicit-def: $sgpr10
	s_delay_alu instid0(SALU_CYCLE_1)
	s_xor_b32 exec_lo, exec_lo, s9
	s_cbranch_execnz .LBB378_82
.LBB378_52:                             ;   in Loop: Header=BB378_41 Depth=1
	s_or_b32 exec_lo, exec_lo, s9
	v_mov_b32_e32 v36, s10
	s_and_saveexec_b32 s9, s8
.LBB378_53:                             ;   in Loop: Header=BB378_41 Depth=1
	v_lshrrev_b32_e32 v36, 24, v37
	s_delay_alu instid0(VALU_DEP_1)
	v_and_or_b32 v36, 0x80, v36, v38
.LBB378_54:                             ;   in Loop: Header=BB378_41 Depth=1
	s_or_b32 exec_lo, exec_lo, s9
.LBB378_55:                             ;   in Loop: Header=BB378_41 Depth=1
	s_delay_alu instid0(SALU_CYCLE_1) | instskip(SKIP_2) | instid1(VALU_DEP_1)
	s_or_b32 exec_lo, exec_lo, s0
	v_lshlrev_b16 v38, 8, v33
	s_mov_b32 s0, exec_lo
	v_and_or_b32 v40, 0x7f00, v38, 0.5
	s_delay_alu instid0(VALU_DEP_1) | instskip(NEXT) | instid1(VALU_DEP_1)
	v_dual_add_f32 v40, -0.5, v40 :: v_dual_lshlrev_b32 v37, 25, v33
	v_lshrrev_b32_e32 v39, 4, v37
	v_cmp_gt_u32_e32 vcc_lo, 0x8000000, v37
	v_bfe_i32 v37, v38, 0, 16
	s_delay_alu instid0(VALU_DEP_3) | instskip(NEXT) | instid1(VALU_DEP_1)
	v_or_b32_e32 v39, 0x70000000, v39
	v_mul_f32_e32 v39, 0x7800000, v39
	s_delay_alu instid0(VALU_DEP_1) | instskip(NEXT) | instid1(VALU_DEP_1)
	v_cndmask_b32_e32 v39, v39, v40, vcc_lo
	v_and_or_b32 v37, 0x80000000, v37, v39
	s_delay_alu instid0(VALU_DEP_1) | instskip(NEXT) | instid1(VALU_DEP_1)
	v_and_b32_e32 v38, 0x7fffffff, v37
	v_cmpx_gt_u32_e32 0x43800000, v38
	s_cbranch_execz .LBB378_61
; %bb.56:                               ;   in Loop: Header=BB378_41 Depth=1
	v_cmp_lt_u32_e32 vcc_lo, 0x3bffffff, v38
	s_mov_b32 s8, 0
                                        ; implicit-def: $vgpr38
	s_and_saveexec_b32 s9, vcc_lo
	s_delay_alu instid0(SALU_CYCLE_1)
	s_xor_b32 s9, exec_lo, s9
	s_cbranch_execnz .LBB378_83
; %bb.57:                               ;   in Loop: Header=BB378_41 Depth=1
	s_or_saveexec_b32 s9, s9
                                        ; implicit-def: $sgpr10
	s_delay_alu instid0(SALU_CYCLE_1)
	s_xor_b32 exec_lo, exec_lo, s9
	s_cbranch_execnz .LBB378_84
.LBB378_58:                             ;   in Loop: Header=BB378_41 Depth=1
	s_or_b32 exec_lo, exec_lo, s9
	v_mov_b32_e32 v35, s10
	s_and_saveexec_b32 s9, s8
.LBB378_59:                             ;   in Loop: Header=BB378_41 Depth=1
	v_lshrrev_b32_e32 v35, 24, v37
	s_delay_alu instid0(VALU_DEP_1)
	v_and_or_b32 v35, 0x80, v35, v38
.LBB378_60:                             ;   in Loop: Header=BB378_41 Depth=1
	s_or_b32 exec_lo, exec_lo, s9
.LBB378_61:                             ;   in Loop: Header=BB378_41 Depth=1
	s_delay_alu instid0(SALU_CYCLE_1) | instskip(SKIP_3) | instid1(VALU_DEP_2)
	s_or_b32 exec_lo, exec_lo, s0
	v_lshlrev_b32_e32 v37, 25, v32
	v_lshlrev_b16 v38, 8, v32
	s_mov_b32 s0, exec_lo
	v_lshrrev_b32_e32 v39, 4, v37
	s_delay_alu instid0(VALU_DEP_2) | instskip(SKIP_4) | instid1(VALU_DEP_1)
	v_and_or_b32 v40, 0x7f00, v38, 0.5
	v_cmp_gt_u32_e32 vcc_lo, 0x8000000, v37
	v_bfe_i32 v38, v38, 0, 16
	v_mov_b32_e32 v37, 0x80
	v_or_b32_e32 v39, 0x70000000, v39
	v_dual_add_f32 v40, -0.5, v40 :: v_dual_mul_f32 v39, 0x7800000, v39
	s_delay_alu instid0(VALU_DEP_1) | instskip(NEXT) | instid1(VALU_DEP_1)
	v_cndmask_b32_e32 v41, v39, v40, vcc_lo
	v_and_or_b32 v39, 0x80000000, v38, v41
	v_mov_b32_e32 v38, 0x80
	s_delay_alu instid0(VALU_DEP_2) | instskip(NEXT) | instid1(VALU_DEP_1)
	v_and_b32_e32 v40, 0x7fffffff, v39
	v_cmpx_gt_u32_e32 0x43800000, v40
	s_cbranch_execz .LBB378_67
; %bb.62:                               ;   in Loop: Header=BB378_41 Depth=1
	v_cmp_lt_u32_e32 vcc_lo, 0x3bffffff, v40
	s_mov_b32 s8, 0
                                        ; implicit-def: $vgpr40
	s_and_saveexec_b32 s9, vcc_lo
	s_delay_alu instid0(SALU_CYCLE_1)
	s_xor_b32 s9, exec_lo, s9
	s_cbranch_execnz .LBB378_85
; %bb.63:                               ;   in Loop: Header=BB378_41 Depth=1
	s_or_saveexec_b32 s9, s9
                                        ; implicit-def: $sgpr10
	s_delay_alu instid0(SALU_CYCLE_1)
	s_xor_b32 exec_lo, exec_lo, s9
	s_cbranch_execnz .LBB378_86
.LBB378_64:                             ;   in Loop: Header=BB378_41 Depth=1
	s_or_b32 exec_lo, exec_lo, s9
	v_mov_b32_e32 v38, s10
	s_and_saveexec_b32 s9, s8
.LBB378_65:                             ;   in Loop: Header=BB378_41 Depth=1
	v_lshrrev_b32_e32 v38, 24, v39
	s_delay_alu instid0(VALU_DEP_1)
	v_and_or_b32 v38, 0x80, v38, v40
.LBB378_66:                             ;   in Loop: Header=BB378_41 Depth=1
	s_or_b32 exec_lo, exec_lo, s9
.LBB378_67:                             ;   in Loop: Header=BB378_41 Depth=1
	s_delay_alu instid0(SALU_CYCLE_1) | instskip(SKIP_2) | instid1(VALU_DEP_1)
	s_or_b32 exec_lo, exec_lo, s0
	v_lshlrev_b16 v40, 8, v31
	s_mov_b32 s0, exec_lo
	v_and_or_b32 v42, 0x7f00, v40, 0.5
	s_delay_alu instid0(VALU_DEP_1) | instskip(NEXT) | instid1(VALU_DEP_1)
	v_dual_add_f32 v42, -0.5, v42 :: v_dual_lshlrev_b32 v39, 25, v31
	v_lshrrev_b32_e32 v41, 4, v39
	v_cmp_gt_u32_e32 vcc_lo, 0x8000000, v39
	v_bfe_i32 v39, v40, 0, 16
	s_delay_alu instid0(VALU_DEP_3) | instskip(NEXT) | instid1(VALU_DEP_1)
	v_or_b32_e32 v41, 0x70000000, v41
	v_mul_f32_e32 v41, 0x7800000, v41
	s_delay_alu instid0(VALU_DEP_1) | instskip(NEXT) | instid1(VALU_DEP_1)
	v_cndmask_b32_e32 v41, v41, v42, vcc_lo
	v_and_or_b32 v39, 0x80000000, v39, v41
	s_delay_alu instid0(VALU_DEP_1) | instskip(NEXT) | instid1(VALU_DEP_1)
	v_and_b32_e32 v40, 0x7fffffff, v39
	v_cmpx_gt_u32_e32 0x43800000, v40
	s_cbranch_execz .LBB378_73
; %bb.68:                               ;   in Loop: Header=BB378_41 Depth=1
	v_cmp_lt_u32_e32 vcc_lo, 0x3bffffff, v40
	s_mov_b32 s8, 0
                                        ; implicit-def: $vgpr40
	s_and_saveexec_b32 s9, vcc_lo
	s_delay_alu instid0(SALU_CYCLE_1)
	s_xor_b32 s9, exec_lo, s9
	s_cbranch_execnz .LBB378_87
; %bb.69:                               ;   in Loop: Header=BB378_41 Depth=1
	s_or_saveexec_b32 s9, s9
                                        ; implicit-def: $sgpr10
	s_delay_alu instid0(SALU_CYCLE_1)
	s_xor_b32 exec_lo, exec_lo, s9
	s_cbranch_execnz .LBB378_88
.LBB378_70:                             ;   in Loop: Header=BB378_41 Depth=1
	s_or_b32 exec_lo, exec_lo, s9
	v_mov_b32_e32 v37, s10
	s_and_saveexec_b32 s9, s8
.LBB378_71:                             ;   in Loop: Header=BB378_41 Depth=1
	v_lshrrev_b32_e32 v37, 24, v39
	s_delay_alu instid0(VALU_DEP_1)
	v_and_or_b32 v37, 0x80, v37, v40
.LBB378_72:                             ;   in Loop: Header=BB378_41 Depth=1
	s_or_b32 exec_lo, exec_lo, s9
.LBB378_73:                             ;   in Loop: Header=BB378_41 Depth=1
	s_delay_alu instid0(SALU_CYCLE_1) | instskip(NEXT) | instid1(SALU_CYCLE_1)
	s_or_b32 exec_lo, exec_lo, s0
	s_mov_b32 s0, exec_lo
	v_cmpx_gt_u64_e64 s[2:3], v[1:2]
	s_xor_b32 s0, exec_lo, s0
	s_cbranch_execnz .LBB378_77
; %bb.74:                               ;   in Loop: Header=BB378_41 Depth=1
	s_or_b32 exec_lo, exec_lo, s0
	s_delay_alu instid0(SALU_CYCLE_1)
	s_mov_b32 s0, exec_lo
	v_cmpx_gt_u64_e64 s[2:3], v[3:4]
	s_cbranch_execnz .LBB378_78
.LBB378_75:                             ;   in Loop: Header=BB378_41 Depth=1
	s_or_b32 exec_lo, exec_lo, s0
	s_delay_alu instid0(SALU_CYCLE_1)
	s_mov_b32 s0, exec_lo
	v_cmpx_gt_u64_e64 s[2:3], v[5:6]
	s_cbranch_execnz .LBB378_79
.LBB378_76:                             ;   in Loop: Header=BB378_41 Depth=1
	s_or_b32 exec_lo, exec_lo, s0
	s_delay_alu instid0(SALU_CYCLE_1)
	s_mov_b32 s0, exec_lo
	v_cmpx_gt_u64_e64 s[2:3], v[7:8]
	s_cbranch_execz .LBB378_40
	s_branch .LBB378_80
.LBB378_77:                             ;   in Loop: Header=BB378_41 Depth=1
	v_add_co_u32 v1, vcc_lo, v11, s6
	v_add_co_ci_u32_e32 v2, vcc_lo, s7, v12, vcc_lo
	global_store_b8 v[1:2], v36, off
	s_or_b32 exec_lo, exec_lo, s0
	s_delay_alu instid0(SALU_CYCLE_1)
	s_mov_b32 s0, exec_lo
	v_cmpx_gt_u64_e64 s[2:3], v[3:4]
	s_cbranch_execz .LBB378_75
.LBB378_78:                             ;   in Loop: Header=BB378_41 Depth=1
	v_add_co_u32 v1, vcc_lo, v27, s6
	v_add_co_ci_u32_e32 v2, vcc_lo, s7, v28, vcc_lo
	global_store_b8 v[1:2], v35, off
	s_or_b32 exec_lo, exec_lo, s0
	s_delay_alu instid0(SALU_CYCLE_1)
	s_mov_b32 s0, exec_lo
	v_cmpx_gt_u64_e64 s[2:3], v[5:6]
	s_cbranch_execz .LBB378_76
.LBB378_79:                             ;   in Loop: Header=BB378_41 Depth=1
	v_add_co_u32 v1, vcc_lo, v21, s6
	v_add_co_ci_u32_e32 v2, vcc_lo, s7, v22, vcc_lo
	global_store_b8 v[1:2], v38, off
	s_or_b32 exec_lo, exec_lo, s0
	s_delay_alu instid0(SALU_CYCLE_1)
	s_mov_b32 s0, exec_lo
	v_cmpx_gt_u64_e64 s[2:3], v[7:8]
	s_cbranch_execz .LBB378_40
.LBB378_80:                             ;   in Loop: Header=BB378_41 Depth=1
	v_add_co_u32 v1, vcc_lo, v15, s6
	v_add_co_ci_u32_e32 v2, vcc_lo, s7, v16, vcc_lo
	global_store_b8 v[1:2], v37, off
	s_branch .LBB378_40
.LBB378_81:                             ;   in Loop: Header=BB378_41 Depth=1
	v_bfe_u32 v36, v39, 20, 1
	s_mov_b32 s8, exec_lo
	s_delay_alu instid0(VALU_DEP_1) | instskip(NEXT) | instid1(VALU_DEP_1)
	v_add3_u32 v36, v37, v36, 0x487ffff
	v_lshrrev_b32_e32 v38, 20, v36
	s_or_saveexec_b32 s9, s9
                                        ; implicit-def: $sgpr10
	s_delay_alu instid0(SALU_CYCLE_1)
	s_xor_b32 exec_lo, exec_lo, s9
	s_cbranch_execz .LBB378_52
.LBB378_82:                             ;   in Loop: Header=BB378_41 Depth=1
	v_add_f32_e64 v36, 0x46000000, |v37|
	s_and_not1_b32 s8, s8, exec_lo
	s_mov_b32 s10, 0
	s_delay_alu instid0(VALU_DEP_1) | instskip(NEXT) | instid1(VALU_DEP_1)
	v_and_b32_e32 v38, 0xff, v36
	v_cmp_ne_u32_e32 vcc_lo, 0, v38
	s_and_b32 s11, vcc_lo, exec_lo
	s_delay_alu instid0(SALU_CYCLE_1)
	s_or_b32 s8, s8, s11
	s_or_b32 exec_lo, exec_lo, s9
	v_mov_b32_e32 v36, s10
	s_and_saveexec_b32 s9, s8
	s_cbranch_execnz .LBB378_53
	s_branch .LBB378_54
.LBB378_83:                             ;   in Loop: Header=BB378_41 Depth=1
	v_bfe_u32 v35, v39, 20, 1
	s_mov_b32 s8, exec_lo
	s_delay_alu instid0(VALU_DEP_1) | instskip(NEXT) | instid1(VALU_DEP_1)
	v_add3_u32 v35, v37, v35, 0x487ffff
	v_lshrrev_b32_e32 v38, 20, v35
	s_or_saveexec_b32 s9, s9
                                        ; implicit-def: $sgpr10
	s_delay_alu instid0(SALU_CYCLE_1)
	s_xor_b32 exec_lo, exec_lo, s9
	s_cbranch_execz .LBB378_58
.LBB378_84:                             ;   in Loop: Header=BB378_41 Depth=1
	v_add_f32_e64 v35, 0x46000000, |v37|
	s_and_not1_b32 s8, s8, exec_lo
	s_mov_b32 s10, 0
	s_delay_alu instid0(VALU_DEP_1) | instskip(NEXT) | instid1(VALU_DEP_1)
	v_and_b32_e32 v38, 0xff, v35
	v_cmp_ne_u32_e32 vcc_lo, 0, v38
	s_and_b32 s11, vcc_lo, exec_lo
	s_delay_alu instid0(SALU_CYCLE_1)
	s_or_b32 s8, s8, s11
	s_or_b32 exec_lo, exec_lo, s9
	v_mov_b32_e32 v35, s10
	s_and_saveexec_b32 s9, s8
	s_cbranch_execnz .LBB378_59
	s_branch .LBB378_60
.LBB378_85:                             ;   in Loop: Header=BB378_41 Depth=1
	v_bfe_u32 v38, v41, 20, 1
	s_mov_b32 s8, exec_lo
	s_delay_alu instid0(VALU_DEP_1) | instskip(NEXT) | instid1(VALU_DEP_1)
	v_add3_u32 v38, v39, v38, 0x487ffff
	v_lshrrev_b32_e32 v40, 20, v38
	s_or_saveexec_b32 s9, s9
                                        ; implicit-def: $sgpr10
	s_delay_alu instid0(SALU_CYCLE_1)
	s_xor_b32 exec_lo, exec_lo, s9
	s_cbranch_execz .LBB378_64
.LBB378_86:                             ;   in Loop: Header=BB378_41 Depth=1
	v_add_f32_e64 v38, 0x46000000, |v39|
	s_and_not1_b32 s8, s8, exec_lo
	s_mov_b32 s10, 0
	s_delay_alu instid0(VALU_DEP_1) | instskip(NEXT) | instid1(VALU_DEP_1)
	v_and_b32_e32 v40, 0xff, v38
	v_cmp_ne_u32_e32 vcc_lo, 0, v40
	s_and_b32 s11, vcc_lo, exec_lo
	s_delay_alu instid0(SALU_CYCLE_1)
	s_or_b32 s8, s8, s11
	s_or_b32 exec_lo, exec_lo, s9
	v_mov_b32_e32 v38, s10
	s_and_saveexec_b32 s9, s8
	s_cbranch_execnz .LBB378_65
	s_branch .LBB378_66
.LBB378_87:                             ;   in Loop: Header=BB378_41 Depth=1
	v_bfe_u32 v37, v41, 20, 1
	s_mov_b32 s8, exec_lo
	s_delay_alu instid0(VALU_DEP_1) | instskip(NEXT) | instid1(VALU_DEP_1)
	v_add3_u32 v37, v39, v37, 0x487ffff
	v_lshrrev_b32_e32 v40, 20, v37
	s_or_saveexec_b32 s9, s9
                                        ; implicit-def: $sgpr10
	s_delay_alu instid0(SALU_CYCLE_1)
	s_xor_b32 exec_lo, exec_lo, s9
	s_cbranch_execz .LBB378_70
.LBB378_88:                             ;   in Loop: Header=BB378_41 Depth=1
	v_add_f32_e64 v37, 0x46000000, |v39|
	s_and_not1_b32 s8, s8, exec_lo
	s_mov_b32 s10, 0
	s_delay_alu instid0(VALU_DEP_1) | instskip(NEXT) | instid1(VALU_DEP_1)
	v_and_b32_e32 v40, 0xff, v37
	v_cmp_ne_u32_e32 vcc_lo, 0, v40
	s_and_b32 s11, vcc_lo, exec_lo
	s_delay_alu instid0(SALU_CYCLE_1)
	s_or_b32 s8, s8, s11
	s_or_b32 exec_lo, exec_lo, s9
	v_mov_b32_e32 v37, s10
	s_and_saveexec_b32 s9, s8
	s_cbranch_execnz .LBB378_71
	s_branch .LBB378_72
.LBB378_89:
	s_nop 0
	s_sendmsg sendmsg(MSG_DEALLOC_VGPRS)
	s_endpgm
	.section	.rodata,"a",@progbits
	.p2align	6, 0x0
	.amdhsa_kernel _ZN2at6native12_GLOBAL__N_125multi_tensor_apply_kernelINS1_18TensorListMetadataILi2EEENS1_11CopyFunctorIN3c1015Float8_e4m3fnuzENS6_11Float8_e5m2ELi2ELi1ELi1EEEJNS0_4CopyIS7_S8_EEEEEvT_T0_DpT1_
		.amdhsa_group_segment_fixed_size 0
		.amdhsa_private_segment_fixed_size 0
		.amdhsa_kernarg_size 3408
		.amdhsa_user_sgpr_count 15
		.amdhsa_user_sgpr_dispatch_ptr 0
		.amdhsa_user_sgpr_queue_ptr 0
		.amdhsa_user_sgpr_kernarg_segment_ptr 1
		.amdhsa_user_sgpr_dispatch_id 0
		.amdhsa_user_sgpr_private_segment_size 0
		.amdhsa_wavefront_size32 1
		.amdhsa_uses_dynamic_stack 0
		.amdhsa_enable_private_segment 0
		.amdhsa_system_sgpr_workgroup_id_x 1
		.amdhsa_system_sgpr_workgroup_id_y 0
		.amdhsa_system_sgpr_workgroup_id_z 0
		.amdhsa_system_sgpr_workgroup_info 0
		.amdhsa_system_vgpr_workitem_id 0
		.amdhsa_next_free_vgpr 43
		.amdhsa_next_free_sgpr 23
		.amdhsa_reserve_vcc 1
		.amdhsa_float_round_mode_32 0
		.amdhsa_float_round_mode_16_64 0
		.amdhsa_float_denorm_mode_32 3
		.amdhsa_float_denorm_mode_16_64 3
		.amdhsa_dx10_clamp 1
		.amdhsa_ieee_mode 1
		.amdhsa_fp16_overflow 0
		.amdhsa_workgroup_processor_mode 1
		.amdhsa_memory_ordered 1
		.amdhsa_forward_progress 0
		.amdhsa_shared_vgpr_count 0
		.amdhsa_exception_fp_ieee_invalid_op 0
		.amdhsa_exception_fp_denorm_src 0
		.amdhsa_exception_fp_ieee_div_zero 0
		.amdhsa_exception_fp_ieee_overflow 0
		.amdhsa_exception_fp_ieee_underflow 0
		.amdhsa_exception_fp_ieee_inexact 0
		.amdhsa_exception_int_div_zero 0
	.end_amdhsa_kernel
	.section	.text._ZN2at6native12_GLOBAL__N_125multi_tensor_apply_kernelINS1_18TensorListMetadataILi2EEENS1_11CopyFunctorIN3c1015Float8_e4m3fnuzENS6_11Float8_e5m2ELi2ELi1ELi1EEEJNS0_4CopyIS7_S8_EEEEEvT_T0_DpT1_,"axG",@progbits,_ZN2at6native12_GLOBAL__N_125multi_tensor_apply_kernelINS1_18TensorListMetadataILi2EEENS1_11CopyFunctorIN3c1015Float8_e4m3fnuzENS6_11Float8_e5m2ELi2ELi1ELi1EEEJNS0_4CopyIS7_S8_EEEEEvT_T0_DpT1_,comdat
.Lfunc_end378:
	.size	_ZN2at6native12_GLOBAL__N_125multi_tensor_apply_kernelINS1_18TensorListMetadataILi2EEENS1_11CopyFunctorIN3c1015Float8_e4m3fnuzENS6_11Float8_e5m2ELi2ELi1ELi1EEEJNS0_4CopyIS7_S8_EEEEEvT_T0_DpT1_, .Lfunc_end378-_ZN2at6native12_GLOBAL__N_125multi_tensor_apply_kernelINS1_18TensorListMetadataILi2EEENS1_11CopyFunctorIN3c1015Float8_e4m3fnuzENS6_11Float8_e5m2ELi2ELi1ELi1EEEJNS0_4CopyIS7_S8_EEEEEvT_T0_DpT1_
                                        ; -- End function
	.section	.AMDGPU.csdata,"",@progbits
; Kernel info:
; codeLenInByte = 3980
; NumSgprs: 25
; NumVgprs: 43
; ScratchSize: 0
; MemoryBound: 0
; FloatMode: 240
; IeeeMode: 1
; LDSByteSize: 0 bytes/workgroup (compile time only)
; SGPRBlocks: 3
; VGPRBlocks: 5
; NumSGPRsForWavesPerEU: 25
; NumVGPRsForWavesPerEU: 43
; Occupancy: 16
; WaveLimiterHint : 0
; COMPUTE_PGM_RSRC2:SCRATCH_EN: 0
; COMPUTE_PGM_RSRC2:USER_SGPR: 15
; COMPUTE_PGM_RSRC2:TRAP_HANDLER: 0
; COMPUTE_PGM_RSRC2:TGID_X_EN: 1
; COMPUTE_PGM_RSRC2:TGID_Y_EN: 0
; COMPUTE_PGM_RSRC2:TGID_Z_EN: 0
; COMPUTE_PGM_RSRC2:TIDIG_COMP_CNT: 0
	.section	.text._ZN2at6native12_GLOBAL__N_125multi_tensor_apply_kernelINS1_18TensorListMetadataILi2EEENS1_11CopyFunctorIN3c1015Float8_e4m3fnuzENS6_15Float8_e5m2fnuzELi2ELi1ELi1EEEJNS0_4CopyIS7_S8_EEEEEvT_T0_DpT1_,"axG",@progbits,_ZN2at6native12_GLOBAL__N_125multi_tensor_apply_kernelINS1_18TensorListMetadataILi2EEENS1_11CopyFunctorIN3c1015Float8_e4m3fnuzENS6_15Float8_e5m2fnuzELi2ELi1ELi1EEEJNS0_4CopyIS7_S8_EEEEEvT_T0_DpT1_,comdat
	.globl	_ZN2at6native12_GLOBAL__N_125multi_tensor_apply_kernelINS1_18TensorListMetadataILi2EEENS1_11CopyFunctorIN3c1015Float8_e4m3fnuzENS6_15Float8_e5m2fnuzELi2ELi1ELi1EEEJNS0_4CopyIS7_S8_EEEEEvT_T0_DpT1_ ; -- Begin function _ZN2at6native12_GLOBAL__N_125multi_tensor_apply_kernelINS1_18TensorListMetadataILi2EEENS1_11CopyFunctorIN3c1015Float8_e4m3fnuzENS6_15Float8_e5m2fnuzELi2ELi1ELi1EEEJNS0_4CopyIS7_S8_EEEEEvT_T0_DpT1_
	.p2align	8
	.type	_ZN2at6native12_GLOBAL__N_125multi_tensor_apply_kernelINS1_18TensorListMetadataILi2EEENS1_11CopyFunctorIN3c1015Float8_e4m3fnuzENS6_15Float8_e5m2fnuzELi2ELi1ELi1EEEJNS0_4CopyIS7_S8_EEEEEvT_T0_DpT1_,@function
_ZN2at6native12_GLOBAL__N_125multi_tensor_apply_kernelINS1_18TensorListMetadataILi2EEENS1_11CopyFunctorIN3c1015Float8_e4m3fnuzENS6_15Float8_e5m2fnuzELi2ELi1ELi1EEEJNS0_4CopyIS7_S8_EEEEEvT_T0_DpT1_: ; @_ZN2at6native12_GLOBAL__N_125multi_tensor_apply_kernelINS1_18TensorListMetadataILi2EEENS1_11CopyFunctorIN3c1015Float8_e4m3fnuzENS6_15Float8_e5m2fnuzELi2ELi1ELi1EEEJNS0_4CopyIS7_S8_EEEEEvT_T0_DpT1_
; %bb.0:
	v_mov_b32_e32 v1, s15
	s_add_u32 s2, s0, s15
	s_mul_i32 s4, s15, 3
	s_addc_u32 s3, s1, 0
	s_mul_hi_u32 s5, s15, 3
	global_load_u8 v1, v1, s[0:1] offset:1536
	s_add_u32 s2, s2, s4
	s_addc_u32 s3, s3, s5
	s_load_b32 s2, s[2:3], 0x740
	s_waitcnt vmcnt(0)
	v_readfirstlane_b32 s4, v1
	s_delay_alu instid0(VALU_DEP_1)
	s_lshl_b32 s3, s4, 3
	s_clause 0x2
	s_load_b64 s[6:7], s[0:1], s3 offset:0x0
	s_load_b64 s[8:9], s[0:1], s3 offset:0x200
	;; [unrolled: 1-line block ×3, first 2 shown]
	s_waitcnt lgkmcnt(0)
	s_ashr_i32 s3, s2, 31
	s_delay_alu instid0(SALU_CYCLE_1) | instskip(NEXT) | instid1(SALU_CYCLE_1)
	s_lshl_b64 s[10:11], s[2:3], 16
	s_add_u32 s3, s6, s10
	s_addc_u32 s14, s7, s11
	s_add_u32 s12, s8, s10
	s_addc_u32 s13, s9, s11
	s_delay_alu instid0(SALU_CYCLE_1) | instskip(NEXT) | instid1(SALU_CYCLE_1)
	s_or_b64 s[16:17], s[4:5], s[12:13]
	s_or_b32 s2, s3, s16
	s_delay_alu instid0(SALU_CYCLE_1)
	s_and_b32 s2, s2, 3
	s_sub_u32 s4, s4, s10
	s_subb_u32 s5, s5, s11
	s_cmp_eq_u32 s2, 0
	s_mov_b32 s2, -1
	s_cbranch_scc0 .LBB379_69
; %bb.1:
	v_dual_mov_b32 v2, 0 :: v_dual_lshlrev_b32 v1, 2, v0
	s_mov_b32 s15, exec_lo
	s_delay_alu instid0(VALU_DEP_1)
	v_cmpx_gt_i64_e64 s[4:5], v[1:2]
	s_cbranch_execz .LBB379_68
; %bb.2:
	s_load_b32 s2, s[0:1], 0xc5c
	s_mov_b32 s17, 0
	s_waitcnt lgkmcnt(0)
	s_and_b32 s2, s2, 0xffff
	s_delay_alu instid0(SALU_CYCLE_1)
	s_lshl_b32 s16, s2, 2
	s_branch .LBB379_5
.LBB379_3:                              ;   in Loop: Header=BB379_5 Depth=1
	s_or_b32 exec_lo, exec_lo, s19
.LBB379_4:                              ;   in Loop: Header=BB379_5 Depth=1
	s_delay_alu instid0(SALU_CYCLE_1)
	s_or_b32 exec_lo, exec_lo, s2
	v_add_co_u32 v9, vcc_lo, s12, v1
	v_add_co_ci_u32_e32 v10, vcc_lo, s13, v2, vcc_lo
	v_add_co_u32 v1, vcc_lo, s16, v1
	v_add_co_ci_u32_e32 v2, vcc_lo, 0, v2, vcc_lo
	v_lshlrev_b32_e32 v3, 16, v6
	v_lshlrev_b32_e32 v5, 8, v5
	v_and_b32_e32 v4, 0xff, v4
	s_delay_alu instid0(VALU_DEP_4) | instskip(SKIP_3) | instid1(VALU_DEP_3)
	v_cmp_le_i64_e32 vcc_lo, s[4:5], v[1:2]
	v_cmp_lt_u64_e64 s2, 0xffff, v[1:2]
	v_perm_b32 v3, v8, v3, 0x4020c0c
	v_and_b32_e32 v5, 0xff00, v5
	s_or_b32 s2, vcc_lo, s2
	s_delay_alu instid0(VALU_DEP_1) | instskip(SKIP_1) | instid1(SALU_CYCLE_1)
	v_or3_b32 v3, v3, v5, v4
	s_and_b32 s2, exec_lo, s2
	s_or_b32 s17, s2, s17
	global_store_b32 v[9:10], v3, off
	s_and_not1_b32 exec_lo, exec_lo, s17
	s_cbranch_execz .LBB379_68
.LBB379_5:                              ; =>This Inner Loop Header: Depth=1
	v_add_co_u32 v3, vcc_lo, s3, v1
	v_add_co_ci_u32_e32 v4, vcc_lo, s14, v2, vcc_lo
	s_mov_b32 s2, 0
	s_mov_b32 s19, exec_lo
                                        ; implicit-def: $sgpr18
	global_load_b32 v3, v[3:4], off
	s_waitcnt vmcnt(0)
	v_and_b32_e32 v4, 0xff, v3
	s_delay_alu instid0(VALU_DEP_1)
	v_cmpx_lt_i16_e32 0x7f, v4
	s_xor_b32 s19, exec_lo, s19
	s_cbranch_execnz .LBB379_43
; %bb.6:                                ;   in Loop: Header=BB379_5 Depth=1
	s_or_saveexec_b32 s19, s19
	v_mov_b32_e32 v5, s18
	s_xor_b32 exec_lo, exec_lo, s19
	s_cbranch_execnz .LBB379_46
.LBB379_7:                              ;   in Loop: Header=BB379_5 Depth=1
	s_or_b32 exec_lo, exec_lo, s19
	s_and_saveexec_b32 s18, s2
	s_cbranch_execz .LBB379_9
.LBB379_8:                              ;   in Loop: Header=BB379_5 Depth=1
	v_bfe_u32 v7, v3, 2, 5
	v_lshlrev_b32_e32 v8, 24, v3
	s_delay_alu instid0(VALU_DEP_2) | instskip(SKIP_1) | instid1(VALU_DEP_1)
	v_cmp_eq_u32_e32 vcc_lo, 0, v7
	v_and_b32_e32 v4, 3, v3
	v_clz_i32_u32_e32 v5, v4
	s_delay_alu instid0(VALU_DEP_1) | instskip(NEXT) | instid1(VALU_DEP_1)
	v_min_u32_e32 v5, 32, v5
	v_subrev_nc_u32_e32 v6, 29, v5
	v_sub_nc_u32_e32 v5, 30, v5
	s_delay_alu instid0(VALU_DEP_1) | instskip(NEXT) | instid1(VALU_DEP_1)
	v_dual_cndmask_b32 v5, v7, v5 :: v_dual_lshlrev_b32 v6, v6, v3
	v_and_b32_e32 v6, 3, v6
	s_delay_alu instid0(VALU_DEP_2) | instskip(NEXT) | instid1(VALU_DEP_2)
	v_lshl_add_u32 v5, v5, 23, 0x37800000
	v_cndmask_b32_e32 v4, v4, v6, vcc_lo
	v_and_b32_e32 v6, 0x80000000, v8
	s_delay_alu instid0(VALU_DEP_2) | instskip(NEXT) | instid1(VALU_DEP_1)
	v_lshlrev_b32_e32 v4, 21, v4
	v_or3_b32 v5, v6, v5, v4
.LBB379_9:                              ;   in Loop: Header=BB379_5 Depth=1
	s_or_b32 exec_lo, exec_lo, s18
	s_delay_alu instid0(VALU_DEP_1) | instskip(SKIP_2) | instid1(VALU_DEP_2)
	v_and_b32_e32 v6, 0x7fffffff, v5
	v_mov_b32_e32 v4, 0x80
	s_mov_b32 s2, exec_lo
	v_cmpx_gt_u32_e32 0x43800000, v6
	s_cbranch_execz .LBB379_15
; %bb.10:                               ;   in Loop: Header=BB379_5 Depth=1
	v_cmp_lt_u32_e32 vcc_lo, 0x3bffffff, v6
	s_mov_b32 s18, 0
                                        ; implicit-def: $vgpr6
	s_and_saveexec_b32 s19, vcc_lo
	s_delay_alu instid0(SALU_CYCLE_1)
	s_xor_b32 s19, exec_lo, s19
	s_cbranch_execnz .LBB379_59
; %bb.11:                               ;   in Loop: Header=BB379_5 Depth=1
	s_or_saveexec_b32 s19, s19
                                        ; implicit-def: $sgpr20
	s_delay_alu instid0(SALU_CYCLE_1)
	s_xor_b32 exec_lo, exec_lo, s19
	s_cbranch_execnz .LBB379_60
.LBB379_12:                             ;   in Loop: Header=BB379_5 Depth=1
	s_or_b32 exec_lo, exec_lo, s19
	v_mov_b32_e32 v4, s20
	s_and_saveexec_b32 s19, s18
.LBB379_13:                             ;   in Loop: Header=BB379_5 Depth=1
	v_lshrrev_b32_e32 v4, 24, v5
	s_delay_alu instid0(VALU_DEP_1)
	v_and_or_b32 v4, 0x80, v4, v6
.LBB379_14:                             ;   in Loop: Header=BB379_5 Depth=1
	s_or_b32 exec_lo, exec_lo, s19
.LBB379_15:                             ;   in Loop: Header=BB379_5 Depth=1
	s_delay_alu instid0(SALU_CYCLE_1) | instskip(SKIP_3) | instid1(VALU_DEP_1)
	s_or_b32 exec_lo, exec_lo, s2
	v_lshrrev_b32_e32 v5, 8, v3
	s_mov_b32 s2, 0
	s_mov_b32 s19, exec_lo
                                        ; implicit-def: $sgpr18
	v_and_b32_e32 v7, 0xff, v5
	s_delay_alu instid0(VALU_DEP_1)
	v_cmpx_lt_i16_e32 0x7f, v7
	s_xor_b32 s19, exec_lo, s19
	s_cbranch_execnz .LBB379_47
; %bb.16:                               ;   in Loop: Header=BB379_5 Depth=1
	s_or_saveexec_b32 s19, s19
	v_mov_b32_e32 v6, s18
	s_xor_b32 exec_lo, exec_lo, s19
	s_cbranch_execnz .LBB379_50
.LBB379_17:                             ;   in Loop: Header=BB379_5 Depth=1
	s_or_b32 exec_lo, exec_lo, s19
	s_and_saveexec_b32 s18, s2
	s_cbranch_execz .LBB379_19
.LBB379_18:                             ;   in Loop: Header=BB379_5 Depth=1
	v_bfe_u32 v6, v3, 8, 2
	v_bfe_u32 v9, v3, 10, 5
	s_delay_alu instid0(VALU_DEP_2) | instskip(NEXT) | instid1(VALU_DEP_2)
	v_clz_i32_u32_e32 v7, v6
	v_cmp_eq_u32_e32 vcc_lo, 0, v9
	s_delay_alu instid0(VALU_DEP_2) | instskip(NEXT) | instid1(VALU_DEP_1)
	v_min_u32_e32 v7, 32, v7
	v_subrev_nc_u32_e32 v8, 29, v7
	v_sub_nc_u32_e32 v7, 30, v7
	s_delay_alu instid0(VALU_DEP_1) | instskip(NEXT) | instid1(VALU_DEP_1)
	v_dual_cndmask_b32 v7, v9, v7 :: v_dual_lshlrev_b32 v8, v8, v5
	v_and_b32_e32 v8, 3, v8
	v_lshlrev_b32_e32 v5, 24, v5
	s_delay_alu instid0(VALU_DEP_3) | instskip(NEXT) | instid1(VALU_DEP_2)
	v_lshl_add_u32 v7, v7, 23, 0x37800000
	v_dual_cndmask_b32 v6, v6, v8 :: v_dual_and_b32 v5, 0x80000000, v5
	s_delay_alu instid0(VALU_DEP_1) | instskip(NEXT) | instid1(VALU_DEP_1)
	v_lshlrev_b32_e32 v6, 21, v6
	v_or3_b32 v6, v5, v7, v6
.LBB379_19:                             ;   in Loop: Header=BB379_5 Depth=1
	s_or_b32 exec_lo, exec_lo, s18
	s_delay_alu instid0(VALU_DEP_1) | instskip(SKIP_2) | instid1(VALU_DEP_2)
	v_and_b32_e32 v7, 0x7fffffff, v6
	v_mov_b32_e32 v5, 0x80
	s_mov_b32 s2, exec_lo
	v_cmpx_gt_u32_e32 0x43800000, v7
	s_cbranch_execz .LBB379_25
; %bb.20:                               ;   in Loop: Header=BB379_5 Depth=1
	v_cmp_lt_u32_e32 vcc_lo, 0x3bffffff, v7
	s_mov_b32 s18, 0
                                        ; implicit-def: $vgpr7
	s_and_saveexec_b32 s19, vcc_lo
	s_delay_alu instid0(SALU_CYCLE_1)
	s_xor_b32 s19, exec_lo, s19
	s_cbranch_execnz .LBB379_61
; %bb.21:                               ;   in Loop: Header=BB379_5 Depth=1
	s_or_saveexec_b32 s19, s19
                                        ; implicit-def: $sgpr20
	s_delay_alu instid0(SALU_CYCLE_1)
	s_xor_b32 exec_lo, exec_lo, s19
	s_cbranch_execnz .LBB379_62
.LBB379_22:                             ;   in Loop: Header=BB379_5 Depth=1
	s_or_b32 exec_lo, exec_lo, s19
	v_mov_b32_e32 v5, s20
	s_and_saveexec_b32 s19, s18
.LBB379_23:                             ;   in Loop: Header=BB379_5 Depth=1
	v_lshrrev_b32_e32 v5, 24, v6
	s_delay_alu instid0(VALU_DEP_1)
	v_and_or_b32 v5, 0x80, v5, v7
.LBB379_24:                             ;   in Loop: Header=BB379_5 Depth=1
	s_or_b32 exec_lo, exec_lo, s19
.LBB379_25:                             ;   in Loop: Header=BB379_5 Depth=1
	s_delay_alu instid0(SALU_CYCLE_1) | instskip(SKIP_3) | instid1(VALU_DEP_1)
	s_or_b32 exec_lo, exec_lo, s2
	v_lshrrev_b32_e32 v6, 16, v3
	s_mov_b32 s2, 0
	s_mov_b32 s19, exec_lo
                                        ; implicit-def: $sgpr18
	v_and_b32_e32 v8, 0xff, v6
	s_delay_alu instid0(VALU_DEP_1)
	v_cmpx_lt_i16_e32 0x7f, v8
	s_xor_b32 s19, exec_lo, s19
	s_cbranch_execnz .LBB379_51
; %bb.26:                               ;   in Loop: Header=BB379_5 Depth=1
	s_or_saveexec_b32 s19, s19
	v_mov_b32_e32 v7, s18
	s_xor_b32 exec_lo, exec_lo, s19
	s_cbranch_execnz .LBB379_54
.LBB379_27:                             ;   in Loop: Header=BB379_5 Depth=1
	s_or_b32 exec_lo, exec_lo, s19
	s_and_saveexec_b32 s18, s2
	s_cbranch_execz .LBB379_29
.LBB379_28:                             ;   in Loop: Header=BB379_5 Depth=1
	v_bfe_u32 v7, v3, 16, 2
	v_bfe_u32 v10, v3, 18, 5
	s_delay_alu instid0(VALU_DEP_2) | instskip(NEXT) | instid1(VALU_DEP_2)
	v_clz_i32_u32_e32 v8, v7
	v_cmp_eq_u32_e32 vcc_lo, 0, v10
	s_delay_alu instid0(VALU_DEP_2) | instskip(NEXT) | instid1(VALU_DEP_1)
	v_min_u32_e32 v8, 32, v8
	v_subrev_nc_u32_e32 v9, 29, v8
	v_sub_nc_u32_e32 v8, 30, v8
	s_delay_alu instid0(VALU_DEP_1) | instskip(NEXT) | instid1(VALU_DEP_1)
	v_dual_cndmask_b32 v8, v10, v8 :: v_dual_lshlrev_b32 v9, v9, v6
	v_and_b32_e32 v9, 3, v9
	v_lshlrev_b32_e32 v6, 24, v6
	s_delay_alu instid0(VALU_DEP_3) | instskip(NEXT) | instid1(VALU_DEP_2)
	v_lshl_add_u32 v8, v8, 23, 0x37800000
	v_dual_cndmask_b32 v7, v7, v9 :: v_dual_and_b32 v6, 0x80000000, v6
	s_delay_alu instid0(VALU_DEP_1) | instskip(NEXT) | instid1(VALU_DEP_1)
	v_lshlrev_b32_e32 v7, 21, v7
	v_or3_b32 v7, v6, v8, v7
.LBB379_29:                             ;   in Loop: Header=BB379_5 Depth=1
	s_or_b32 exec_lo, exec_lo, s18
	s_delay_alu instid0(VALU_DEP_1) | instskip(SKIP_2) | instid1(VALU_DEP_2)
	v_and_b32_e32 v8, 0x7fffffff, v7
	v_mov_b32_e32 v6, 0x80
	s_mov_b32 s2, exec_lo
	v_cmpx_gt_u32_e32 0x43800000, v8
	s_cbranch_execz .LBB379_35
; %bb.30:                               ;   in Loop: Header=BB379_5 Depth=1
	v_cmp_lt_u32_e32 vcc_lo, 0x3bffffff, v8
	s_mov_b32 s18, 0
                                        ; implicit-def: $vgpr8
	s_and_saveexec_b32 s19, vcc_lo
	s_delay_alu instid0(SALU_CYCLE_1)
	s_xor_b32 s19, exec_lo, s19
	s_cbranch_execnz .LBB379_63
; %bb.31:                               ;   in Loop: Header=BB379_5 Depth=1
	s_or_saveexec_b32 s19, s19
                                        ; implicit-def: $sgpr20
	s_delay_alu instid0(SALU_CYCLE_1)
	s_xor_b32 exec_lo, exec_lo, s19
	s_cbranch_execnz .LBB379_64
.LBB379_32:                             ;   in Loop: Header=BB379_5 Depth=1
	s_or_b32 exec_lo, exec_lo, s19
	v_mov_b32_e32 v6, s20
	s_and_saveexec_b32 s19, s18
.LBB379_33:                             ;   in Loop: Header=BB379_5 Depth=1
	v_lshrrev_b32_e32 v6, 24, v7
	s_delay_alu instid0(VALU_DEP_1)
	v_and_or_b32 v6, 0x80, v6, v8
.LBB379_34:                             ;   in Loop: Header=BB379_5 Depth=1
	s_or_b32 exec_lo, exec_lo, s19
.LBB379_35:                             ;   in Loop: Header=BB379_5 Depth=1
	s_delay_alu instid0(SALU_CYCLE_1) | instskip(SKIP_3) | instid1(VALU_DEP_1)
	s_or_b32 exec_lo, exec_lo, s2
	v_lshrrev_b32_e32 v8, 24, v3
	s_mov_b32 s2, 0
	s_mov_b32 s19, exec_lo
                                        ; implicit-def: $sgpr18
	v_cmpx_lt_i16_e32 0x7f, v8
	s_xor_b32 s19, exec_lo, s19
	s_cbranch_execnz .LBB379_55
; %bb.36:                               ;   in Loop: Header=BB379_5 Depth=1
	s_or_saveexec_b32 s19, s19
	v_mov_b32_e32 v7, s18
	s_xor_b32 exec_lo, exec_lo, s19
	s_cbranch_execnz .LBB379_58
.LBB379_37:                             ;   in Loop: Header=BB379_5 Depth=1
	s_or_b32 exec_lo, exec_lo, s19
	s_and_saveexec_b32 s18, s2
	s_cbranch_execz .LBB379_39
.LBB379_38:                             ;   in Loop: Header=BB379_5 Depth=1
	v_bfe_u32 v7, v3, 24, 2
	s_delay_alu instid0(VALU_DEP_1) | instskip(NEXT) | instid1(VALU_DEP_1)
	v_clz_i32_u32_e32 v9, v7
	v_min_u32_e32 v9, 32, v9
	s_delay_alu instid0(VALU_DEP_1) | instskip(SKIP_1) | instid1(VALU_DEP_2)
	v_subrev_nc_u32_e32 v10, 29, v9
	v_sub_nc_u32_e32 v9, 30, v9
	v_lshlrev_b32_e32 v8, v10, v8
	v_bfe_u32 v10, v3, 26, 5
	v_and_b32_e32 v3, 0x80000000, v3
	s_delay_alu instid0(VALU_DEP_2) | instskip(NEXT) | instid1(VALU_DEP_4)
	v_cmp_eq_u32_e32 vcc_lo, 0, v10
	v_dual_cndmask_b32 v9, v10, v9 :: v_dual_and_b32 v8, 3, v8
	s_delay_alu instid0(VALU_DEP_1) | instskip(NEXT) | instid1(VALU_DEP_2)
	v_cndmask_b32_e32 v7, v7, v8, vcc_lo
	v_lshl_add_u32 v8, v9, 23, 0x37800000
	s_delay_alu instid0(VALU_DEP_2) | instskip(NEXT) | instid1(VALU_DEP_1)
	v_lshlrev_b32_e32 v7, 21, v7
	v_or3_b32 v7, v3, v8, v7
.LBB379_39:                             ;   in Loop: Header=BB379_5 Depth=1
	s_or_b32 exec_lo, exec_lo, s18
	s_delay_alu instid0(VALU_DEP_1) | instskip(SKIP_2) | instid1(VALU_DEP_2)
	v_and_b32_e32 v3, 0x7fffffff, v7
	v_mov_b32_e32 v8, 0x80
	s_mov_b32 s2, exec_lo
	v_cmpx_gt_u32_e32 0x43800000, v3
	s_cbranch_execz .LBB379_4
; %bb.40:                               ;   in Loop: Header=BB379_5 Depth=1
	v_cmp_lt_u32_e32 vcc_lo, 0x3bffffff, v3
	s_mov_b32 s18, 0
                                        ; implicit-def: $vgpr3
	s_and_saveexec_b32 s19, vcc_lo
	s_delay_alu instid0(SALU_CYCLE_1)
	s_xor_b32 s19, exec_lo, s19
	s_cbranch_execnz .LBB379_65
; %bb.41:                               ;   in Loop: Header=BB379_5 Depth=1
	s_or_saveexec_b32 s19, s19
                                        ; implicit-def: $sgpr20
	s_delay_alu instid0(SALU_CYCLE_1)
	s_xor_b32 exec_lo, exec_lo, s19
	s_cbranch_execnz .LBB379_66
.LBB379_42:                             ;   in Loop: Header=BB379_5 Depth=1
	s_or_b32 exec_lo, exec_lo, s19
	v_mov_b32_e32 v8, s20
	s_and_saveexec_b32 s19, s18
	s_cbranch_execz .LBB379_3
	s_branch .LBB379_67
.LBB379_43:                             ;   in Loop: Header=BB379_5 Depth=1
	s_mov_b32 s2, -1
	s_mov_b32 s20, exec_lo
                                        ; implicit-def: $sgpr18
	v_cmpx_eq_u16_e32 0x80, v4
; %bb.44:                               ;   in Loop: Header=BB379_5 Depth=1
	s_mov_b32 s18, 0x7f800001
	s_xor_b32 s2, exec_lo, -1
; %bb.45:                               ;   in Loop: Header=BB379_5 Depth=1
	s_or_b32 exec_lo, exec_lo, s20
	s_delay_alu instid0(SALU_CYCLE_1)
	s_and_b32 s2, s2, exec_lo
                                        ; implicit-def: $vgpr4
	s_or_saveexec_b32 s19, s19
	v_mov_b32_e32 v5, s18
	s_xor_b32 exec_lo, exec_lo, s19
	s_cbranch_execz .LBB379_7
.LBB379_46:                             ;   in Loop: Header=BB379_5 Depth=1
	v_cmp_ne_u16_e32 vcc_lo, 0, v4
	v_mov_b32_e32 v5, 0
	s_and_not1_b32 s2, s2, exec_lo
	s_and_b32 s18, vcc_lo, exec_lo
	s_delay_alu instid0(SALU_CYCLE_1)
	s_or_b32 s2, s2, s18
	s_or_b32 exec_lo, exec_lo, s19
	s_and_saveexec_b32 s18, s2
	s_cbranch_execnz .LBB379_8
	s_branch .LBB379_9
.LBB379_47:                             ;   in Loop: Header=BB379_5 Depth=1
	s_mov_b32 s2, -1
	s_mov_b32 s20, exec_lo
                                        ; implicit-def: $sgpr18
	v_cmpx_eq_u16_e32 0x80, v7
; %bb.48:                               ;   in Loop: Header=BB379_5 Depth=1
	s_mov_b32 s18, 0x7f800001
	s_xor_b32 s2, exec_lo, -1
; %bb.49:                               ;   in Loop: Header=BB379_5 Depth=1
	s_or_b32 exec_lo, exec_lo, s20
	s_delay_alu instid0(SALU_CYCLE_1)
	s_and_b32 s2, s2, exec_lo
                                        ; implicit-def: $vgpr7
	s_or_saveexec_b32 s19, s19
	v_mov_b32_e32 v6, s18
	s_xor_b32 exec_lo, exec_lo, s19
	s_cbranch_execz .LBB379_17
.LBB379_50:                             ;   in Loop: Header=BB379_5 Depth=1
	v_cmp_ne_u16_e32 vcc_lo, 0, v7
	v_mov_b32_e32 v6, 0
	s_and_not1_b32 s2, s2, exec_lo
	s_and_b32 s18, vcc_lo, exec_lo
	s_delay_alu instid0(SALU_CYCLE_1)
	s_or_b32 s2, s2, s18
	s_or_b32 exec_lo, exec_lo, s19
	s_and_saveexec_b32 s18, s2
	s_cbranch_execnz .LBB379_18
	s_branch .LBB379_19
.LBB379_51:                             ;   in Loop: Header=BB379_5 Depth=1
	s_mov_b32 s2, -1
	s_mov_b32 s20, exec_lo
                                        ; implicit-def: $sgpr18
	v_cmpx_eq_u16_e32 0x80, v8
; %bb.52:                               ;   in Loop: Header=BB379_5 Depth=1
	s_mov_b32 s18, 0x7f800001
	s_xor_b32 s2, exec_lo, -1
; %bb.53:                               ;   in Loop: Header=BB379_5 Depth=1
	s_or_b32 exec_lo, exec_lo, s20
	s_delay_alu instid0(SALU_CYCLE_1)
	s_and_b32 s2, s2, exec_lo
                                        ; implicit-def: $vgpr8
	s_or_saveexec_b32 s19, s19
	v_mov_b32_e32 v7, s18
	s_xor_b32 exec_lo, exec_lo, s19
	s_cbranch_execz .LBB379_27
.LBB379_54:                             ;   in Loop: Header=BB379_5 Depth=1
	v_cmp_ne_u16_e32 vcc_lo, 0, v8
	v_mov_b32_e32 v7, 0
	s_and_not1_b32 s2, s2, exec_lo
	s_and_b32 s18, vcc_lo, exec_lo
	s_delay_alu instid0(SALU_CYCLE_1)
	s_or_b32 s2, s2, s18
	s_or_b32 exec_lo, exec_lo, s19
	s_and_saveexec_b32 s18, s2
	s_cbranch_execnz .LBB379_28
	s_branch .LBB379_29
.LBB379_55:                             ;   in Loop: Header=BB379_5 Depth=1
	s_mov_b32 s2, -1
	s_mov_b32 s20, exec_lo
                                        ; implicit-def: $sgpr18
	v_cmpx_eq_u16_e32 0x80, v8
; %bb.56:                               ;   in Loop: Header=BB379_5 Depth=1
	s_mov_b32 s18, 0x7f800001
	s_xor_b32 s2, exec_lo, -1
; %bb.57:                               ;   in Loop: Header=BB379_5 Depth=1
	s_or_b32 exec_lo, exec_lo, s20
	s_delay_alu instid0(SALU_CYCLE_1)
	s_and_b32 s2, s2, exec_lo
	s_or_saveexec_b32 s19, s19
	v_mov_b32_e32 v7, s18
	s_xor_b32 exec_lo, exec_lo, s19
	s_cbranch_execz .LBB379_37
.LBB379_58:                             ;   in Loop: Header=BB379_5 Depth=1
	v_cmp_ne_u16_e32 vcc_lo, 0, v8
	v_mov_b32_e32 v7, 0
	s_and_not1_b32 s2, s2, exec_lo
	s_and_b32 s18, vcc_lo, exec_lo
	s_delay_alu instid0(SALU_CYCLE_1)
	s_or_b32 s2, s2, s18
	s_or_b32 exec_lo, exec_lo, s19
	s_and_saveexec_b32 s18, s2
	s_cbranch_execnz .LBB379_38
	s_branch .LBB379_39
.LBB379_59:                             ;   in Loop: Header=BB379_5 Depth=1
	v_bfe_u32 v4, v5, 20, 1
	s_mov_b32 s18, exec_lo
	s_delay_alu instid0(VALU_DEP_1) | instskip(NEXT) | instid1(VALU_DEP_1)
	v_add3_u32 v4, v5, v4, 0x487ffff
	v_lshrrev_b32_e32 v6, 20, v4
	s_or_saveexec_b32 s19, s19
                                        ; implicit-def: $sgpr20
	s_delay_alu instid0(SALU_CYCLE_1)
	s_xor_b32 exec_lo, exec_lo, s19
	s_cbranch_execz .LBB379_12
.LBB379_60:                             ;   in Loop: Header=BB379_5 Depth=1
	v_add_f32_e64 v4, 0x46000000, |v5|
	s_and_not1_b32 s18, s18, exec_lo
	s_mov_b32 s20, 0
	s_delay_alu instid0(VALU_DEP_1) | instskip(NEXT) | instid1(VALU_DEP_1)
	v_and_b32_e32 v6, 0xff, v4
	v_cmp_ne_u32_e32 vcc_lo, 0, v6
	s_and_b32 s21, vcc_lo, exec_lo
	s_delay_alu instid0(SALU_CYCLE_1)
	s_or_b32 s18, s18, s21
	s_or_b32 exec_lo, exec_lo, s19
	v_mov_b32_e32 v4, s20
	s_and_saveexec_b32 s19, s18
	s_cbranch_execnz .LBB379_13
	s_branch .LBB379_14
.LBB379_61:                             ;   in Loop: Header=BB379_5 Depth=1
	v_bfe_u32 v5, v6, 20, 1
	s_mov_b32 s18, exec_lo
	s_delay_alu instid0(VALU_DEP_1) | instskip(NEXT) | instid1(VALU_DEP_1)
	v_add3_u32 v5, v6, v5, 0x487ffff
	v_lshrrev_b32_e32 v7, 20, v5
	s_or_saveexec_b32 s19, s19
                                        ; implicit-def: $sgpr20
	s_delay_alu instid0(SALU_CYCLE_1)
	s_xor_b32 exec_lo, exec_lo, s19
	s_cbranch_execz .LBB379_22
.LBB379_62:                             ;   in Loop: Header=BB379_5 Depth=1
	v_add_f32_e64 v5, 0x46000000, |v6|
	s_and_not1_b32 s18, s18, exec_lo
	s_mov_b32 s20, 0
	s_delay_alu instid0(VALU_DEP_1) | instskip(NEXT) | instid1(VALU_DEP_1)
	v_and_b32_e32 v7, 0xff, v5
	v_cmp_ne_u32_e32 vcc_lo, 0, v7
	s_and_b32 s21, vcc_lo, exec_lo
	s_delay_alu instid0(SALU_CYCLE_1)
	s_or_b32 s18, s18, s21
	s_or_b32 exec_lo, exec_lo, s19
	v_mov_b32_e32 v5, s20
	s_and_saveexec_b32 s19, s18
	s_cbranch_execnz .LBB379_23
	s_branch .LBB379_24
.LBB379_63:                             ;   in Loop: Header=BB379_5 Depth=1
	v_bfe_u32 v6, v7, 20, 1
	s_mov_b32 s18, exec_lo
	s_delay_alu instid0(VALU_DEP_1) | instskip(NEXT) | instid1(VALU_DEP_1)
	v_add3_u32 v6, v7, v6, 0x487ffff
	v_lshrrev_b32_e32 v8, 20, v6
	s_or_saveexec_b32 s19, s19
                                        ; implicit-def: $sgpr20
	s_delay_alu instid0(SALU_CYCLE_1)
	s_xor_b32 exec_lo, exec_lo, s19
	s_cbranch_execz .LBB379_32
.LBB379_64:                             ;   in Loop: Header=BB379_5 Depth=1
	v_add_f32_e64 v6, 0x46000000, |v7|
	s_and_not1_b32 s18, s18, exec_lo
	s_mov_b32 s20, 0
	s_delay_alu instid0(VALU_DEP_1) | instskip(NEXT) | instid1(VALU_DEP_1)
	v_and_b32_e32 v8, 0xff, v6
	v_cmp_ne_u32_e32 vcc_lo, 0, v8
	s_and_b32 s21, vcc_lo, exec_lo
	s_delay_alu instid0(SALU_CYCLE_1)
	s_or_b32 s18, s18, s21
	s_or_b32 exec_lo, exec_lo, s19
	v_mov_b32_e32 v6, s20
	s_and_saveexec_b32 s19, s18
	s_cbranch_execnz .LBB379_33
	s_branch .LBB379_34
.LBB379_65:                             ;   in Loop: Header=BB379_5 Depth=1
	v_bfe_u32 v3, v7, 20, 1
	s_mov_b32 s18, exec_lo
	s_delay_alu instid0(VALU_DEP_1) | instskip(NEXT) | instid1(VALU_DEP_1)
	v_add3_u32 v3, v7, v3, 0x487ffff
	v_lshrrev_b32_e32 v3, 20, v3
	s_or_saveexec_b32 s19, s19
                                        ; implicit-def: $sgpr20
	s_delay_alu instid0(SALU_CYCLE_1)
	s_xor_b32 exec_lo, exec_lo, s19
	s_cbranch_execz .LBB379_42
.LBB379_66:                             ;   in Loop: Header=BB379_5 Depth=1
	v_add_f32_e64 v3, 0x46000000, |v7|
	s_and_not1_b32 s18, s18, exec_lo
	s_mov_b32 s20, 0
	s_delay_alu instid0(VALU_DEP_1) | instskip(NEXT) | instid1(VALU_DEP_1)
	v_and_b32_e32 v3, 0xff, v3
	v_cmp_ne_u32_e32 vcc_lo, 0, v3
	s_and_b32 s21, vcc_lo, exec_lo
	s_delay_alu instid0(SALU_CYCLE_1)
	s_or_b32 s18, s18, s21
	s_or_b32 exec_lo, exec_lo, s19
	v_mov_b32_e32 v8, s20
	s_and_saveexec_b32 s19, s18
	s_cbranch_execz .LBB379_3
.LBB379_67:                             ;   in Loop: Header=BB379_5 Depth=1
	v_lshrrev_b32_e32 v7, 24, v7
	s_delay_alu instid0(VALU_DEP_1)
	v_and_or_b32 v8, 0x80, v7, v3
	s_branch .LBB379_3
.LBB379_68:
	s_or_b32 exec_lo, exec_lo, s15
	s_mov_b32 s2, 0
.LBB379_69:
	s_delay_alu instid0(SALU_CYCLE_1)
	s_and_not1_b32 vcc_lo, exec_lo, s2
	s_cbranch_vccnz .LBB379_153
; %bb.70:
	v_cmp_lt_i64_e64 s2, s[4:5], 1
	s_delay_alu instid0(VALU_DEP_1)
	s_and_b32 vcc_lo, exec_lo, s2
	s_cbranch_vccnz .LBB379_153
; %bb.71:
	s_load_b32 s0, s[0:1], 0xc5c
	v_add_co_u32 v1, s1, s10, v0
	s_delay_alu instid0(VALU_DEP_1) | instskip(SKIP_1) | instid1(VALU_DEP_3)
	v_add_co_ci_u32_e64 v2, null, s11, 0, s1
	v_cmp_gt_u64_e64 s1, 0x10000, s[4:5]
	v_add_co_u32 v9, vcc_lo, s6, v1
	s_delay_alu instid0(VALU_DEP_3)
	v_add_co_ci_u32_e32 v10, vcc_lo, s7, v2, vcc_lo
	v_add_co_u32 v11, vcc_lo, s8, v1
	v_add_co_ci_u32_e32 v12, vcc_lo, s9, v2, vcc_lo
                                        ; implicit-def: $vgpr31
                                        ; implicit-def: $vgpr32
                                        ; implicit-def: $vgpr33
                                        ; implicit-def: $vgpr34
	s_waitcnt lgkmcnt(0)
	s_and_b32 s0, s0, 0xffff
	s_and_b32 s1, s1, exec_lo
	s_mul_i32 s13, s0, 3
	s_cselect_b32 s3, s5, 0
	s_cselect_b32 s2, s4, 0x10000
	s_lshl_b32 s12, s0, 1
	s_lshl_b32 s1, s0, 2
	s_add_u32 s14, s10, s13
	s_addc_u32 s15, s11, 0
	v_add_co_u32 v3, s14, s14, v0
	s_delay_alu instid0(VALU_DEP_1) | instskip(SKIP_1) | instid1(VALU_DEP_2)
	v_add_co_ci_u32_e64 v4, null, s15, 0, s14
	s_add_u32 s10, s10, s12
	v_add_co_u32 v13, vcc_lo, s6, v3
	s_delay_alu instid0(VALU_DEP_2)
	v_add_co_ci_u32_e32 v14, vcc_lo, s7, v4, vcc_lo
	v_add_co_u32 v15, vcc_lo, s8, v3
	s_addc_u32 s11, s11, 0
	v_add_co_u32 v3, s10, s10, v0
	v_add_co_ci_u32_e32 v16, vcc_lo, s9, v4, vcc_lo
	v_add_co_ci_u32_e64 v4, null, s11, 0, s10
	s_delay_alu instid0(VALU_DEP_3) | instskip(SKIP_1) | instid1(VALU_DEP_3)
	v_add_co_u32 v19, vcc_lo, s6, v3
	v_add_co_u32 v17, s10, s13, v0
	v_add_co_ci_u32_e32 v20, vcc_lo, s7, v4, vcc_lo
	v_add_co_u32 v21, vcc_lo, s8, v3
	v_add_co_ci_u32_e32 v22, vcc_lo, s9, v4, vcc_lo
	v_add_co_u32 v1, vcc_lo, v1, s0
	v_add_co_ci_u32_e32 v2, vcc_lo, 0, v2, vcc_lo
	v_add_co_ci_u32_e64 v18, null, 0, 0, s10
	s_delay_alu instid0(VALU_DEP_3) | instskip(NEXT) | instid1(VALU_DEP_3)
	v_add_co_u32 v25, vcc_lo, s6, v1
	v_add_co_ci_u32_e32 v26, vcc_lo, s7, v2, vcc_lo
	v_add_co_u32 v23, s10, s12, v0
	v_add_co_u32 v27, vcc_lo, s8, v1
	v_add_co_u32 v29, s0, v0, s0
	v_add_co_ci_u32_e64 v24, null, 0, 0, s10
	v_add_co_ci_u32_e32 v28, vcc_lo, s9, v2, vcc_lo
	v_add_co_ci_u32_e64 v30, null, 0, 0, s0
	s_mov_b64 s[6:7], 0
	s_branch .LBB379_73
.LBB379_72:                             ;   in Loop: Header=BB379_73 Depth=1
	s_or_b32 exec_lo, exec_lo, s0
	s_add_u32 s6, s6, s1
	s_addc_u32 s7, s7, 0
	s_delay_alu instid0(SALU_CYCLE_1) | instskip(SKIP_1) | instid1(VALU_DEP_1)
	v_cmp_ge_i64_e64 s0, s[6:7], s[4:5]
	v_cmp_lt_u64_e64 s8, 0xffff, s[6:7]
	s_or_b32 s0, s0, s8
	s_delay_alu instid0(SALU_CYCLE_1)
	s_and_b32 vcc_lo, exec_lo, s0
	s_cbranch_vccnz .LBB379_153
.LBB379_73:                             ; =>This Inner Loop Header: Depth=1
	v_add_co_u32 v1, s0, v0, s6
	s_delay_alu instid0(VALU_DEP_1) | instskip(NEXT) | instid1(VALU_DEP_1)
	v_add_co_ci_u32_e64 v2, null, 0, s7, s0
	v_cmp_gt_i64_e32 vcc_lo, s[4:5], v[1:2]
	v_cmp_gt_u64_e64 s0, 0x10000, v[1:2]
	s_delay_alu instid0(VALU_DEP_1) | instskip(NEXT) | instid1(SALU_CYCLE_1)
	s_and_b32 s8, vcc_lo, s0
	s_and_saveexec_b32 s0, s8
	s_cbranch_execz .LBB379_75
; %bb.74:                               ;   in Loop: Header=BB379_73 Depth=1
	v_add_co_u32 v3, vcc_lo, v9, s6
	v_add_co_ci_u32_e32 v4, vcc_lo, s7, v10, vcc_lo
	global_load_u8 v34, v[3:4], off
.LBB379_75:                             ;   in Loop: Header=BB379_73 Depth=1
	s_or_b32 exec_lo, exec_lo, s0
	v_add_co_u32 v3, vcc_lo, v29, s6
	v_add_co_ci_u32_e32 v4, vcc_lo, s7, v30, vcc_lo
	s_delay_alu instid0(VALU_DEP_1) | instskip(SKIP_1) | instid1(VALU_DEP_1)
	v_cmp_gt_i64_e32 vcc_lo, s[4:5], v[3:4]
	v_cmp_gt_u64_e64 s0, 0x10000, v[3:4]
	s_and_b32 s8, vcc_lo, s0
	s_delay_alu instid0(SALU_CYCLE_1)
	s_and_saveexec_b32 s0, s8
	s_cbranch_execz .LBB379_77
; %bb.76:                               ;   in Loop: Header=BB379_73 Depth=1
	v_add_co_u32 v5, vcc_lo, v25, s6
	v_add_co_ci_u32_e32 v6, vcc_lo, s7, v26, vcc_lo
	global_load_u8 v33, v[5:6], off
.LBB379_77:                             ;   in Loop: Header=BB379_73 Depth=1
	s_or_b32 exec_lo, exec_lo, s0
	v_add_co_u32 v5, vcc_lo, v23, s6
	v_add_co_ci_u32_e32 v6, vcc_lo, s7, v24, vcc_lo
	s_delay_alu instid0(VALU_DEP_1) | instskip(SKIP_1) | instid1(VALU_DEP_1)
	v_cmp_gt_i64_e32 vcc_lo, s[4:5], v[5:6]
	v_cmp_gt_u64_e64 s0, 0x10000, v[5:6]
	s_and_b32 s8, vcc_lo, s0
	s_delay_alu instid0(SALU_CYCLE_1)
	;; [unrolled: 15-line block ×3, first 2 shown]
	s_and_saveexec_b32 s0, s8
	s_cbranch_execz .LBB379_81
; %bb.80:                               ;   in Loop: Header=BB379_73 Depth=1
	v_add_co_u32 v35, vcc_lo, v13, s6
	v_add_co_ci_u32_e32 v36, vcc_lo, s7, v14, vcc_lo
	global_load_u8 v31, v[35:36], off
.LBB379_81:                             ;   in Loop: Header=BB379_73 Depth=1
	s_or_b32 exec_lo, exec_lo, s0
	s_waitcnt vmcnt(0)
	v_and_b32_e32 v35, 0xff, v34
	s_mov_b32 s0, 0
	s_mov_b32 s9, exec_lo
                                        ; implicit-def: $sgpr8
	s_delay_alu instid0(VALU_DEP_1)
	v_cmpx_lt_i16_e32 0x7f, v35
	s_xor_b32 s9, exec_lo, s9
	s_cbranch_execnz .LBB379_125
; %bb.82:                               ;   in Loop: Header=BB379_73 Depth=1
	s_or_saveexec_b32 s9, s9
	v_mov_b32_e32 v36, s8
	s_xor_b32 exec_lo, exec_lo, s9
	s_cbranch_execnz .LBB379_128
.LBB379_83:                             ;   in Loop: Header=BB379_73 Depth=1
	s_or_b32 exec_lo, exec_lo, s9
	s_and_saveexec_b32 s8, s0
	s_cbranch_execz .LBB379_85
.LBB379_84:                             ;   in Loop: Header=BB379_73 Depth=1
	v_lshrrev_b16 v38, 2, v34
	v_lshlrev_b32_e32 v39, 24, v34
	s_delay_alu instid0(VALU_DEP_2) | instskip(NEXT) | instid1(VALU_DEP_1)
	v_and_b32_e32 v38, 31, v38
	v_cmp_eq_u32_e32 vcc_lo, 0, v38
	v_and_b32_e32 v35, 3, v34
	s_delay_alu instid0(VALU_DEP_1) | instskip(NEXT) | instid1(VALU_DEP_1)
	v_clz_i32_u32_e32 v36, v35
	v_min_u32_e32 v36, 32, v36
	s_delay_alu instid0(VALU_DEP_1) | instskip(SKIP_1) | instid1(VALU_DEP_1)
	v_subrev_nc_u32_e32 v37, 29, v36
	v_sub_nc_u32_e32 v36, 30, v36
	v_dual_cndmask_b32 v36, v38, v36 :: v_dual_lshlrev_b32 v37, v37, v34
	s_delay_alu instid0(VALU_DEP_1) | instskip(NEXT) | instid1(VALU_DEP_2)
	v_and_b32_e32 v37, 3, v37
	v_lshl_add_u32 v36, v36, 23, 0x37800000
	s_delay_alu instid0(VALU_DEP_2) | instskip(SKIP_1) | instid1(VALU_DEP_2)
	v_cndmask_b32_e32 v35, v35, v37, vcc_lo
	v_and_b32_e32 v37, 0x80000000, v39
	v_lshlrev_b32_e32 v35, 21, v35
	s_delay_alu instid0(VALU_DEP_1)
	v_or3_b32 v36, v37, v36, v35
.LBB379_85:                             ;   in Loop: Header=BB379_73 Depth=1
	s_or_b32 exec_lo, exec_lo, s8
	s_delay_alu instid0(VALU_DEP_1) | instskip(SKIP_2) | instid1(VALU_DEP_2)
	v_and_b32_e32 v37, 0x7fffffff, v36
	v_mov_b32_e32 v35, 0x80
	s_mov_b32 s0, exec_lo
	v_cmpx_gt_u32_e32 0x43800000, v37
	s_cbranch_execz .LBB379_91
; %bb.86:                               ;   in Loop: Header=BB379_73 Depth=1
	v_cmp_lt_u32_e32 vcc_lo, 0x3bffffff, v37
	s_mov_b32 s8, 0
                                        ; implicit-def: $vgpr37
	s_and_saveexec_b32 s9, vcc_lo
	s_delay_alu instid0(SALU_CYCLE_1)
	s_xor_b32 s9, exec_lo, s9
	s_cbranch_execnz .LBB379_145
; %bb.87:                               ;   in Loop: Header=BB379_73 Depth=1
	s_or_saveexec_b32 s9, s9
                                        ; implicit-def: $sgpr10
	s_delay_alu instid0(SALU_CYCLE_1)
	s_xor_b32 exec_lo, exec_lo, s9
	s_cbranch_execnz .LBB379_146
.LBB379_88:                             ;   in Loop: Header=BB379_73 Depth=1
	s_or_b32 exec_lo, exec_lo, s9
	v_mov_b32_e32 v35, s10
	s_and_saveexec_b32 s9, s8
.LBB379_89:                             ;   in Loop: Header=BB379_73 Depth=1
	v_lshrrev_b32_e32 v35, 24, v36
	s_delay_alu instid0(VALU_DEP_1)
	v_and_or_b32 v35, 0x80, v35, v37
.LBB379_90:                             ;   in Loop: Header=BB379_73 Depth=1
	s_or_b32 exec_lo, exec_lo, s9
.LBB379_91:                             ;   in Loop: Header=BB379_73 Depth=1
	s_delay_alu instid0(SALU_CYCLE_1) | instskip(SKIP_3) | instid1(VALU_DEP_1)
	s_or_b32 exec_lo, exec_lo, s0
	v_and_b32_e32 v36, 0xff, v33
	s_mov_b32 s0, 0
	s_mov_b32 s9, exec_lo
                                        ; implicit-def: $sgpr8
	v_cmpx_lt_i16_e32 0x7f, v36
	s_xor_b32 s9, exec_lo, s9
	s_cbranch_execnz .LBB379_129
; %bb.92:                               ;   in Loop: Header=BB379_73 Depth=1
	s_or_saveexec_b32 s9, s9
	v_mov_b32_e32 v37, s8
	s_xor_b32 exec_lo, exec_lo, s9
	s_cbranch_execnz .LBB379_132
.LBB379_93:                             ;   in Loop: Header=BB379_73 Depth=1
	s_or_b32 exec_lo, exec_lo, s9
	s_and_saveexec_b32 s8, s0
	s_cbranch_execz .LBB379_95
.LBB379_94:                             ;   in Loop: Header=BB379_73 Depth=1
	v_and_b32_e32 v36, 3, v33
	v_lshrrev_b16 v39, 2, v33
	v_lshlrev_b32_e32 v40, 24, v33
	s_delay_alu instid0(VALU_DEP_3) | instskip(NEXT) | instid1(VALU_DEP_1)
	v_clz_i32_u32_e32 v37, v36
	v_min_u32_e32 v37, 32, v37
	s_delay_alu instid0(VALU_DEP_1) | instskip(SKIP_1) | instid1(VALU_DEP_2)
	v_subrev_nc_u32_e32 v38, 29, v37
	v_sub_nc_u32_e32 v37, 30, v37
	v_lshlrev_b32_e32 v38, v38, v33
	s_delay_alu instid0(VALU_DEP_1) | instskip(SKIP_1) | instid1(VALU_DEP_1)
	v_and_b32_e32 v38, 3, v38
	v_and_b32_e32 v39, 31, v39
	v_cmp_eq_u32_e32 vcc_lo, 0, v39
	s_delay_alu instid0(VALU_DEP_3) | instskip(SKIP_1) | instid1(VALU_DEP_2)
	v_dual_cndmask_b32 v36, v36, v38 :: v_dual_cndmask_b32 v37, v39, v37
	v_and_b32_e32 v38, 0x80000000, v40
	v_lshlrev_b32_e32 v36, 21, v36
	s_delay_alu instid0(VALU_DEP_3) | instskip(NEXT) | instid1(VALU_DEP_1)
	v_lshl_add_u32 v37, v37, 23, 0x37800000
	v_or3_b32 v37, v38, v37, v36
.LBB379_95:                             ;   in Loop: Header=BB379_73 Depth=1
	s_or_b32 exec_lo, exec_lo, s8
	s_delay_alu instid0(VALU_DEP_1) | instskip(SKIP_2) | instid1(VALU_DEP_2)
	v_and_b32_e32 v38, 0x7fffffff, v37
	v_mov_b32_e32 v36, 0x80
	s_mov_b32 s0, exec_lo
	v_cmpx_gt_u32_e32 0x43800000, v38
	s_cbranch_execz .LBB379_101
; %bb.96:                               ;   in Loop: Header=BB379_73 Depth=1
	v_cmp_lt_u32_e32 vcc_lo, 0x3bffffff, v38
	s_mov_b32 s8, 0
                                        ; implicit-def: $vgpr38
	s_and_saveexec_b32 s9, vcc_lo
	s_delay_alu instid0(SALU_CYCLE_1)
	s_xor_b32 s9, exec_lo, s9
	s_cbranch_execnz .LBB379_147
; %bb.97:                               ;   in Loop: Header=BB379_73 Depth=1
	s_or_saveexec_b32 s9, s9
                                        ; implicit-def: $sgpr10
	s_delay_alu instid0(SALU_CYCLE_1)
	s_xor_b32 exec_lo, exec_lo, s9
	s_cbranch_execnz .LBB379_148
.LBB379_98:                             ;   in Loop: Header=BB379_73 Depth=1
	s_or_b32 exec_lo, exec_lo, s9
	v_mov_b32_e32 v36, s10
	s_and_saveexec_b32 s9, s8
.LBB379_99:                             ;   in Loop: Header=BB379_73 Depth=1
	v_lshrrev_b32_e32 v36, 24, v37
	s_delay_alu instid0(VALU_DEP_1)
	v_and_or_b32 v36, 0x80, v36, v38
.LBB379_100:                            ;   in Loop: Header=BB379_73 Depth=1
	s_or_b32 exec_lo, exec_lo, s9
.LBB379_101:                            ;   in Loop: Header=BB379_73 Depth=1
	s_delay_alu instid0(SALU_CYCLE_1) | instskip(SKIP_3) | instid1(VALU_DEP_1)
	s_or_b32 exec_lo, exec_lo, s0
	v_and_b32_e32 v37, 0xff, v32
	s_mov_b32 s0, 0
	s_mov_b32 s9, exec_lo
                                        ; implicit-def: $sgpr8
	v_cmpx_lt_i16_e32 0x7f, v37
	s_xor_b32 s9, exec_lo, s9
	s_cbranch_execnz .LBB379_133
; %bb.102:                              ;   in Loop: Header=BB379_73 Depth=1
	s_or_saveexec_b32 s9, s9
	v_mov_b32_e32 v38, s8
	s_xor_b32 exec_lo, exec_lo, s9
	s_cbranch_execnz .LBB379_136
.LBB379_103:                            ;   in Loop: Header=BB379_73 Depth=1
	s_or_b32 exec_lo, exec_lo, s9
	s_and_saveexec_b32 s8, s0
	s_cbranch_execz .LBB379_105
.LBB379_104:                            ;   in Loop: Header=BB379_73 Depth=1
	v_lshrrev_b16 v40, 2, v32
	v_lshlrev_b32_e32 v41, 24, v32
	s_delay_alu instid0(VALU_DEP_2) | instskip(NEXT) | instid1(VALU_DEP_1)
	v_and_b32_e32 v40, 31, v40
	v_cmp_eq_u32_e32 vcc_lo, 0, v40
	v_and_b32_e32 v37, 3, v32
	s_delay_alu instid0(VALU_DEP_1) | instskip(NEXT) | instid1(VALU_DEP_1)
	v_clz_i32_u32_e32 v38, v37
	v_min_u32_e32 v38, 32, v38
	s_delay_alu instid0(VALU_DEP_1) | instskip(SKIP_1) | instid1(VALU_DEP_1)
	v_subrev_nc_u32_e32 v39, 29, v38
	v_sub_nc_u32_e32 v38, 30, v38
	v_dual_cndmask_b32 v38, v40, v38 :: v_dual_lshlrev_b32 v39, v39, v32
	s_delay_alu instid0(VALU_DEP_1) | instskip(NEXT) | instid1(VALU_DEP_2)
	v_and_b32_e32 v39, 3, v39
	v_lshl_add_u32 v38, v38, 23, 0x37800000
	s_delay_alu instid0(VALU_DEP_2) | instskip(SKIP_1) | instid1(VALU_DEP_2)
	v_cndmask_b32_e32 v37, v37, v39, vcc_lo
	v_and_b32_e32 v39, 0x80000000, v41
	v_lshlrev_b32_e32 v37, 21, v37
	s_delay_alu instid0(VALU_DEP_1)
	v_or3_b32 v38, v39, v38, v37
.LBB379_105:                            ;   in Loop: Header=BB379_73 Depth=1
	s_or_b32 exec_lo, exec_lo, s8
	s_delay_alu instid0(VALU_DEP_1) | instskip(SKIP_2) | instid1(VALU_DEP_2)
	v_and_b32_e32 v39, 0x7fffffff, v38
	v_mov_b32_e32 v37, 0x80
	s_mov_b32 s0, exec_lo
	v_cmpx_gt_u32_e32 0x43800000, v39
	s_cbranch_execz .LBB379_111
; %bb.106:                              ;   in Loop: Header=BB379_73 Depth=1
	v_cmp_lt_u32_e32 vcc_lo, 0x3bffffff, v39
	s_mov_b32 s8, 0
                                        ; implicit-def: $vgpr39
	s_and_saveexec_b32 s9, vcc_lo
	s_delay_alu instid0(SALU_CYCLE_1)
	s_xor_b32 s9, exec_lo, s9
	s_cbranch_execnz .LBB379_149
; %bb.107:                              ;   in Loop: Header=BB379_73 Depth=1
	s_or_saveexec_b32 s9, s9
                                        ; implicit-def: $sgpr10
	s_delay_alu instid0(SALU_CYCLE_1)
	s_xor_b32 exec_lo, exec_lo, s9
	s_cbranch_execnz .LBB379_150
.LBB379_108:                            ;   in Loop: Header=BB379_73 Depth=1
	s_or_b32 exec_lo, exec_lo, s9
	v_mov_b32_e32 v37, s10
	s_and_saveexec_b32 s9, s8
.LBB379_109:                            ;   in Loop: Header=BB379_73 Depth=1
	v_lshrrev_b32_e32 v37, 24, v38
	s_delay_alu instid0(VALU_DEP_1)
	v_and_or_b32 v37, 0x80, v37, v39
.LBB379_110:                            ;   in Loop: Header=BB379_73 Depth=1
	s_or_b32 exec_lo, exec_lo, s9
.LBB379_111:                            ;   in Loop: Header=BB379_73 Depth=1
	s_delay_alu instid0(SALU_CYCLE_1) | instskip(SKIP_3) | instid1(VALU_DEP_1)
	s_or_b32 exec_lo, exec_lo, s0
	v_and_b32_e32 v39, 0xff, v31
	s_mov_b32 s0, 0
	s_mov_b32 s9, exec_lo
                                        ; implicit-def: $sgpr8
	v_cmpx_lt_i16_e32 0x7f, v39
	s_xor_b32 s9, exec_lo, s9
	s_cbranch_execnz .LBB379_137
; %bb.112:                              ;   in Loop: Header=BB379_73 Depth=1
	s_or_saveexec_b32 s9, s9
	v_mov_b32_e32 v38, s8
	s_xor_b32 exec_lo, exec_lo, s9
	s_cbranch_execnz .LBB379_140
.LBB379_113:                            ;   in Loop: Header=BB379_73 Depth=1
	s_or_b32 exec_lo, exec_lo, s9
	s_and_saveexec_b32 s8, s0
	s_cbranch_execz .LBB379_115
.LBB379_114:                            ;   in Loop: Header=BB379_73 Depth=1
	v_and_b32_e32 v38, 3, v31
	v_lshrrev_b16 v41, 2, v31
	v_lshlrev_b32_e32 v42, 24, v31
	s_delay_alu instid0(VALU_DEP_3) | instskip(NEXT) | instid1(VALU_DEP_1)
	v_clz_i32_u32_e32 v39, v38
	v_min_u32_e32 v39, 32, v39
	s_delay_alu instid0(VALU_DEP_1) | instskip(SKIP_1) | instid1(VALU_DEP_2)
	v_subrev_nc_u32_e32 v40, 29, v39
	v_sub_nc_u32_e32 v39, 30, v39
	v_lshlrev_b32_e32 v40, v40, v31
	s_delay_alu instid0(VALU_DEP_1) | instskip(SKIP_1) | instid1(VALU_DEP_1)
	v_and_b32_e32 v40, 3, v40
	v_and_b32_e32 v41, 31, v41
	v_cmp_eq_u32_e32 vcc_lo, 0, v41
	s_delay_alu instid0(VALU_DEP_3) | instskip(SKIP_1) | instid1(VALU_DEP_2)
	v_dual_cndmask_b32 v38, v38, v40 :: v_dual_cndmask_b32 v39, v41, v39
	v_and_b32_e32 v40, 0x80000000, v42
	v_lshlrev_b32_e32 v38, 21, v38
	s_delay_alu instid0(VALU_DEP_3) | instskip(NEXT) | instid1(VALU_DEP_1)
	v_lshl_add_u32 v39, v39, 23, 0x37800000
	v_or3_b32 v38, v40, v39, v38
.LBB379_115:                            ;   in Loop: Header=BB379_73 Depth=1
	s_or_b32 exec_lo, exec_lo, s8
	s_delay_alu instid0(VALU_DEP_1) | instskip(SKIP_2) | instid1(VALU_DEP_2)
	v_and_b32_e32 v40, 0x7fffffff, v38
	v_mov_b32_e32 v39, 0x80
	s_mov_b32 s0, exec_lo
	v_cmpx_gt_u32_e32 0x43800000, v40
	s_cbranch_execz .LBB379_121
; %bb.116:                              ;   in Loop: Header=BB379_73 Depth=1
	v_cmp_lt_u32_e32 vcc_lo, 0x3bffffff, v40
	s_mov_b32 s8, 0
                                        ; implicit-def: $vgpr40
	s_and_saveexec_b32 s9, vcc_lo
	s_delay_alu instid0(SALU_CYCLE_1)
	s_xor_b32 s9, exec_lo, s9
	s_cbranch_execnz .LBB379_151
; %bb.117:                              ;   in Loop: Header=BB379_73 Depth=1
	s_or_saveexec_b32 s9, s9
                                        ; implicit-def: $sgpr10
	s_delay_alu instid0(SALU_CYCLE_1)
	s_xor_b32 exec_lo, exec_lo, s9
	s_cbranch_execnz .LBB379_152
.LBB379_118:                            ;   in Loop: Header=BB379_73 Depth=1
	s_or_b32 exec_lo, exec_lo, s9
	v_mov_b32_e32 v39, s10
	s_and_saveexec_b32 s9, s8
.LBB379_119:                            ;   in Loop: Header=BB379_73 Depth=1
	v_lshrrev_b32_e32 v38, 24, v38
	s_delay_alu instid0(VALU_DEP_1)
	v_and_or_b32 v39, 0x80, v38, v40
.LBB379_120:                            ;   in Loop: Header=BB379_73 Depth=1
	s_or_b32 exec_lo, exec_lo, s9
.LBB379_121:                            ;   in Loop: Header=BB379_73 Depth=1
	s_delay_alu instid0(SALU_CYCLE_1) | instskip(NEXT) | instid1(SALU_CYCLE_1)
	s_or_b32 exec_lo, exec_lo, s0
	s_mov_b32 s0, exec_lo
	v_cmpx_gt_u64_e64 s[2:3], v[1:2]
	s_xor_b32 s0, exec_lo, s0
	s_cbranch_execnz .LBB379_141
; %bb.122:                              ;   in Loop: Header=BB379_73 Depth=1
	s_or_b32 exec_lo, exec_lo, s0
	s_delay_alu instid0(SALU_CYCLE_1)
	s_mov_b32 s0, exec_lo
	v_cmpx_gt_u64_e64 s[2:3], v[3:4]
	s_cbranch_execnz .LBB379_142
.LBB379_123:                            ;   in Loop: Header=BB379_73 Depth=1
	s_or_b32 exec_lo, exec_lo, s0
	s_delay_alu instid0(SALU_CYCLE_1)
	s_mov_b32 s0, exec_lo
	v_cmpx_gt_u64_e64 s[2:3], v[5:6]
	s_cbranch_execnz .LBB379_143
.LBB379_124:                            ;   in Loop: Header=BB379_73 Depth=1
	s_or_b32 exec_lo, exec_lo, s0
	s_delay_alu instid0(SALU_CYCLE_1)
	s_mov_b32 s0, exec_lo
	v_cmpx_gt_u64_e64 s[2:3], v[7:8]
	s_cbranch_execz .LBB379_72
	s_branch .LBB379_144
.LBB379_125:                            ;   in Loop: Header=BB379_73 Depth=1
	s_mov_b32 s0, -1
	s_mov_b32 s10, exec_lo
                                        ; implicit-def: $sgpr8
	v_cmpx_eq_u16_e32 0x80, v35
; %bb.126:                              ;   in Loop: Header=BB379_73 Depth=1
	s_mov_b32 s8, 0x7f800001
	s_xor_b32 s0, exec_lo, -1
; %bb.127:                              ;   in Loop: Header=BB379_73 Depth=1
	s_or_b32 exec_lo, exec_lo, s10
	s_delay_alu instid0(SALU_CYCLE_1)
	s_and_b32 s0, s0, exec_lo
                                        ; implicit-def: $vgpr35
	s_or_saveexec_b32 s9, s9
	v_mov_b32_e32 v36, s8
	s_xor_b32 exec_lo, exec_lo, s9
	s_cbranch_execz .LBB379_83
.LBB379_128:                            ;   in Loop: Header=BB379_73 Depth=1
	v_cmp_ne_u16_e32 vcc_lo, 0, v35
	v_mov_b32_e32 v36, 0
	s_and_not1_b32 s0, s0, exec_lo
	s_and_b32 s8, vcc_lo, exec_lo
	s_delay_alu instid0(SALU_CYCLE_1)
	s_or_b32 s0, s0, s8
	s_or_b32 exec_lo, exec_lo, s9
	s_and_saveexec_b32 s8, s0
	s_cbranch_execnz .LBB379_84
	s_branch .LBB379_85
.LBB379_129:                            ;   in Loop: Header=BB379_73 Depth=1
	s_mov_b32 s0, -1
	s_mov_b32 s10, exec_lo
                                        ; implicit-def: $sgpr8
	v_cmpx_eq_u16_e32 0x80, v36
; %bb.130:                              ;   in Loop: Header=BB379_73 Depth=1
	s_mov_b32 s8, 0x7f800001
	s_xor_b32 s0, exec_lo, -1
; %bb.131:                              ;   in Loop: Header=BB379_73 Depth=1
	s_or_b32 exec_lo, exec_lo, s10
	s_delay_alu instid0(SALU_CYCLE_1)
	s_and_b32 s0, s0, exec_lo
                                        ; implicit-def: $vgpr36
	s_or_saveexec_b32 s9, s9
	v_mov_b32_e32 v37, s8
	s_xor_b32 exec_lo, exec_lo, s9
	s_cbranch_execz .LBB379_93
.LBB379_132:                            ;   in Loop: Header=BB379_73 Depth=1
	v_cmp_ne_u16_e32 vcc_lo, 0, v36
	v_mov_b32_e32 v37, 0
	s_and_not1_b32 s0, s0, exec_lo
	s_and_b32 s8, vcc_lo, exec_lo
	s_delay_alu instid0(SALU_CYCLE_1)
	s_or_b32 s0, s0, s8
	s_or_b32 exec_lo, exec_lo, s9
	s_and_saveexec_b32 s8, s0
	s_cbranch_execnz .LBB379_94
	s_branch .LBB379_95
.LBB379_133:                            ;   in Loop: Header=BB379_73 Depth=1
	s_mov_b32 s0, -1
	s_mov_b32 s10, exec_lo
                                        ; implicit-def: $sgpr8
	v_cmpx_eq_u16_e32 0x80, v37
; %bb.134:                              ;   in Loop: Header=BB379_73 Depth=1
	s_mov_b32 s8, 0x7f800001
	s_xor_b32 s0, exec_lo, -1
; %bb.135:                              ;   in Loop: Header=BB379_73 Depth=1
	s_or_b32 exec_lo, exec_lo, s10
	s_delay_alu instid0(SALU_CYCLE_1)
	s_and_b32 s0, s0, exec_lo
                                        ; implicit-def: $vgpr37
	s_or_saveexec_b32 s9, s9
	v_mov_b32_e32 v38, s8
	s_xor_b32 exec_lo, exec_lo, s9
	s_cbranch_execz .LBB379_103
.LBB379_136:                            ;   in Loop: Header=BB379_73 Depth=1
	v_cmp_ne_u16_e32 vcc_lo, 0, v37
	v_mov_b32_e32 v38, 0
	s_and_not1_b32 s0, s0, exec_lo
	s_and_b32 s8, vcc_lo, exec_lo
	s_delay_alu instid0(SALU_CYCLE_1)
	s_or_b32 s0, s0, s8
	s_or_b32 exec_lo, exec_lo, s9
	s_and_saveexec_b32 s8, s0
	s_cbranch_execnz .LBB379_104
	s_branch .LBB379_105
.LBB379_137:                            ;   in Loop: Header=BB379_73 Depth=1
	s_mov_b32 s0, -1
	s_mov_b32 s10, exec_lo
                                        ; implicit-def: $sgpr8
	v_cmpx_eq_u16_e32 0x80, v39
; %bb.138:                              ;   in Loop: Header=BB379_73 Depth=1
	s_mov_b32 s8, 0x7f800001
	s_xor_b32 s0, exec_lo, -1
; %bb.139:                              ;   in Loop: Header=BB379_73 Depth=1
	s_or_b32 exec_lo, exec_lo, s10
	s_delay_alu instid0(SALU_CYCLE_1)
	s_and_b32 s0, s0, exec_lo
                                        ; implicit-def: $vgpr39
	s_or_saveexec_b32 s9, s9
	v_mov_b32_e32 v38, s8
	s_xor_b32 exec_lo, exec_lo, s9
	s_cbranch_execz .LBB379_113
.LBB379_140:                            ;   in Loop: Header=BB379_73 Depth=1
	v_cmp_ne_u16_e32 vcc_lo, 0, v39
	v_mov_b32_e32 v38, 0
	s_and_not1_b32 s0, s0, exec_lo
	s_and_b32 s8, vcc_lo, exec_lo
	s_delay_alu instid0(SALU_CYCLE_1)
	s_or_b32 s0, s0, s8
	s_or_b32 exec_lo, exec_lo, s9
	s_and_saveexec_b32 s8, s0
	s_cbranch_execnz .LBB379_114
	s_branch .LBB379_115
.LBB379_141:                            ;   in Loop: Header=BB379_73 Depth=1
	v_add_co_u32 v1, vcc_lo, v11, s6
	v_add_co_ci_u32_e32 v2, vcc_lo, s7, v12, vcc_lo
	global_store_b8 v[1:2], v35, off
	s_or_b32 exec_lo, exec_lo, s0
	s_delay_alu instid0(SALU_CYCLE_1)
	s_mov_b32 s0, exec_lo
	v_cmpx_gt_u64_e64 s[2:3], v[3:4]
	s_cbranch_execz .LBB379_123
.LBB379_142:                            ;   in Loop: Header=BB379_73 Depth=1
	v_add_co_u32 v1, vcc_lo, v27, s6
	v_add_co_ci_u32_e32 v2, vcc_lo, s7, v28, vcc_lo
	global_store_b8 v[1:2], v36, off
	s_or_b32 exec_lo, exec_lo, s0
	s_delay_alu instid0(SALU_CYCLE_1)
	s_mov_b32 s0, exec_lo
	v_cmpx_gt_u64_e64 s[2:3], v[5:6]
	s_cbranch_execz .LBB379_124
.LBB379_143:                            ;   in Loop: Header=BB379_73 Depth=1
	v_add_co_u32 v1, vcc_lo, v21, s6
	v_add_co_ci_u32_e32 v2, vcc_lo, s7, v22, vcc_lo
	global_store_b8 v[1:2], v37, off
	s_or_b32 exec_lo, exec_lo, s0
	s_delay_alu instid0(SALU_CYCLE_1)
	s_mov_b32 s0, exec_lo
	v_cmpx_gt_u64_e64 s[2:3], v[7:8]
	s_cbranch_execz .LBB379_72
.LBB379_144:                            ;   in Loop: Header=BB379_73 Depth=1
	v_add_co_u32 v1, vcc_lo, v15, s6
	v_add_co_ci_u32_e32 v2, vcc_lo, s7, v16, vcc_lo
	global_store_b8 v[1:2], v39, off
	s_branch .LBB379_72
.LBB379_145:                            ;   in Loop: Header=BB379_73 Depth=1
	v_bfe_u32 v35, v36, 20, 1
	s_mov_b32 s8, exec_lo
	s_delay_alu instid0(VALU_DEP_1) | instskip(NEXT) | instid1(VALU_DEP_1)
	v_add3_u32 v35, v36, v35, 0x487ffff
	v_lshrrev_b32_e32 v37, 20, v35
	s_or_saveexec_b32 s9, s9
                                        ; implicit-def: $sgpr10
	s_delay_alu instid0(SALU_CYCLE_1)
	s_xor_b32 exec_lo, exec_lo, s9
	s_cbranch_execz .LBB379_88
.LBB379_146:                            ;   in Loop: Header=BB379_73 Depth=1
	v_add_f32_e64 v35, 0x46000000, |v36|
	s_and_not1_b32 s8, s8, exec_lo
	s_mov_b32 s10, 0
	s_delay_alu instid0(VALU_DEP_1) | instskip(NEXT) | instid1(VALU_DEP_1)
	v_and_b32_e32 v37, 0xff, v35
	v_cmp_ne_u32_e32 vcc_lo, 0, v37
	s_and_b32 s11, vcc_lo, exec_lo
	s_delay_alu instid0(SALU_CYCLE_1)
	s_or_b32 s8, s8, s11
	s_or_b32 exec_lo, exec_lo, s9
	v_mov_b32_e32 v35, s10
	s_and_saveexec_b32 s9, s8
	s_cbranch_execnz .LBB379_89
	s_branch .LBB379_90
.LBB379_147:                            ;   in Loop: Header=BB379_73 Depth=1
	v_bfe_u32 v36, v37, 20, 1
	s_mov_b32 s8, exec_lo
	s_delay_alu instid0(VALU_DEP_1) | instskip(NEXT) | instid1(VALU_DEP_1)
	v_add3_u32 v36, v37, v36, 0x487ffff
	v_lshrrev_b32_e32 v38, 20, v36
	s_or_saveexec_b32 s9, s9
                                        ; implicit-def: $sgpr10
	s_delay_alu instid0(SALU_CYCLE_1)
	s_xor_b32 exec_lo, exec_lo, s9
	s_cbranch_execz .LBB379_98
.LBB379_148:                            ;   in Loop: Header=BB379_73 Depth=1
	v_add_f32_e64 v36, 0x46000000, |v37|
	s_and_not1_b32 s8, s8, exec_lo
	s_mov_b32 s10, 0
	s_delay_alu instid0(VALU_DEP_1) | instskip(NEXT) | instid1(VALU_DEP_1)
	v_and_b32_e32 v38, 0xff, v36
	v_cmp_ne_u32_e32 vcc_lo, 0, v38
	s_and_b32 s11, vcc_lo, exec_lo
	s_delay_alu instid0(SALU_CYCLE_1)
	s_or_b32 s8, s8, s11
	s_or_b32 exec_lo, exec_lo, s9
	v_mov_b32_e32 v36, s10
	s_and_saveexec_b32 s9, s8
	s_cbranch_execnz .LBB379_99
	s_branch .LBB379_100
.LBB379_149:                            ;   in Loop: Header=BB379_73 Depth=1
	v_bfe_u32 v37, v38, 20, 1
	s_mov_b32 s8, exec_lo
	s_delay_alu instid0(VALU_DEP_1) | instskip(NEXT) | instid1(VALU_DEP_1)
	v_add3_u32 v37, v38, v37, 0x487ffff
	v_lshrrev_b32_e32 v39, 20, v37
	s_or_saveexec_b32 s9, s9
                                        ; implicit-def: $sgpr10
	s_delay_alu instid0(SALU_CYCLE_1)
	s_xor_b32 exec_lo, exec_lo, s9
	s_cbranch_execz .LBB379_108
.LBB379_150:                            ;   in Loop: Header=BB379_73 Depth=1
	v_add_f32_e64 v37, 0x46000000, |v38|
	s_and_not1_b32 s8, s8, exec_lo
	s_mov_b32 s10, 0
	s_delay_alu instid0(VALU_DEP_1) | instskip(NEXT) | instid1(VALU_DEP_1)
	v_and_b32_e32 v39, 0xff, v37
	v_cmp_ne_u32_e32 vcc_lo, 0, v39
	s_and_b32 s11, vcc_lo, exec_lo
	s_delay_alu instid0(SALU_CYCLE_1)
	s_or_b32 s8, s8, s11
	s_or_b32 exec_lo, exec_lo, s9
	v_mov_b32_e32 v37, s10
	s_and_saveexec_b32 s9, s8
	s_cbranch_execnz .LBB379_109
	s_branch .LBB379_110
.LBB379_151:                            ;   in Loop: Header=BB379_73 Depth=1
	v_bfe_u32 v39, v38, 20, 1
	s_mov_b32 s8, exec_lo
	s_delay_alu instid0(VALU_DEP_1) | instskip(NEXT) | instid1(VALU_DEP_1)
	v_add3_u32 v39, v38, v39, 0x487ffff
	v_lshrrev_b32_e32 v40, 20, v39
	s_or_saveexec_b32 s9, s9
                                        ; implicit-def: $sgpr10
	s_delay_alu instid0(SALU_CYCLE_1)
	s_xor_b32 exec_lo, exec_lo, s9
	s_cbranch_execz .LBB379_118
.LBB379_152:                            ;   in Loop: Header=BB379_73 Depth=1
	v_add_f32_e64 v39, 0x46000000, |v38|
	s_and_not1_b32 s8, s8, exec_lo
	s_mov_b32 s10, 0
	s_delay_alu instid0(VALU_DEP_1) | instskip(NEXT) | instid1(VALU_DEP_1)
	v_and_b32_e32 v40, 0xff, v39
	v_cmp_ne_u32_e32 vcc_lo, 0, v40
	s_and_b32 s11, vcc_lo, exec_lo
	s_delay_alu instid0(SALU_CYCLE_1)
	s_or_b32 s8, s8, s11
	s_or_b32 exec_lo, exec_lo, s9
	v_mov_b32_e32 v39, s10
	s_and_saveexec_b32 s9, s8
	s_cbranch_execnz .LBB379_119
	s_branch .LBB379_120
.LBB379_153:
	s_nop 0
	s_sendmsg sendmsg(MSG_DEALLOC_VGPRS)
	s_endpgm
	.section	.rodata,"a",@progbits
	.p2align	6, 0x0
	.amdhsa_kernel _ZN2at6native12_GLOBAL__N_125multi_tensor_apply_kernelINS1_18TensorListMetadataILi2EEENS1_11CopyFunctorIN3c1015Float8_e4m3fnuzENS6_15Float8_e5m2fnuzELi2ELi1ELi1EEEJNS0_4CopyIS7_S8_EEEEEvT_T0_DpT1_
		.amdhsa_group_segment_fixed_size 0
		.amdhsa_private_segment_fixed_size 0
		.amdhsa_kernarg_size 3408
		.amdhsa_user_sgpr_count 15
		.amdhsa_user_sgpr_dispatch_ptr 0
		.amdhsa_user_sgpr_queue_ptr 0
		.amdhsa_user_sgpr_kernarg_segment_ptr 1
		.amdhsa_user_sgpr_dispatch_id 0
		.amdhsa_user_sgpr_private_segment_size 0
		.amdhsa_wavefront_size32 1
		.amdhsa_uses_dynamic_stack 0
		.amdhsa_enable_private_segment 0
		.amdhsa_system_sgpr_workgroup_id_x 1
		.amdhsa_system_sgpr_workgroup_id_y 0
		.amdhsa_system_sgpr_workgroup_id_z 0
		.amdhsa_system_sgpr_workgroup_info 0
		.amdhsa_system_vgpr_workitem_id 0
		.amdhsa_next_free_vgpr 43
		.amdhsa_next_free_sgpr 22
		.amdhsa_reserve_vcc 1
		.amdhsa_float_round_mode_32 0
		.amdhsa_float_round_mode_16_64 0
		.amdhsa_float_denorm_mode_32 3
		.amdhsa_float_denorm_mode_16_64 3
		.amdhsa_dx10_clamp 1
		.amdhsa_ieee_mode 1
		.amdhsa_fp16_overflow 0
		.amdhsa_workgroup_processor_mode 1
		.amdhsa_memory_ordered 1
		.amdhsa_forward_progress 0
		.amdhsa_shared_vgpr_count 0
		.amdhsa_exception_fp_ieee_invalid_op 0
		.amdhsa_exception_fp_denorm_src 0
		.amdhsa_exception_fp_ieee_div_zero 0
		.amdhsa_exception_fp_ieee_overflow 0
		.amdhsa_exception_fp_ieee_underflow 0
		.amdhsa_exception_fp_ieee_inexact 0
		.amdhsa_exception_int_div_zero 0
	.end_amdhsa_kernel
	.section	.text._ZN2at6native12_GLOBAL__N_125multi_tensor_apply_kernelINS1_18TensorListMetadataILi2EEENS1_11CopyFunctorIN3c1015Float8_e4m3fnuzENS6_15Float8_e5m2fnuzELi2ELi1ELi1EEEJNS0_4CopyIS7_S8_EEEEEvT_T0_DpT1_,"axG",@progbits,_ZN2at6native12_GLOBAL__N_125multi_tensor_apply_kernelINS1_18TensorListMetadataILi2EEENS1_11CopyFunctorIN3c1015Float8_e4m3fnuzENS6_15Float8_e5m2fnuzELi2ELi1ELi1EEEJNS0_4CopyIS7_S8_EEEEEvT_T0_DpT1_,comdat
.Lfunc_end379:
	.size	_ZN2at6native12_GLOBAL__N_125multi_tensor_apply_kernelINS1_18TensorListMetadataILi2EEENS1_11CopyFunctorIN3c1015Float8_e4m3fnuzENS6_15Float8_e5m2fnuzELi2ELi1ELi1EEEJNS0_4CopyIS7_S8_EEEEEvT_T0_DpT1_, .Lfunc_end379-_ZN2at6native12_GLOBAL__N_125multi_tensor_apply_kernelINS1_18TensorListMetadataILi2EEENS1_11CopyFunctorIN3c1015Float8_e4m3fnuzENS6_15Float8_e5m2fnuzELi2ELi1ELi1EEEJNS0_4CopyIS7_S8_EEEEEvT_T0_DpT1_
                                        ; -- End function
	.section	.AMDGPU.csdata,"",@progbits
; Kernel info:
; codeLenInByte = 5424
; NumSgprs: 24
; NumVgprs: 43
; ScratchSize: 0
; MemoryBound: 0
; FloatMode: 240
; IeeeMode: 1
; LDSByteSize: 0 bytes/workgroup (compile time only)
; SGPRBlocks: 2
; VGPRBlocks: 5
; NumSGPRsForWavesPerEU: 24
; NumVGPRsForWavesPerEU: 43
; Occupancy: 16
; WaveLimiterHint : 0
; COMPUTE_PGM_RSRC2:SCRATCH_EN: 0
; COMPUTE_PGM_RSRC2:USER_SGPR: 15
; COMPUTE_PGM_RSRC2:TRAP_HANDLER: 0
; COMPUTE_PGM_RSRC2:TGID_X_EN: 1
; COMPUTE_PGM_RSRC2:TGID_Y_EN: 0
; COMPUTE_PGM_RSRC2:TGID_Z_EN: 0
; COMPUTE_PGM_RSRC2:TIDIG_COMP_CNT: 0
	.section	.text._ZN2at6native12_GLOBAL__N_125multi_tensor_apply_kernelINS1_18TensorListMetadataILi2EEENS1_11CopyFunctorIN3c1011Float8_e5m2EhLi2ELi1ELi1EEEJNS0_4CopyIS7_hEEEEEvT_T0_DpT1_,"axG",@progbits,_ZN2at6native12_GLOBAL__N_125multi_tensor_apply_kernelINS1_18TensorListMetadataILi2EEENS1_11CopyFunctorIN3c1011Float8_e5m2EhLi2ELi1ELi1EEEJNS0_4CopyIS7_hEEEEEvT_T0_DpT1_,comdat
	.globl	_ZN2at6native12_GLOBAL__N_125multi_tensor_apply_kernelINS1_18TensorListMetadataILi2EEENS1_11CopyFunctorIN3c1011Float8_e5m2EhLi2ELi1ELi1EEEJNS0_4CopyIS7_hEEEEEvT_T0_DpT1_ ; -- Begin function _ZN2at6native12_GLOBAL__N_125multi_tensor_apply_kernelINS1_18TensorListMetadataILi2EEENS1_11CopyFunctorIN3c1011Float8_e5m2EhLi2ELi1ELi1EEEJNS0_4CopyIS7_hEEEEEvT_T0_DpT1_
	.p2align	8
	.type	_ZN2at6native12_GLOBAL__N_125multi_tensor_apply_kernelINS1_18TensorListMetadataILi2EEENS1_11CopyFunctorIN3c1011Float8_e5m2EhLi2ELi1ELi1EEEJNS0_4CopyIS7_hEEEEEvT_T0_DpT1_,@function
_ZN2at6native12_GLOBAL__N_125multi_tensor_apply_kernelINS1_18TensorListMetadataILi2EEENS1_11CopyFunctorIN3c1011Float8_e5m2EhLi2ELi1ELi1EEEJNS0_4CopyIS7_hEEEEEvT_T0_DpT1_: ; @_ZN2at6native12_GLOBAL__N_125multi_tensor_apply_kernelINS1_18TensorListMetadataILi2EEENS1_11CopyFunctorIN3c1011Float8_e5m2EhLi2ELi1ELi1EEEJNS0_4CopyIS7_hEEEEEvT_T0_DpT1_
; %bb.0:
	v_mov_b32_e32 v1, s15
	s_add_u32 s2, s0, s15
	s_mul_i32 s4, s15, 3
	s_addc_u32 s3, s1, 0
	s_mul_hi_u32 s5, s15, 3
	global_load_u8 v1, v1, s[0:1] offset:1536
	s_add_u32 s2, s2, s4
	s_addc_u32 s3, s3, s5
	s_load_b32 s2, s[2:3], 0x740
	s_waitcnt vmcnt(0)
	v_readfirstlane_b32 s4, v1
	s_delay_alu instid0(VALU_DEP_1)
	s_lshl_b32 s3, s4, 3
	s_clause 0x2
	s_load_b64 s[6:7], s[0:1], s3 offset:0x0
	s_load_b64 s[8:9], s[0:1], s3 offset:0x200
	;; [unrolled: 1-line block ×3, first 2 shown]
	s_waitcnt lgkmcnt(0)
	s_ashr_i32 s3, s2, 31
	s_delay_alu instid0(SALU_CYCLE_1) | instskip(NEXT) | instid1(SALU_CYCLE_1)
	s_lshl_b64 s[10:11], s[2:3], 16
	s_add_u32 s3, s6, s10
	s_addc_u32 s14, s7, s11
	s_add_u32 s12, s8, s10
	s_addc_u32 s13, s9, s11
	s_delay_alu instid0(SALU_CYCLE_1) | instskip(NEXT) | instid1(SALU_CYCLE_1)
	s_or_b64 s[16:17], s[4:5], s[12:13]
	s_or_b32 s2, s3, s16
	s_delay_alu instid0(SALU_CYCLE_1)
	s_and_b32 s2, s2, 3
	s_sub_u32 s4, s4, s10
	s_subb_u32 s5, s5, s11
	s_cmp_eq_u32 s2, 0
	s_mov_b32 s2, -1
	s_cbranch_scc0 .LBB380_37
; %bb.1:
	v_dual_mov_b32 v2, 0 :: v_dual_lshlrev_b32 v1, 2, v0
	s_mov_b32 s15, exec_lo
	s_delay_alu instid0(VALU_DEP_1)
	v_cmpx_gt_i64_e64 s[4:5], v[1:2]
	s_cbranch_execz .LBB380_36
; %bb.2:
	s_load_b32 s2, s[0:1], 0xc5c
	v_mov_b32_e32 v3, 0x7f
	s_mov_b32 s17, 0
	s_waitcnt lgkmcnt(0)
	s_and_b32 s2, s2, 0xffff
	s_delay_alu instid0(SALU_CYCLE_1)
	s_lshl_b32 s16, s2, 2
	s_branch .LBB380_4
.LBB380_3:                              ;   in Loop: Header=BB380_4 Depth=1
	s_or_b32 exec_lo, exec_lo, s2
	v_add_co_u32 v8, vcc_lo, s12, v1
	v_add_co_ci_u32_e32 v9, vcc_lo, s13, v2, vcc_lo
	v_add_co_u32 v1, vcc_lo, s16, v1
	v_add_co_ci_u32_e32 v2, vcc_lo, 0, v2, vcc_lo
	v_lshlrev_b32_e32 v7, 16, v7
	v_lshlrev_b32_e32 v5, 8, v5
	v_and_b32_e32 v4, 0xff, v4
	s_delay_alu instid0(VALU_DEP_4) | instskip(SKIP_3) | instid1(VALU_DEP_3)
	v_cmp_le_i64_e32 vcc_lo, s[4:5], v[1:2]
	v_cmp_lt_u64_e64 s2, 0xffff, v[1:2]
	v_perm_b32 v6, v6, v7, 0x4020c0c
	v_and_b32_e32 v5, 0xff00, v5
	s_or_b32 s2, vcc_lo, s2
	s_delay_alu instid0(VALU_DEP_1) | instskip(SKIP_1) | instid1(SALU_CYCLE_1)
	v_or3_b32 v4, v6, v5, v4
	s_and_b32 s2, exec_lo, s2
	s_or_b32 s17, s2, s17
	global_store_b32 v[8:9], v4, off
	s_and_not1_b32 exec_lo, exec_lo, s17
	s_cbranch_execz .LBB380_36
.LBB380_4:                              ; =>This Inner Loop Header: Depth=1
	v_add_co_u32 v4, vcc_lo, s3, v1
	v_add_co_ci_u32_e32 v5, vcc_lo, s14, v2, vcc_lo
	s_mov_b32 s2, exec_lo
	global_load_b32 v6, v[4:5], off
                                        ; implicit-def: $vgpr4
	s_waitcnt vmcnt(0)
	v_cvt_f32_ubyte0_e32 v5, v6
	s_delay_alu instid0(VALU_DEP_1)
	v_cmpx_gt_u32_e32 0x47800000, v5
	s_xor_b32 s2, exec_lo, s2
	s_cbranch_execz .LBB380_10
; %bb.5:                                ;   in Loop: Header=BB380_4 Depth=1
	s_mov_b32 s18, exec_lo
                                        ; implicit-def: $vgpr4
	v_cmpx_lt_u32_e32 0x387fffff, v5
	s_xor_b32 s18, exec_lo, s18
; %bb.6:                                ;   in Loop: Header=BB380_4 Depth=1
	v_bfe_u32 v4, v5, 21, 1
	s_delay_alu instid0(VALU_DEP_1) | instskip(NEXT) | instid1(VALU_DEP_1)
	v_add3_u32 v4, v5, v4, 0x80fffff
                                        ; implicit-def: $vgpr5
	v_lshrrev_b32_e32 v4, 21, v4
; %bb.7:                                ;   in Loop: Header=BB380_4 Depth=1
	s_and_not1_saveexec_b32 s18, s18
; %bb.8:                                ;   in Loop: Header=BB380_4 Depth=1
	v_add_f32_e32 v4, 0x43000000, v5
; %bb.9:                                ;   in Loop: Header=BB380_4 Depth=1
	s_or_b32 exec_lo, exec_lo, s18
                                        ; implicit-def: $vgpr5
.LBB380_10:                             ;   in Loop: Header=BB380_4 Depth=1
	s_and_not1_saveexec_b32 s2, s2
; %bb.11:                               ;   in Loop: Header=BB380_4 Depth=1
	v_cmp_lt_u32_e32 vcc_lo, 0x7f800000, v5
	v_cndmask_b32_e32 v4, 0x7c, v3, vcc_lo
; %bb.12:                               ;   in Loop: Header=BB380_4 Depth=1
	s_or_b32 exec_lo, exec_lo, s2
	v_cvt_f32_ubyte1_e32 v7, v6
	s_mov_b32 s2, exec_lo
                                        ; implicit-def: $vgpr5
	s_delay_alu instid0(VALU_DEP_1)
	v_cmpx_gt_u32_e32 0x47800000, v7
	s_xor_b32 s2, exec_lo, s2
	s_cbranch_execz .LBB380_18
; %bb.13:                               ;   in Loop: Header=BB380_4 Depth=1
	s_mov_b32 s18, exec_lo
                                        ; implicit-def: $vgpr5
	v_cmpx_lt_u32_e32 0x387fffff, v7
	s_xor_b32 s18, exec_lo, s18
; %bb.14:                               ;   in Loop: Header=BB380_4 Depth=1
	v_bfe_u32 v5, v7, 21, 1
	s_delay_alu instid0(VALU_DEP_1) | instskip(NEXT) | instid1(VALU_DEP_1)
	v_add3_u32 v5, v7, v5, 0x80fffff
                                        ; implicit-def: $vgpr7
	v_lshrrev_b32_e32 v5, 21, v5
; %bb.15:                               ;   in Loop: Header=BB380_4 Depth=1
	s_and_not1_saveexec_b32 s18, s18
; %bb.16:                               ;   in Loop: Header=BB380_4 Depth=1
	v_add_f32_e32 v5, 0x43000000, v7
; %bb.17:                               ;   in Loop: Header=BB380_4 Depth=1
	s_or_b32 exec_lo, exec_lo, s18
                                        ; implicit-def: $vgpr7
.LBB380_18:                             ;   in Loop: Header=BB380_4 Depth=1
	s_and_not1_saveexec_b32 s2, s2
; %bb.19:                               ;   in Loop: Header=BB380_4 Depth=1
	v_cmp_lt_u32_e32 vcc_lo, 0x7f800000, v7
	v_cndmask_b32_e32 v5, 0x7c, v3, vcc_lo
; %bb.20:                               ;   in Loop: Header=BB380_4 Depth=1
	s_or_b32 exec_lo, exec_lo, s2
	v_cvt_f32_ubyte2_e32 v8, v6
	s_mov_b32 s2, exec_lo
                                        ; implicit-def: $vgpr7
	s_delay_alu instid0(VALU_DEP_1)
	v_cmpx_gt_u32_e32 0x47800000, v8
	s_xor_b32 s2, exec_lo, s2
	s_cbranch_execz .LBB380_26
; %bb.21:                               ;   in Loop: Header=BB380_4 Depth=1
	s_mov_b32 s18, exec_lo
                                        ; implicit-def: $vgpr7
	v_cmpx_lt_u32_e32 0x387fffff, v8
	s_xor_b32 s18, exec_lo, s18
; %bb.22:                               ;   in Loop: Header=BB380_4 Depth=1
	v_bfe_u32 v7, v8, 21, 1
	s_delay_alu instid0(VALU_DEP_1) | instskip(NEXT) | instid1(VALU_DEP_1)
	v_add3_u32 v7, v8, v7, 0x80fffff
                                        ; implicit-def: $vgpr8
	v_lshrrev_b32_e32 v7, 21, v7
; %bb.23:                               ;   in Loop: Header=BB380_4 Depth=1
	s_and_not1_saveexec_b32 s18, s18
; %bb.24:                               ;   in Loop: Header=BB380_4 Depth=1
	v_add_f32_e32 v7, 0x43000000, v8
; %bb.25:                               ;   in Loop: Header=BB380_4 Depth=1
	s_or_b32 exec_lo, exec_lo, s18
                                        ; implicit-def: $vgpr8
.LBB380_26:                             ;   in Loop: Header=BB380_4 Depth=1
	s_and_not1_saveexec_b32 s2, s2
; %bb.27:                               ;   in Loop: Header=BB380_4 Depth=1
	v_cmp_lt_u32_e32 vcc_lo, 0x7f800000, v8
	v_cndmask_b32_e32 v7, 0x7c, v3, vcc_lo
; %bb.28:                               ;   in Loop: Header=BB380_4 Depth=1
	s_or_b32 exec_lo, exec_lo, s2
	v_cvt_f32_ubyte3_e32 v8, v6
	s_mov_b32 s2, exec_lo
                                        ; implicit-def: $vgpr6
	s_delay_alu instid0(VALU_DEP_1)
	v_cmpx_gt_u32_e32 0x47800000, v8
	s_xor_b32 s2, exec_lo, s2
	s_cbranch_execz .LBB380_34
; %bb.29:                               ;   in Loop: Header=BB380_4 Depth=1
	s_mov_b32 s18, exec_lo
                                        ; implicit-def: $vgpr6
	v_cmpx_lt_u32_e32 0x387fffff, v8
	s_xor_b32 s18, exec_lo, s18
; %bb.30:                               ;   in Loop: Header=BB380_4 Depth=1
	v_bfe_u32 v6, v8, 21, 1
	s_delay_alu instid0(VALU_DEP_1) | instskip(NEXT) | instid1(VALU_DEP_1)
	v_add3_u32 v6, v8, v6, 0x80fffff
                                        ; implicit-def: $vgpr8
	v_lshrrev_b32_e32 v6, 21, v6
; %bb.31:                               ;   in Loop: Header=BB380_4 Depth=1
	s_and_not1_saveexec_b32 s18, s18
; %bb.32:                               ;   in Loop: Header=BB380_4 Depth=1
	v_add_f32_e32 v6, 0x43000000, v8
; %bb.33:                               ;   in Loop: Header=BB380_4 Depth=1
	s_or_b32 exec_lo, exec_lo, s18
                                        ; implicit-def: $vgpr8
.LBB380_34:                             ;   in Loop: Header=BB380_4 Depth=1
	s_and_not1_saveexec_b32 s2, s2
	s_cbranch_execz .LBB380_3
; %bb.35:                               ;   in Loop: Header=BB380_4 Depth=1
	v_cmp_lt_u32_e32 vcc_lo, 0x7f800000, v8
	v_cndmask_b32_e32 v6, 0x7c, v3, vcc_lo
	s_branch .LBB380_3
.LBB380_36:
	s_or_b32 exec_lo, exec_lo, s15
	s_mov_b32 s2, 0
.LBB380_37:
	s_delay_alu instid0(SALU_CYCLE_1)
	s_and_not1_b32 vcc_lo, exec_lo, s2
	s_cbranch_vccnz .LBB380_89
; %bb.38:
	v_cmp_lt_i64_e64 s2, s[4:5], 1
	s_delay_alu instid0(VALU_DEP_1)
	s_and_b32 vcc_lo, exec_lo, s2
	s_cbranch_vccnz .LBB380_89
; %bb.39:
	s_load_b32 s0, s[0:1], 0xc5c
	v_add_co_u32 v1, s1, s10, v0
	s_delay_alu instid0(VALU_DEP_1) | instskip(SKIP_1) | instid1(VALU_DEP_3)
	v_add_co_ci_u32_e64 v2, null, s11, 0, s1
	v_cmp_gt_u64_e64 s1, 0x10000, s[4:5]
	v_add_co_u32 v9, vcc_lo, s6, v1
	s_delay_alu instid0(VALU_DEP_3)
	v_add_co_ci_u32_e32 v10, vcc_lo, s7, v2, vcc_lo
	v_add_co_u32 v11, vcc_lo, s8, v1
	v_add_co_ci_u32_e32 v12, vcc_lo, s9, v2, vcc_lo
	v_mov_b32_e32 v31, 0x7f
                                        ; implicit-def: $vgpr32
                                        ; implicit-def: $vgpr33
                                        ; implicit-def: $vgpr34
                                        ; implicit-def: $vgpr35
	s_waitcnt lgkmcnt(0)
	s_and_b32 s0, s0, 0xffff
	s_and_b32 s1, s1, exec_lo
	s_mul_i32 s13, s0, 3
	s_cselect_b32 s3, s5, 0
	s_cselect_b32 s2, s4, 0x10000
	s_lshl_b32 s12, s0, 1
	s_lshl_b32 s1, s0, 2
	s_add_u32 s14, s10, s13
	s_addc_u32 s15, s11, 0
	v_add_co_u32 v3, s14, s14, v0
	s_delay_alu instid0(VALU_DEP_1) | instskip(SKIP_1) | instid1(VALU_DEP_2)
	v_add_co_ci_u32_e64 v4, null, s15, 0, s14
	s_add_u32 s10, s10, s12
	v_add_co_u32 v13, vcc_lo, s6, v3
	s_delay_alu instid0(VALU_DEP_2)
	v_add_co_ci_u32_e32 v14, vcc_lo, s7, v4, vcc_lo
	v_add_co_u32 v15, vcc_lo, s8, v3
	s_addc_u32 s11, s11, 0
	v_add_co_u32 v3, s10, s10, v0
	v_add_co_ci_u32_e32 v16, vcc_lo, s9, v4, vcc_lo
	v_add_co_ci_u32_e64 v4, null, s11, 0, s10
	s_delay_alu instid0(VALU_DEP_3) | instskip(SKIP_1) | instid1(VALU_DEP_3)
	v_add_co_u32 v19, vcc_lo, s6, v3
	v_add_co_u32 v17, s10, s13, v0
	v_add_co_ci_u32_e32 v20, vcc_lo, s7, v4, vcc_lo
	v_add_co_u32 v21, vcc_lo, s8, v3
	v_add_co_ci_u32_e32 v22, vcc_lo, s9, v4, vcc_lo
	v_add_co_u32 v1, vcc_lo, v1, s0
	v_add_co_ci_u32_e32 v2, vcc_lo, 0, v2, vcc_lo
	v_add_co_ci_u32_e64 v18, null, 0, 0, s10
	s_delay_alu instid0(VALU_DEP_3) | instskip(NEXT) | instid1(VALU_DEP_3)
	v_add_co_u32 v25, vcc_lo, s6, v1
	v_add_co_ci_u32_e32 v26, vcc_lo, s7, v2, vcc_lo
	v_add_co_u32 v23, s10, s12, v0
	v_add_co_u32 v27, vcc_lo, s8, v1
	v_add_co_u32 v29, s0, v0, s0
	v_add_co_ci_u32_e64 v24, null, 0, 0, s10
	v_add_co_ci_u32_e32 v28, vcc_lo, s9, v2, vcc_lo
	v_add_co_ci_u32_e64 v30, null, 0, 0, s0
	s_mov_b64 s[6:7], 0
	s_branch .LBB380_41
.LBB380_40:                             ;   in Loop: Header=BB380_41 Depth=1
	s_or_b32 exec_lo, exec_lo, s0
	s_add_u32 s6, s6, s1
	s_addc_u32 s7, s7, 0
	s_delay_alu instid0(SALU_CYCLE_1) | instskip(SKIP_1) | instid1(VALU_DEP_1)
	v_cmp_ge_i64_e64 s0, s[6:7], s[4:5]
	v_cmp_lt_u64_e64 s8, 0xffff, s[6:7]
	s_or_b32 s0, s0, s8
	s_delay_alu instid0(SALU_CYCLE_1)
	s_and_b32 vcc_lo, exec_lo, s0
	s_cbranch_vccnz .LBB380_89
.LBB380_41:                             ; =>This Inner Loop Header: Depth=1
	v_add_co_u32 v1, s0, v0, s6
	s_delay_alu instid0(VALU_DEP_1) | instskip(NEXT) | instid1(VALU_DEP_1)
	v_add_co_ci_u32_e64 v2, null, 0, s7, s0
	v_cmp_gt_i64_e32 vcc_lo, s[4:5], v[1:2]
	v_cmp_gt_u64_e64 s0, 0x10000, v[1:2]
	s_delay_alu instid0(VALU_DEP_1) | instskip(NEXT) | instid1(SALU_CYCLE_1)
	s_and_b32 s8, vcc_lo, s0
	s_and_saveexec_b32 s0, s8
	s_cbranch_execz .LBB380_43
; %bb.42:                               ;   in Loop: Header=BB380_41 Depth=1
	v_add_co_u32 v3, vcc_lo, v9, s6
	v_add_co_ci_u32_e32 v4, vcc_lo, s7, v10, vcc_lo
	global_load_u8 v32, v[3:4], off
.LBB380_43:                             ;   in Loop: Header=BB380_41 Depth=1
	s_or_b32 exec_lo, exec_lo, s0
	v_add_co_u32 v3, vcc_lo, v29, s6
	v_add_co_ci_u32_e32 v4, vcc_lo, s7, v30, vcc_lo
	s_delay_alu instid0(VALU_DEP_1) | instskip(SKIP_1) | instid1(VALU_DEP_1)
	v_cmp_gt_i64_e32 vcc_lo, s[4:5], v[3:4]
	v_cmp_gt_u64_e64 s0, 0x10000, v[3:4]
	s_and_b32 s8, vcc_lo, s0
	s_delay_alu instid0(SALU_CYCLE_1)
	s_and_saveexec_b32 s0, s8
	s_cbranch_execz .LBB380_45
; %bb.44:                               ;   in Loop: Header=BB380_41 Depth=1
	v_add_co_u32 v5, vcc_lo, v25, s6
	v_add_co_ci_u32_e32 v6, vcc_lo, s7, v26, vcc_lo
	global_load_u8 v33, v[5:6], off
.LBB380_45:                             ;   in Loop: Header=BB380_41 Depth=1
	s_or_b32 exec_lo, exec_lo, s0
	v_add_co_u32 v5, vcc_lo, v23, s6
	v_add_co_ci_u32_e32 v6, vcc_lo, s7, v24, vcc_lo
	s_delay_alu instid0(VALU_DEP_1) | instskip(SKIP_1) | instid1(VALU_DEP_1)
	v_cmp_gt_i64_e32 vcc_lo, s[4:5], v[5:6]
	v_cmp_gt_u64_e64 s0, 0x10000, v[5:6]
	s_and_b32 s8, vcc_lo, s0
	s_delay_alu instid0(SALU_CYCLE_1)
	;; [unrolled: 15-line block ×3, first 2 shown]
	s_and_saveexec_b32 s0, s8
	s_cbranch_execz .LBB380_49
; %bb.48:                               ;   in Loop: Header=BB380_41 Depth=1
	v_add_co_u32 v35, vcc_lo, v13, s6
	v_add_co_ci_u32_e32 v36, vcc_lo, s7, v14, vcc_lo
	global_load_u8 v35, v[35:36], off
.LBB380_49:                             ;   in Loop: Header=BB380_41 Depth=1
	s_or_b32 exec_lo, exec_lo, s0
	s_waitcnt vmcnt(0)
	v_cvt_f32_ubyte0_e32 v37, v32
	s_mov_b32 s0, exec_lo
                                        ; implicit-def: $vgpr36
	s_delay_alu instid0(VALU_DEP_1)
	v_cmpx_gt_u32_e32 0x47800000, v37
	s_xor_b32 s0, exec_lo, s0
	s_cbranch_execz .LBB380_55
; %bb.50:                               ;   in Loop: Header=BB380_41 Depth=1
	s_mov_b32 s8, exec_lo
                                        ; implicit-def: $vgpr36
	v_cmpx_lt_u32_e32 0x387fffff, v37
	s_xor_b32 s8, exec_lo, s8
; %bb.51:                               ;   in Loop: Header=BB380_41 Depth=1
	v_bfe_u32 v36, v37, 21, 1
	s_delay_alu instid0(VALU_DEP_1) | instskip(NEXT) | instid1(VALU_DEP_1)
	v_add3_u32 v36, v37, v36, 0x80fffff
                                        ; implicit-def: $vgpr37
	v_lshrrev_b32_e32 v36, 21, v36
; %bb.52:                               ;   in Loop: Header=BB380_41 Depth=1
	s_and_not1_saveexec_b32 s8, s8
; %bb.53:                               ;   in Loop: Header=BB380_41 Depth=1
	v_add_f32_e32 v36, 0x43000000, v37
; %bb.54:                               ;   in Loop: Header=BB380_41 Depth=1
	s_or_b32 exec_lo, exec_lo, s8
                                        ; implicit-def: $vgpr37
.LBB380_55:                             ;   in Loop: Header=BB380_41 Depth=1
	s_and_not1_saveexec_b32 s0, s0
; %bb.56:                               ;   in Loop: Header=BB380_41 Depth=1
	v_cmp_lt_u32_e32 vcc_lo, 0x7f800000, v37
	v_cndmask_b32_e32 v36, 0x7c, v31, vcc_lo
; %bb.57:                               ;   in Loop: Header=BB380_41 Depth=1
	s_or_b32 exec_lo, exec_lo, s0
	v_cvt_f32_ubyte0_e32 v38, v33
	s_mov_b32 s0, exec_lo
                                        ; implicit-def: $vgpr37
	s_delay_alu instid0(VALU_DEP_1)
	v_cmpx_gt_u32_e32 0x47800000, v38
	s_xor_b32 s0, exec_lo, s0
	s_cbranch_execz .LBB380_63
; %bb.58:                               ;   in Loop: Header=BB380_41 Depth=1
	s_mov_b32 s8, exec_lo
                                        ; implicit-def: $vgpr37
	v_cmpx_lt_u32_e32 0x387fffff, v38
	s_xor_b32 s8, exec_lo, s8
; %bb.59:                               ;   in Loop: Header=BB380_41 Depth=1
	v_bfe_u32 v37, v38, 21, 1
	s_delay_alu instid0(VALU_DEP_1) | instskip(NEXT) | instid1(VALU_DEP_1)
	v_add3_u32 v37, v38, v37, 0x80fffff
                                        ; implicit-def: $vgpr38
	v_lshrrev_b32_e32 v37, 21, v37
; %bb.60:                               ;   in Loop: Header=BB380_41 Depth=1
	s_and_not1_saveexec_b32 s8, s8
; %bb.61:                               ;   in Loop: Header=BB380_41 Depth=1
	v_add_f32_e32 v37, 0x43000000, v38
; %bb.62:                               ;   in Loop: Header=BB380_41 Depth=1
	s_or_b32 exec_lo, exec_lo, s8
                                        ; implicit-def: $vgpr38
.LBB380_63:                             ;   in Loop: Header=BB380_41 Depth=1
	s_and_not1_saveexec_b32 s0, s0
; %bb.64:                               ;   in Loop: Header=BB380_41 Depth=1
	v_cmp_lt_u32_e32 vcc_lo, 0x7f800000, v38
	v_cndmask_b32_e32 v37, 0x7c, v31, vcc_lo
; %bb.65:                               ;   in Loop: Header=BB380_41 Depth=1
	s_or_b32 exec_lo, exec_lo, s0
	v_cvt_f32_ubyte0_e32 v39, v34
	s_mov_b32 s0, exec_lo
                                        ; implicit-def: $vgpr38
	s_delay_alu instid0(VALU_DEP_1)
	v_cmpx_gt_u32_e32 0x47800000, v39
	s_xor_b32 s0, exec_lo, s0
	s_cbranch_execz .LBB380_71
; %bb.66:                               ;   in Loop: Header=BB380_41 Depth=1
	s_mov_b32 s8, exec_lo
                                        ; implicit-def: $vgpr38
	v_cmpx_lt_u32_e32 0x387fffff, v39
	s_xor_b32 s8, exec_lo, s8
; %bb.67:                               ;   in Loop: Header=BB380_41 Depth=1
	v_bfe_u32 v38, v39, 21, 1
	s_delay_alu instid0(VALU_DEP_1) | instskip(NEXT) | instid1(VALU_DEP_1)
	v_add3_u32 v38, v39, v38, 0x80fffff
                                        ; implicit-def: $vgpr39
	v_lshrrev_b32_e32 v38, 21, v38
; %bb.68:                               ;   in Loop: Header=BB380_41 Depth=1
	s_and_not1_saveexec_b32 s8, s8
; %bb.69:                               ;   in Loop: Header=BB380_41 Depth=1
	v_add_f32_e32 v38, 0x43000000, v39
; %bb.70:                               ;   in Loop: Header=BB380_41 Depth=1
	s_or_b32 exec_lo, exec_lo, s8
                                        ; implicit-def: $vgpr39
.LBB380_71:                             ;   in Loop: Header=BB380_41 Depth=1
	s_and_not1_saveexec_b32 s0, s0
; %bb.72:                               ;   in Loop: Header=BB380_41 Depth=1
	v_cmp_lt_u32_e32 vcc_lo, 0x7f800000, v39
	v_cndmask_b32_e32 v38, 0x7c, v31, vcc_lo
; %bb.73:                               ;   in Loop: Header=BB380_41 Depth=1
	s_or_b32 exec_lo, exec_lo, s0
	v_cvt_f32_ubyte0_e32 v40, v35
	s_mov_b32 s0, exec_lo
                                        ; implicit-def: $vgpr39
	s_delay_alu instid0(VALU_DEP_1)
	v_cmpx_gt_u32_e32 0x47800000, v40
	s_xor_b32 s0, exec_lo, s0
	s_cbranch_execz .LBB380_79
; %bb.74:                               ;   in Loop: Header=BB380_41 Depth=1
	s_mov_b32 s8, exec_lo
                                        ; implicit-def: $vgpr39
	v_cmpx_lt_u32_e32 0x387fffff, v40
	s_xor_b32 s8, exec_lo, s8
; %bb.75:                               ;   in Loop: Header=BB380_41 Depth=1
	v_bfe_u32 v39, v40, 21, 1
	s_delay_alu instid0(VALU_DEP_1) | instskip(NEXT) | instid1(VALU_DEP_1)
	v_add3_u32 v39, v40, v39, 0x80fffff
                                        ; implicit-def: $vgpr40
	v_lshrrev_b32_e32 v39, 21, v39
; %bb.76:                               ;   in Loop: Header=BB380_41 Depth=1
	s_and_not1_saveexec_b32 s8, s8
; %bb.77:                               ;   in Loop: Header=BB380_41 Depth=1
	v_add_f32_e32 v39, 0x43000000, v40
; %bb.78:                               ;   in Loop: Header=BB380_41 Depth=1
	s_or_b32 exec_lo, exec_lo, s8
                                        ; implicit-def: $vgpr40
.LBB380_79:                             ;   in Loop: Header=BB380_41 Depth=1
	s_and_not1_saveexec_b32 s0, s0
; %bb.80:                               ;   in Loop: Header=BB380_41 Depth=1
	v_cmp_lt_u32_e32 vcc_lo, 0x7f800000, v40
	v_cndmask_b32_e32 v39, 0x7c, v31, vcc_lo
; %bb.81:                               ;   in Loop: Header=BB380_41 Depth=1
	s_or_b32 exec_lo, exec_lo, s0
	s_delay_alu instid0(SALU_CYCLE_1)
	s_mov_b32 s0, exec_lo
	v_cmpx_gt_u64_e64 s[2:3], v[1:2]
	s_xor_b32 s0, exec_lo, s0
	s_cbranch_execnz .LBB380_85
; %bb.82:                               ;   in Loop: Header=BB380_41 Depth=1
	s_or_b32 exec_lo, exec_lo, s0
	s_delay_alu instid0(SALU_CYCLE_1)
	s_mov_b32 s0, exec_lo
	v_cmpx_gt_u64_e64 s[2:3], v[3:4]
	s_cbranch_execnz .LBB380_86
.LBB380_83:                             ;   in Loop: Header=BB380_41 Depth=1
	s_or_b32 exec_lo, exec_lo, s0
	s_delay_alu instid0(SALU_CYCLE_1)
	s_mov_b32 s0, exec_lo
	v_cmpx_gt_u64_e64 s[2:3], v[5:6]
	s_cbranch_execnz .LBB380_87
.LBB380_84:                             ;   in Loop: Header=BB380_41 Depth=1
	s_or_b32 exec_lo, exec_lo, s0
	s_delay_alu instid0(SALU_CYCLE_1)
	s_mov_b32 s0, exec_lo
	v_cmpx_gt_u64_e64 s[2:3], v[7:8]
	s_cbranch_execz .LBB380_40
	s_branch .LBB380_88
.LBB380_85:                             ;   in Loop: Header=BB380_41 Depth=1
	v_add_co_u32 v1, vcc_lo, v11, s6
	v_add_co_ci_u32_e32 v2, vcc_lo, s7, v12, vcc_lo
	global_store_b8 v[1:2], v36, off
	s_or_b32 exec_lo, exec_lo, s0
	s_delay_alu instid0(SALU_CYCLE_1)
	s_mov_b32 s0, exec_lo
	v_cmpx_gt_u64_e64 s[2:3], v[3:4]
	s_cbranch_execz .LBB380_83
.LBB380_86:                             ;   in Loop: Header=BB380_41 Depth=1
	v_add_co_u32 v1, vcc_lo, v27, s6
	v_add_co_ci_u32_e32 v2, vcc_lo, s7, v28, vcc_lo
	global_store_b8 v[1:2], v37, off
	s_or_b32 exec_lo, exec_lo, s0
	s_delay_alu instid0(SALU_CYCLE_1)
	s_mov_b32 s0, exec_lo
	v_cmpx_gt_u64_e64 s[2:3], v[5:6]
	s_cbranch_execz .LBB380_84
.LBB380_87:                             ;   in Loop: Header=BB380_41 Depth=1
	v_add_co_u32 v1, vcc_lo, v21, s6
	v_add_co_ci_u32_e32 v2, vcc_lo, s7, v22, vcc_lo
	global_store_b8 v[1:2], v38, off
	s_or_b32 exec_lo, exec_lo, s0
	s_delay_alu instid0(SALU_CYCLE_1)
	s_mov_b32 s0, exec_lo
	v_cmpx_gt_u64_e64 s[2:3], v[7:8]
	s_cbranch_execz .LBB380_40
.LBB380_88:                             ;   in Loop: Header=BB380_41 Depth=1
	v_add_co_u32 v1, vcc_lo, v15, s6
	v_add_co_ci_u32_e32 v2, vcc_lo, s7, v16, vcc_lo
	global_store_b8 v[1:2], v39, off
	s_branch .LBB380_40
.LBB380_89:
	s_nop 0
	s_sendmsg sendmsg(MSG_DEALLOC_VGPRS)
	s_endpgm
	.section	.rodata,"a",@progbits
	.p2align	6, 0x0
	.amdhsa_kernel _ZN2at6native12_GLOBAL__N_125multi_tensor_apply_kernelINS1_18TensorListMetadataILi2EEENS1_11CopyFunctorIN3c1011Float8_e5m2EhLi2ELi1ELi1EEEJNS0_4CopyIS7_hEEEEEvT_T0_DpT1_
		.amdhsa_group_segment_fixed_size 0
		.amdhsa_private_segment_fixed_size 0
		.amdhsa_kernarg_size 3408
		.amdhsa_user_sgpr_count 15
		.amdhsa_user_sgpr_dispatch_ptr 0
		.amdhsa_user_sgpr_queue_ptr 0
		.amdhsa_user_sgpr_kernarg_segment_ptr 1
		.amdhsa_user_sgpr_dispatch_id 0
		.amdhsa_user_sgpr_private_segment_size 0
		.amdhsa_wavefront_size32 1
		.amdhsa_uses_dynamic_stack 0
		.amdhsa_enable_private_segment 0
		.amdhsa_system_sgpr_workgroup_id_x 1
		.amdhsa_system_sgpr_workgroup_id_y 0
		.amdhsa_system_sgpr_workgroup_id_z 0
		.amdhsa_system_sgpr_workgroup_info 0
		.amdhsa_system_vgpr_workitem_id 0
		.amdhsa_next_free_vgpr 41
		.amdhsa_next_free_sgpr 19
		.amdhsa_reserve_vcc 1
		.amdhsa_float_round_mode_32 0
		.amdhsa_float_round_mode_16_64 0
		.amdhsa_float_denorm_mode_32 3
		.amdhsa_float_denorm_mode_16_64 3
		.amdhsa_dx10_clamp 1
		.amdhsa_ieee_mode 1
		.amdhsa_fp16_overflow 0
		.amdhsa_workgroup_processor_mode 1
		.amdhsa_memory_ordered 1
		.amdhsa_forward_progress 0
		.amdhsa_shared_vgpr_count 0
		.amdhsa_exception_fp_ieee_invalid_op 0
		.amdhsa_exception_fp_denorm_src 0
		.amdhsa_exception_fp_ieee_div_zero 0
		.amdhsa_exception_fp_ieee_overflow 0
		.amdhsa_exception_fp_ieee_underflow 0
		.amdhsa_exception_fp_ieee_inexact 0
		.amdhsa_exception_int_div_zero 0
	.end_amdhsa_kernel
	.section	.text._ZN2at6native12_GLOBAL__N_125multi_tensor_apply_kernelINS1_18TensorListMetadataILi2EEENS1_11CopyFunctorIN3c1011Float8_e5m2EhLi2ELi1ELi1EEEJNS0_4CopyIS7_hEEEEEvT_T0_DpT1_,"axG",@progbits,_ZN2at6native12_GLOBAL__N_125multi_tensor_apply_kernelINS1_18TensorListMetadataILi2EEENS1_11CopyFunctorIN3c1011Float8_e5m2EhLi2ELi1ELi1EEEJNS0_4CopyIS7_hEEEEEvT_T0_DpT1_,comdat
.Lfunc_end380:
	.size	_ZN2at6native12_GLOBAL__N_125multi_tensor_apply_kernelINS1_18TensorListMetadataILi2EEENS1_11CopyFunctorIN3c1011Float8_e5m2EhLi2ELi1ELi1EEEJNS0_4CopyIS7_hEEEEEvT_T0_DpT1_, .Lfunc_end380-_ZN2at6native12_GLOBAL__N_125multi_tensor_apply_kernelINS1_18TensorListMetadataILi2EEENS1_11CopyFunctorIN3c1011Float8_e5m2EhLi2ELi1ELi1EEEJNS0_4CopyIS7_hEEEEEvT_T0_DpT1_
                                        ; -- End function
	.section	.AMDGPU.csdata,"",@progbits
; Kernel info:
; codeLenInByte = 2256
; NumSgprs: 21
; NumVgprs: 41
; ScratchSize: 0
; MemoryBound: 0
; FloatMode: 240
; IeeeMode: 1
; LDSByteSize: 0 bytes/workgroup (compile time only)
; SGPRBlocks: 2
; VGPRBlocks: 5
; NumSGPRsForWavesPerEU: 21
; NumVGPRsForWavesPerEU: 41
; Occupancy: 16
; WaveLimiterHint : 0
; COMPUTE_PGM_RSRC2:SCRATCH_EN: 0
; COMPUTE_PGM_RSRC2:USER_SGPR: 15
; COMPUTE_PGM_RSRC2:TRAP_HANDLER: 0
; COMPUTE_PGM_RSRC2:TGID_X_EN: 1
; COMPUTE_PGM_RSRC2:TGID_Y_EN: 0
; COMPUTE_PGM_RSRC2:TGID_Z_EN: 0
; COMPUTE_PGM_RSRC2:TIDIG_COMP_CNT: 0
	.section	.text._ZN2at6native12_GLOBAL__N_125multi_tensor_apply_kernelINS1_18TensorListMetadataILi2EEENS1_11CopyFunctorIN3c1011Float8_e5m2EaLi2ELi1ELi1EEEJNS0_4CopyIS7_aEEEEEvT_T0_DpT1_,"axG",@progbits,_ZN2at6native12_GLOBAL__N_125multi_tensor_apply_kernelINS1_18TensorListMetadataILi2EEENS1_11CopyFunctorIN3c1011Float8_e5m2EaLi2ELi1ELi1EEEJNS0_4CopyIS7_aEEEEEvT_T0_DpT1_,comdat
	.globl	_ZN2at6native12_GLOBAL__N_125multi_tensor_apply_kernelINS1_18TensorListMetadataILi2EEENS1_11CopyFunctorIN3c1011Float8_e5m2EaLi2ELi1ELi1EEEJNS0_4CopyIS7_aEEEEEvT_T0_DpT1_ ; -- Begin function _ZN2at6native12_GLOBAL__N_125multi_tensor_apply_kernelINS1_18TensorListMetadataILi2EEENS1_11CopyFunctorIN3c1011Float8_e5m2EaLi2ELi1ELi1EEEJNS0_4CopyIS7_aEEEEEvT_T0_DpT1_
	.p2align	8
	.type	_ZN2at6native12_GLOBAL__N_125multi_tensor_apply_kernelINS1_18TensorListMetadataILi2EEENS1_11CopyFunctorIN3c1011Float8_e5m2EaLi2ELi1ELi1EEEJNS0_4CopyIS7_aEEEEEvT_T0_DpT1_,@function
_ZN2at6native12_GLOBAL__N_125multi_tensor_apply_kernelINS1_18TensorListMetadataILi2EEENS1_11CopyFunctorIN3c1011Float8_e5m2EaLi2ELi1ELi1EEEJNS0_4CopyIS7_aEEEEEvT_T0_DpT1_: ; @_ZN2at6native12_GLOBAL__N_125multi_tensor_apply_kernelINS1_18TensorListMetadataILi2EEENS1_11CopyFunctorIN3c1011Float8_e5m2EaLi2ELi1ELi1EEEJNS0_4CopyIS7_aEEEEEvT_T0_DpT1_
; %bb.0:
	v_mov_b32_e32 v1, s15
	s_add_u32 s2, s0, s15
	s_mul_i32 s4, s15, 3
	s_addc_u32 s3, s1, 0
	s_mul_hi_u32 s5, s15, 3
	global_load_u8 v1, v1, s[0:1] offset:1536
	s_add_u32 s2, s2, s4
	s_addc_u32 s3, s3, s5
	s_load_b32 s2, s[2:3], 0x740
	s_waitcnt vmcnt(0)
	v_readfirstlane_b32 s4, v1
	s_delay_alu instid0(VALU_DEP_1)
	s_lshl_b32 s3, s4, 3
	s_clause 0x2
	s_load_b64 s[6:7], s[0:1], s3 offset:0x0
	s_load_b64 s[8:9], s[0:1], s3 offset:0x200
	;; [unrolled: 1-line block ×3, first 2 shown]
	s_waitcnt lgkmcnt(0)
	s_ashr_i32 s3, s2, 31
	s_delay_alu instid0(SALU_CYCLE_1) | instskip(NEXT) | instid1(SALU_CYCLE_1)
	s_lshl_b64 s[10:11], s[2:3], 16
	s_add_u32 s3, s6, s10
	s_addc_u32 s14, s7, s11
	s_add_u32 s12, s8, s10
	s_addc_u32 s13, s9, s11
	s_delay_alu instid0(SALU_CYCLE_1) | instskip(NEXT) | instid1(SALU_CYCLE_1)
	s_or_b64 s[16:17], s[4:5], s[12:13]
	s_or_b32 s2, s3, s16
	s_delay_alu instid0(SALU_CYCLE_1)
	s_and_b32 s2, s2, 3
	s_sub_u32 s4, s4, s10
	s_subb_u32 s5, s5, s11
	s_cmp_eq_u32 s2, 0
	s_mov_b32 s2, -1
	s_cbranch_scc0 .LBB381_37
; %bb.1:
	v_dual_mov_b32 v2, 0 :: v_dual_lshlrev_b32 v1, 2, v0
	s_mov_b32 s15, exec_lo
	s_delay_alu instid0(VALU_DEP_1)
	v_cmpx_gt_i64_e64 s[4:5], v[1:2]
	s_cbranch_execz .LBB381_36
; %bb.2:
	s_load_b32 s2, s[0:1], 0xc5c
	v_mov_b32_e32 v3, 0x7f
	s_mov_b32 s17, 0
	s_waitcnt lgkmcnt(0)
	s_and_b32 s2, s2, 0xffff
	s_delay_alu instid0(SALU_CYCLE_1)
	s_lshl_b32 s16, s2, 2
	s_branch .LBB381_4
.LBB381_3:                              ;   in Loop: Header=BB381_4 Depth=1
	s_or_b32 exec_lo, exec_lo, s2
	v_lshrrev_b32_e32 v10, 24, v10
	v_lshrrev_b32_e32 v8, 24, v8
	v_add_co_u32 v12, vcc_lo, s12, v1
	v_add_co_ci_u32_e32 v13, vcc_lo, s13, v2, vcc_lo
	s_delay_alu instid0(VALU_DEP_4) | instskip(NEXT) | instid1(VALU_DEP_4)
	v_and_b32_e32 v10, 0x80, v10
	v_and_b32_e32 v8, 0x80, v8
	v_add_co_u32 v1, vcc_lo, s16, v1
	v_add_co_ci_u32_e32 v2, vcc_lo, 0, v2, vcc_lo
	s_delay_alu instid0(VALU_DEP_4)
	v_and_or_b32 v9, 0xff, v9, v10
	v_lshlrev_b32_e32 v11, 24, v11
	v_and_b32_e32 v7, 0x80000000, v7
	v_lshrrev_b32_e32 v4, 24, v4
	v_and_or_b32 v6, 0xff, v6, v8
	v_lshlrev_b32_e32 v9, 16, v9
	v_and_b32_e32 v5, 0xff, v5
	v_cmp_le_i64_e32 vcc_lo, s[4:5], v[1:2]
	v_cmp_lt_u64_e64 s2, 0xffff, v[1:2]
	v_lshlrev_b32_e32 v6, 8, v6
	v_or3_b32 v7, v7, v11, v9
	v_and_or_b32 v4, 0x80, v4, v5
	s_delay_alu instid0(VALU_DEP_4) | instskip(NEXT) | instid1(VALU_DEP_1)
	s_or_b32 s2, vcc_lo, s2
	v_or3_b32 v4, v7, v6, v4
	s_and_b32 s2, exec_lo, s2
	s_delay_alu instid0(SALU_CYCLE_1)
	s_or_b32 s17, s2, s17
	global_store_b32 v[12:13], v4, off
	s_and_not1_b32 exec_lo, exec_lo, s17
	s_cbranch_execz .LBB381_36
.LBB381_4:                              ; =>This Inner Loop Header: Depth=1
	v_add_co_u32 v4, vcc_lo, s3, v1
	v_add_co_ci_u32_e32 v5, vcc_lo, s14, v2, vcc_lo
	s_mov_b32 s2, exec_lo
	global_load_b32 v7, v[4:5], off
                                        ; implicit-def: $vgpr5
	s_waitcnt vmcnt(0)
	v_bfe_i32 v4, v7, 0, 8
	s_delay_alu instid0(VALU_DEP_1) | instskip(NEXT) | instid1(VALU_DEP_1)
	v_bfe_i32 v4, v4, 0, 16
	v_cvt_f32_i32_e32 v4, v4
	s_delay_alu instid0(VALU_DEP_1) | instskip(NEXT) | instid1(VALU_DEP_1)
	v_and_b32_e32 v6, 0x7fffffff, v4
	v_cmpx_gt_u32_e32 0x47800000, v6
	s_xor_b32 s2, exec_lo, s2
	s_cbranch_execz .LBB381_10
; %bb.5:                                ;   in Loop: Header=BB381_4 Depth=1
	s_mov_b32 s18, exec_lo
                                        ; implicit-def: $vgpr5
	v_cmpx_lt_u32_e32 0x387fffff, v6
	s_xor_b32 s18, exec_lo, s18
; %bb.6:                                ;   in Loop: Header=BB381_4 Depth=1
	v_bfe_u32 v5, v4, 21, 1
	s_delay_alu instid0(VALU_DEP_1) | instskip(NEXT) | instid1(VALU_DEP_1)
	v_add3_u32 v5, v4, v5, 0x80fffff
	v_lshrrev_b32_e32 v5, 21, v5
; %bb.7:                                ;   in Loop: Header=BB381_4 Depth=1
	s_and_not1_saveexec_b32 s18, s18
; %bb.8:                                ;   in Loop: Header=BB381_4 Depth=1
	v_add_f32_e64 v5, 0x43000000, |v4|
; %bb.9:                                ;   in Loop: Header=BB381_4 Depth=1
	s_or_b32 exec_lo, exec_lo, s18
                                        ; implicit-def: $vgpr6
.LBB381_10:                             ;   in Loop: Header=BB381_4 Depth=1
	s_and_not1_saveexec_b32 s2, s2
; %bb.11:                               ;   in Loop: Header=BB381_4 Depth=1
	v_cmp_lt_u32_e32 vcc_lo, 0x7f800000, v6
	v_cndmask_b32_e32 v5, 0x7c, v3, vcc_lo
; %bb.12:                               ;   in Loop: Header=BB381_4 Depth=1
	s_or_b32 exec_lo, exec_lo, s2
	v_lshrrev_b32_e32 v6, 8, v7
	s_mov_b32 s2, exec_lo
	s_delay_alu instid0(VALU_DEP_1) | instskip(NEXT) | instid1(VALU_DEP_1)
	v_bfe_i32 v6, v6, 0, 8
	v_bfe_i32 v6, v6, 0, 16
	s_delay_alu instid0(VALU_DEP_1) | instskip(NEXT) | instid1(VALU_DEP_1)
	v_cvt_f32_i32_e32 v8, v6
                                        ; implicit-def: $vgpr6
	v_and_b32_e32 v9, 0x7fffffff, v8
	s_delay_alu instid0(VALU_DEP_1)
	v_cmpx_gt_u32_e32 0x47800000, v9
	s_xor_b32 s2, exec_lo, s2
	s_cbranch_execz .LBB381_18
; %bb.13:                               ;   in Loop: Header=BB381_4 Depth=1
	s_mov_b32 s18, exec_lo
                                        ; implicit-def: $vgpr6
	v_cmpx_lt_u32_e32 0x387fffff, v9
	s_xor_b32 s18, exec_lo, s18
; %bb.14:                               ;   in Loop: Header=BB381_4 Depth=1
	v_bfe_u32 v6, v8, 21, 1
	s_delay_alu instid0(VALU_DEP_1) | instskip(NEXT) | instid1(VALU_DEP_1)
	v_add3_u32 v6, v8, v6, 0x80fffff
	v_lshrrev_b32_e32 v6, 21, v6
; %bb.15:                               ;   in Loop: Header=BB381_4 Depth=1
	s_and_not1_saveexec_b32 s18, s18
; %bb.16:                               ;   in Loop: Header=BB381_4 Depth=1
	v_add_f32_e64 v6, 0x43000000, |v8|
; %bb.17:                               ;   in Loop: Header=BB381_4 Depth=1
	s_or_b32 exec_lo, exec_lo, s18
                                        ; implicit-def: $vgpr9
.LBB381_18:                             ;   in Loop: Header=BB381_4 Depth=1
	s_and_not1_saveexec_b32 s2, s2
; %bb.19:                               ;   in Loop: Header=BB381_4 Depth=1
	v_cmp_lt_u32_e32 vcc_lo, 0x7f800000, v9
	v_cndmask_b32_e32 v6, 0x7c, v3, vcc_lo
; %bb.20:                               ;   in Loop: Header=BB381_4 Depth=1
	s_or_b32 exec_lo, exec_lo, s2
	v_lshrrev_b32_e32 v9, 16, v7
	s_mov_b32 s2, exec_lo
	s_delay_alu instid0(VALU_DEP_1) | instskip(NEXT) | instid1(VALU_DEP_1)
	v_bfe_i32 v9, v9, 0, 8
	v_bfe_i32 v9, v9, 0, 16
	s_delay_alu instid0(VALU_DEP_1) | instskip(NEXT) | instid1(VALU_DEP_1)
	v_cvt_f32_i32_e32 v10, v9
                                        ; implicit-def: $vgpr9
	v_and_b32_e32 v11, 0x7fffffff, v10
	s_delay_alu instid0(VALU_DEP_1)
	v_cmpx_gt_u32_e32 0x47800000, v11
	s_xor_b32 s2, exec_lo, s2
	s_cbranch_execz .LBB381_26
; %bb.21:                               ;   in Loop: Header=BB381_4 Depth=1
	s_mov_b32 s18, exec_lo
                                        ; implicit-def: $vgpr9
	v_cmpx_lt_u32_e32 0x387fffff, v11
	s_xor_b32 s18, exec_lo, s18
; %bb.22:                               ;   in Loop: Header=BB381_4 Depth=1
	v_bfe_u32 v9, v10, 21, 1
	s_delay_alu instid0(VALU_DEP_1) | instskip(NEXT) | instid1(VALU_DEP_1)
	v_add3_u32 v9, v10, v9, 0x80fffff
	v_lshrrev_b32_e32 v9, 21, v9
; %bb.23:                               ;   in Loop: Header=BB381_4 Depth=1
	s_and_not1_saveexec_b32 s18, s18
; %bb.24:                               ;   in Loop: Header=BB381_4 Depth=1
	v_add_f32_e64 v9, 0x43000000, |v10|
; %bb.25:                               ;   in Loop: Header=BB381_4 Depth=1
	s_or_b32 exec_lo, exec_lo, s18
                                        ; implicit-def: $vgpr11
.LBB381_26:                             ;   in Loop: Header=BB381_4 Depth=1
	s_and_not1_saveexec_b32 s2, s2
; %bb.27:                               ;   in Loop: Header=BB381_4 Depth=1
	v_cmp_lt_u32_e32 vcc_lo, 0x7f800000, v11
	v_cndmask_b32_e32 v9, 0x7c, v3, vcc_lo
; %bb.28:                               ;   in Loop: Header=BB381_4 Depth=1
	s_or_b32 exec_lo, exec_lo, s2
	v_lshrrev_b32_e32 v7, 24, v7
	s_mov_b32 s2, exec_lo
                                        ; implicit-def: $vgpr11
	s_delay_alu instid0(VALU_DEP_1) | instskip(NEXT) | instid1(VALU_DEP_1)
	v_bfe_i32 v7, v7, 0, 8
	v_bfe_i32 v7, v7, 0, 16
	s_delay_alu instid0(VALU_DEP_1) | instskip(NEXT) | instid1(VALU_DEP_1)
	v_cvt_f32_i32_e32 v7, v7
	v_and_b32_e32 v12, 0x7fffffff, v7
	s_delay_alu instid0(VALU_DEP_1)
	v_cmpx_gt_u32_e32 0x47800000, v12
	s_xor_b32 s2, exec_lo, s2
	s_cbranch_execz .LBB381_34
; %bb.29:                               ;   in Loop: Header=BB381_4 Depth=1
	s_mov_b32 s18, exec_lo
                                        ; implicit-def: $vgpr11
	v_cmpx_lt_u32_e32 0x387fffff, v12
	s_xor_b32 s18, exec_lo, s18
; %bb.30:                               ;   in Loop: Header=BB381_4 Depth=1
	v_bfe_u32 v11, v7, 21, 1
	s_delay_alu instid0(VALU_DEP_1) | instskip(NEXT) | instid1(VALU_DEP_1)
	v_add3_u32 v11, v7, v11, 0x80fffff
	v_lshrrev_b32_e32 v11, 21, v11
; %bb.31:                               ;   in Loop: Header=BB381_4 Depth=1
	s_and_not1_saveexec_b32 s18, s18
; %bb.32:                               ;   in Loop: Header=BB381_4 Depth=1
	v_add_f32_e64 v11, 0x43000000, |v7|
; %bb.33:                               ;   in Loop: Header=BB381_4 Depth=1
	s_or_b32 exec_lo, exec_lo, s18
                                        ; implicit-def: $vgpr12
.LBB381_34:                             ;   in Loop: Header=BB381_4 Depth=1
	s_and_not1_saveexec_b32 s2, s2
	s_cbranch_execz .LBB381_3
; %bb.35:                               ;   in Loop: Header=BB381_4 Depth=1
	v_cmp_lt_u32_e32 vcc_lo, 0x7f800000, v12
	v_cndmask_b32_e32 v11, 0x7c, v3, vcc_lo
	s_branch .LBB381_3
.LBB381_36:
	s_or_b32 exec_lo, exec_lo, s15
	s_mov_b32 s2, 0
.LBB381_37:
	s_delay_alu instid0(SALU_CYCLE_1)
	s_and_not1_b32 vcc_lo, exec_lo, s2
	s_cbranch_vccnz .LBB381_89
; %bb.38:
	v_cmp_lt_i64_e64 s2, s[4:5], 1
	s_delay_alu instid0(VALU_DEP_1)
	s_and_b32 vcc_lo, exec_lo, s2
	s_cbranch_vccnz .LBB381_89
; %bb.39:
	s_load_b32 s0, s[0:1], 0xc5c
	v_add_co_u32 v1, s1, s10, v0
	s_delay_alu instid0(VALU_DEP_1) | instskip(SKIP_1) | instid1(VALU_DEP_3)
	v_add_co_ci_u32_e64 v2, null, s11, 0, s1
	v_cmp_gt_u64_e64 s1, 0x10000, s[4:5]
	v_add_co_u32 v9, vcc_lo, s6, v1
	s_delay_alu instid0(VALU_DEP_3)
	v_add_co_ci_u32_e32 v10, vcc_lo, s7, v2, vcc_lo
	v_add_co_u32 v11, vcc_lo, s8, v1
	v_add_co_ci_u32_e32 v12, vcc_lo, s9, v2, vcc_lo
	v_mov_b32_e32 v31, 0x7f
                                        ; implicit-def: $vgpr32
                                        ; implicit-def: $vgpr33
                                        ; implicit-def: $vgpr34
                                        ; implicit-def: $vgpr35
	s_waitcnt lgkmcnt(0)
	s_and_b32 s0, s0, 0xffff
	s_and_b32 s1, s1, exec_lo
	s_mul_i32 s13, s0, 3
	s_cselect_b32 s3, s5, 0
	s_cselect_b32 s2, s4, 0x10000
	s_lshl_b32 s12, s0, 1
	s_lshl_b32 s1, s0, 2
	s_add_u32 s14, s10, s13
	s_addc_u32 s15, s11, 0
	v_add_co_u32 v3, s14, s14, v0
	s_delay_alu instid0(VALU_DEP_1) | instskip(SKIP_1) | instid1(VALU_DEP_2)
	v_add_co_ci_u32_e64 v4, null, s15, 0, s14
	s_add_u32 s10, s10, s12
	v_add_co_u32 v13, vcc_lo, s6, v3
	s_delay_alu instid0(VALU_DEP_2)
	v_add_co_ci_u32_e32 v14, vcc_lo, s7, v4, vcc_lo
	v_add_co_u32 v15, vcc_lo, s8, v3
	s_addc_u32 s11, s11, 0
	v_add_co_u32 v3, s10, s10, v0
	v_add_co_ci_u32_e32 v16, vcc_lo, s9, v4, vcc_lo
	v_add_co_ci_u32_e64 v4, null, s11, 0, s10
	s_delay_alu instid0(VALU_DEP_3) | instskip(SKIP_1) | instid1(VALU_DEP_3)
	v_add_co_u32 v19, vcc_lo, s6, v3
	v_add_co_u32 v17, s10, s13, v0
	v_add_co_ci_u32_e32 v20, vcc_lo, s7, v4, vcc_lo
	v_add_co_u32 v21, vcc_lo, s8, v3
	v_add_co_ci_u32_e32 v22, vcc_lo, s9, v4, vcc_lo
	v_add_co_u32 v1, vcc_lo, v1, s0
	v_add_co_ci_u32_e32 v2, vcc_lo, 0, v2, vcc_lo
	v_add_co_ci_u32_e64 v18, null, 0, 0, s10
	s_delay_alu instid0(VALU_DEP_3) | instskip(NEXT) | instid1(VALU_DEP_3)
	v_add_co_u32 v25, vcc_lo, s6, v1
	v_add_co_ci_u32_e32 v26, vcc_lo, s7, v2, vcc_lo
	v_add_co_u32 v23, s10, s12, v0
	v_add_co_u32 v27, vcc_lo, s8, v1
	v_add_co_u32 v29, s0, v0, s0
	v_add_co_ci_u32_e64 v24, null, 0, 0, s10
	v_add_co_ci_u32_e32 v28, vcc_lo, s9, v2, vcc_lo
	v_add_co_ci_u32_e64 v30, null, 0, 0, s0
	s_mov_b64 s[6:7], 0
	s_branch .LBB381_41
.LBB381_40:                             ;   in Loop: Header=BB381_41 Depth=1
	s_or_b32 exec_lo, exec_lo, s0
	s_add_u32 s6, s6, s1
	s_addc_u32 s7, s7, 0
	s_delay_alu instid0(SALU_CYCLE_1) | instskip(SKIP_1) | instid1(VALU_DEP_1)
	v_cmp_ge_i64_e64 s0, s[6:7], s[4:5]
	v_cmp_lt_u64_e64 s8, 0xffff, s[6:7]
	s_or_b32 s0, s0, s8
	s_delay_alu instid0(SALU_CYCLE_1)
	s_and_b32 vcc_lo, exec_lo, s0
	s_cbranch_vccnz .LBB381_89
.LBB381_41:                             ; =>This Inner Loop Header: Depth=1
	v_add_co_u32 v1, s0, v0, s6
	s_delay_alu instid0(VALU_DEP_1) | instskip(NEXT) | instid1(VALU_DEP_1)
	v_add_co_ci_u32_e64 v2, null, 0, s7, s0
	v_cmp_gt_i64_e32 vcc_lo, s[4:5], v[1:2]
	v_cmp_gt_u64_e64 s0, 0x10000, v[1:2]
	s_delay_alu instid0(VALU_DEP_1) | instskip(NEXT) | instid1(SALU_CYCLE_1)
	s_and_b32 s8, vcc_lo, s0
	s_and_saveexec_b32 s0, s8
	s_cbranch_execz .LBB381_43
; %bb.42:                               ;   in Loop: Header=BB381_41 Depth=1
	v_add_co_u32 v3, vcc_lo, v9, s6
	v_add_co_ci_u32_e32 v4, vcc_lo, s7, v10, vcc_lo
	global_load_u8 v32, v[3:4], off
.LBB381_43:                             ;   in Loop: Header=BB381_41 Depth=1
	s_or_b32 exec_lo, exec_lo, s0
	v_add_co_u32 v3, vcc_lo, v29, s6
	v_add_co_ci_u32_e32 v4, vcc_lo, s7, v30, vcc_lo
	s_delay_alu instid0(VALU_DEP_1) | instskip(SKIP_1) | instid1(VALU_DEP_1)
	v_cmp_gt_i64_e32 vcc_lo, s[4:5], v[3:4]
	v_cmp_gt_u64_e64 s0, 0x10000, v[3:4]
	s_and_b32 s8, vcc_lo, s0
	s_delay_alu instid0(SALU_CYCLE_1)
	s_and_saveexec_b32 s0, s8
	s_cbranch_execz .LBB381_45
; %bb.44:                               ;   in Loop: Header=BB381_41 Depth=1
	v_add_co_u32 v5, vcc_lo, v25, s6
	v_add_co_ci_u32_e32 v6, vcc_lo, s7, v26, vcc_lo
	global_load_u8 v33, v[5:6], off
.LBB381_45:                             ;   in Loop: Header=BB381_41 Depth=1
	s_or_b32 exec_lo, exec_lo, s0
	v_add_co_u32 v5, vcc_lo, v23, s6
	v_add_co_ci_u32_e32 v6, vcc_lo, s7, v24, vcc_lo
	s_delay_alu instid0(VALU_DEP_1) | instskip(SKIP_1) | instid1(VALU_DEP_1)
	v_cmp_gt_i64_e32 vcc_lo, s[4:5], v[5:6]
	v_cmp_gt_u64_e64 s0, 0x10000, v[5:6]
	s_and_b32 s8, vcc_lo, s0
	s_delay_alu instid0(SALU_CYCLE_1)
	s_and_saveexec_b32 s0, s8
	s_cbranch_execz .LBB381_47
; %bb.46:                               ;   in Loop: Header=BB381_41 Depth=1
	v_add_co_u32 v7, vcc_lo, v19, s6
	v_add_co_ci_u32_e32 v8, vcc_lo, s7, v20, vcc_lo
	global_load_u8 v34, v[7:8], off
.LBB381_47:                             ;   in Loop: Header=BB381_41 Depth=1
	s_or_b32 exec_lo, exec_lo, s0
	v_add_co_u32 v7, vcc_lo, v17, s6
	v_add_co_ci_u32_e32 v8, vcc_lo, s7, v18, vcc_lo
	s_delay_alu instid0(VALU_DEP_1) | instskip(SKIP_1) | instid1(VALU_DEP_1)
	v_cmp_gt_i64_e32 vcc_lo, s[4:5], v[7:8]
	v_cmp_gt_u64_e64 s0, 0x10000, v[7:8]
	s_and_b32 s8, vcc_lo, s0
	s_delay_alu instid0(SALU_CYCLE_1)
	s_and_saveexec_b32 s0, s8
	s_cbranch_execz .LBB381_49
; %bb.48:                               ;   in Loop: Header=BB381_41 Depth=1
	v_add_co_u32 v35, vcc_lo, v13, s6
	v_add_co_ci_u32_e32 v36, vcc_lo, s7, v14, vcc_lo
	global_load_u8 v35, v[35:36], off
.LBB381_49:                             ;   in Loop: Header=BB381_41 Depth=1
	s_or_b32 exec_lo, exec_lo, s0
	s_waitcnt vmcnt(0)
	v_bfe_i32 v36, v32, 0, 8
	s_mov_b32 s0, exec_lo
                                        ; implicit-def: $vgpr37
	s_delay_alu instid0(VALU_DEP_1) | instskip(NEXT) | instid1(VALU_DEP_1)
	v_bfe_i32 v36, v36, 0, 16
	v_cvt_f32_i32_e32 v36, v36
	s_delay_alu instid0(VALU_DEP_1) | instskip(NEXT) | instid1(VALU_DEP_1)
	v_and_b32_e32 v38, 0x7fffffff, v36
	v_cmpx_gt_u32_e32 0x47800000, v38
	s_xor_b32 s0, exec_lo, s0
	s_cbranch_execz .LBB381_55
; %bb.50:                               ;   in Loop: Header=BB381_41 Depth=1
	s_mov_b32 s8, exec_lo
                                        ; implicit-def: $vgpr37
	v_cmpx_lt_u32_e32 0x387fffff, v38
	s_xor_b32 s8, exec_lo, s8
; %bb.51:                               ;   in Loop: Header=BB381_41 Depth=1
	v_bfe_u32 v37, v36, 21, 1
	s_delay_alu instid0(VALU_DEP_1) | instskip(NEXT) | instid1(VALU_DEP_1)
	v_add3_u32 v37, v36, v37, 0x80fffff
	v_lshrrev_b32_e32 v37, 21, v37
; %bb.52:                               ;   in Loop: Header=BB381_41 Depth=1
	s_and_not1_saveexec_b32 s8, s8
; %bb.53:                               ;   in Loop: Header=BB381_41 Depth=1
	v_add_f32_e64 v37, 0x43000000, |v36|
; %bb.54:                               ;   in Loop: Header=BB381_41 Depth=1
	s_or_b32 exec_lo, exec_lo, s8
                                        ; implicit-def: $vgpr38
.LBB381_55:                             ;   in Loop: Header=BB381_41 Depth=1
	s_and_not1_saveexec_b32 s0, s0
; %bb.56:                               ;   in Loop: Header=BB381_41 Depth=1
	v_cmp_lt_u32_e32 vcc_lo, 0x7f800000, v38
	v_cndmask_b32_e32 v37, 0x7c, v31, vcc_lo
; %bb.57:                               ;   in Loop: Header=BB381_41 Depth=1
	s_or_b32 exec_lo, exec_lo, s0
	v_bfe_i32 v38, v33, 0, 8
	s_mov_b32 s0, exec_lo
                                        ; implicit-def: $vgpr39
	s_delay_alu instid0(VALU_DEP_1) | instskip(NEXT) | instid1(VALU_DEP_1)
	v_bfe_i32 v38, v38, 0, 16
	v_cvt_f32_i32_e32 v38, v38
	s_delay_alu instid0(VALU_DEP_1) | instskip(NEXT) | instid1(VALU_DEP_1)
	v_and_b32_e32 v40, 0x7fffffff, v38
	v_cmpx_gt_u32_e32 0x47800000, v40
	s_xor_b32 s0, exec_lo, s0
	s_cbranch_execz .LBB381_63
; %bb.58:                               ;   in Loop: Header=BB381_41 Depth=1
	s_mov_b32 s8, exec_lo
                                        ; implicit-def: $vgpr39
	v_cmpx_lt_u32_e32 0x387fffff, v40
	s_xor_b32 s8, exec_lo, s8
; %bb.59:                               ;   in Loop: Header=BB381_41 Depth=1
	v_bfe_u32 v39, v38, 21, 1
	s_delay_alu instid0(VALU_DEP_1) | instskip(NEXT) | instid1(VALU_DEP_1)
	v_add3_u32 v39, v38, v39, 0x80fffff
	v_lshrrev_b32_e32 v39, 21, v39
; %bb.60:                               ;   in Loop: Header=BB381_41 Depth=1
	s_and_not1_saveexec_b32 s8, s8
; %bb.61:                               ;   in Loop: Header=BB381_41 Depth=1
	v_add_f32_e64 v39, 0x43000000, |v38|
; %bb.62:                               ;   in Loop: Header=BB381_41 Depth=1
	s_or_b32 exec_lo, exec_lo, s8
                                        ; implicit-def: $vgpr40
.LBB381_63:                             ;   in Loop: Header=BB381_41 Depth=1
	s_and_not1_saveexec_b32 s0, s0
; %bb.64:                               ;   in Loop: Header=BB381_41 Depth=1
	v_cmp_lt_u32_e32 vcc_lo, 0x7f800000, v40
	v_cndmask_b32_e32 v39, 0x7c, v31, vcc_lo
; %bb.65:                               ;   in Loop: Header=BB381_41 Depth=1
	s_or_b32 exec_lo, exec_lo, s0
	v_bfe_i32 v40, v34, 0, 8
	s_mov_b32 s0, exec_lo
                                        ; implicit-def: $vgpr41
	s_delay_alu instid0(VALU_DEP_1) | instskip(NEXT) | instid1(VALU_DEP_1)
	v_bfe_i32 v40, v40, 0, 16
	v_cvt_f32_i32_e32 v40, v40
	s_delay_alu instid0(VALU_DEP_1) | instskip(NEXT) | instid1(VALU_DEP_1)
	v_and_b32_e32 v42, 0x7fffffff, v40
	v_cmpx_gt_u32_e32 0x47800000, v42
	s_xor_b32 s0, exec_lo, s0
	s_cbranch_execz .LBB381_71
; %bb.66:                               ;   in Loop: Header=BB381_41 Depth=1
	s_mov_b32 s8, exec_lo
                                        ; implicit-def: $vgpr41
	v_cmpx_lt_u32_e32 0x387fffff, v42
	s_xor_b32 s8, exec_lo, s8
; %bb.67:                               ;   in Loop: Header=BB381_41 Depth=1
	v_bfe_u32 v41, v40, 21, 1
	s_delay_alu instid0(VALU_DEP_1) | instskip(NEXT) | instid1(VALU_DEP_1)
	v_add3_u32 v41, v40, v41, 0x80fffff
	v_lshrrev_b32_e32 v41, 21, v41
; %bb.68:                               ;   in Loop: Header=BB381_41 Depth=1
	s_and_not1_saveexec_b32 s8, s8
; %bb.69:                               ;   in Loop: Header=BB381_41 Depth=1
	v_add_f32_e64 v41, 0x43000000, |v40|
; %bb.70:                               ;   in Loop: Header=BB381_41 Depth=1
	s_or_b32 exec_lo, exec_lo, s8
                                        ; implicit-def: $vgpr42
.LBB381_71:                             ;   in Loop: Header=BB381_41 Depth=1
	s_and_not1_saveexec_b32 s0, s0
; %bb.72:                               ;   in Loop: Header=BB381_41 Depth=1
	v_cmp_lt_u32_e32 vcc_lo, 0x7f800000, v42
	v_cndmask_b32_e32 v41, 0x7c, v31, vcc_lo
; %bb.73:                               ;   in Loop: Header=BB381_41 Depth=1
	s_or_b32 exec_lo, exec_lo, s0
	v_bfe_i32 v42, v35, 0, 8
	s_mov_b32 s0, exec_lo
                                        ; implicit-def: $vgpr43
	s_delay_alu instid0(VALU_DEP_1) | instskip(NEXT) | instid1(VALU_DEP_1)
	v_bfe_i32 v42, v42, 0, 16
	v_cvt_f32_i32_e32 v42, v42
	s_delay_alu instid0(VALU_DEP_1) | instskip(NEXT) | instid1(VALU_DEP_1)
	v_and_b32_e32 v44, 0x7fffffff, v42
	v_cmpx_gt_u32_e32 0x47800000, v44
	s_xor_b32 s0, exec_lo, s0
	s_cbranch_execz .LBB381_79
; %bb.74:                               ;   in Loop: Header=BB381_41 Depth=1
	s_mov_b32 s8, exec_lo
                                        ; implicit-def: $vgpr43
	v_cmpx_lt_u32_e32 0x387fffff, v44
	s_xor_b32 s8, exec_lo, s8
; %bb.75:                               ;   in Loop: Header=BB381_41 Depth=1
	v_bfe_u32 v43, v42, 21, 1
	s_delay_alu instid0(VALU_DEP_1) | instskip(NEXT) | instid1(VALU_DEP_1)
	v_add3_u32 v43, v42, v43, 0x80fffff
	v_lshrrev_b32_e32 v43, 21, v43
; %bb.76:                               ;   in Loop: Header=BB381_41 Depth=1
	s_and_not1_saveexec_b32 s8, s8
; %bb.77:                               ;   in Loop: Header=BB381_41 Depth=1
	v_add_f32_e64 v43, 0x43000000, |v42|
; %bb.78:                               ;   in Loop: Header=BB381_41 Depth=1
	s_or_b32 exec_lo, exec_lo, s8
                                        ; implicit-def: $vgpr44
.LBB381_79:                             ;   in Loop: Header=BB381_41 Depth=1
	s_and_not1_saveexec_b32 s0, s0
; %bb.80:                               ;   in Loop: Header=BB381_41 Depth=1
	v_cmp_lt_u32_e32 vcc_lo, 0x7f800000, v44
	v_cndmask_b32_e32 v43, 0x7c, v31, vcc_lo
; %bb.81:                               ;   in Loop: Header=BB381_41 Depth=1
	s_or_b32 exec_lo, exec_lo, s0
	s_delay_alu instid0(SALU_CYCLE_1)
	s_mov_b32 s0, exec_lo
	v_cmpx_gt_u64_e64 s[2:3], v[1:2]
	s_xor_b32 s0, exec_lo, s0
	s_cbranch_execnz .LBB381_85
; %bb.82:                               ;   in Loop: Header=BB381_41 Depth=1
	s_or_b32 exec_lo, exec_lo, s0
	s_delay_alu instid0(SALU_CYCLE_1)
	s_mov_b32 s0, exec_lo
	v_cmpx_gt_u64_e64 s[2:3], v[3:4]
	s_cbranch_execnz .LBB381_86
.LBB381_83:                             ;   in Loop: Header=BB381_41 Depth=1
	s_or_b32 exec_lo, exec_lo, s0
	s_delay_alu instid0(SALU_CYCLE_1)
	s_mov_b32 s0, exec_lo
	v_cmpx_gt_u64_e64 s[2:3], v[5:6]
	s_cbranch_execnz .LBB381_87
.LBB381_84:                             ;   in Loop: Header=BB381_41 Depth=1
	s_or_b32 exec_lo, exec_lo, s0
	s_delay_alu instid0(SALU_CYCLE_1)
	s_mov_b32 s0, exec_lo
	v_cmpx_gt_u64_e64 s[2:3], v[7:8]
	s_cbranch_execz .LBB381_40
	s_branch .LBB381_88
.LBB381_85:                             ;   in Loop: Header=BB381_41 Depth=1
	v_lshrrev_b32_e32 v1, 24, v36
	s_delay_alu instid0(VALU_DEP_1) | instskip(SKIP_4) | instid1(SALU_CYCLE_1)
	v_and_or_b32 v36, 0x80, v1, v37
	v_add_co_u32 v1, vcc_lo, v11, s6
	v_add_co_ci_u32_e32 v2, vcc_lo, s7, v12, vcc_lo
	global_store_b8 v[1:2], v36, off
	s_or_b32 exec_lo, exec_lo, s0
	s_mov_b32 s0, exec_lo
	v_cmpx_gt_u64_e64 s[2:3], v[3:4]
	s_cbranch_execz .LBB381_83
.LBB381_86:                             ;   in Loop: Header=BB381_41 Depth=1
	v_lshrrev_b32_e32 v1, 24, v38
	s_delay_alu instid0(VALU_DEP_1) | instskip(SKIP_4) | instid1(SALU_CYCLE_1)
	v_and_or_b32 v3, 0x80, v1, v39
	v_add_co_u32 v1, vcc_lo, v27, s6
	v_add_co_ci_u32_e32 v2, vcc_lo, s7, v28, vcc_lo
	global_store_b8 v[1:2], v3, off
	s_or_b32 exec_lo, exec_lo, s0
	s_mov_b32 s0, exec_lo
	v_cmpx_gt_u64_e64 s[2:3], v[5:6]
	s_cbranch_execz .LBB381_84
.LBB381_87:                             ;   in Loop: Header=BB381_41 Depth=1
	v_lshrrev_b32_e32 v1, 24, v40
	s_delay_alu instid0(VALU_DEP_1) | instskip(SKIP_4) | instid1(SALU_CYCLE_1)
	v_and_or_b32 v3, 0x80, v1, v41
	v_add_co_u32 v1, vcc_lo, v21, s6
	v_add_co_ci_u32_e32 v2, vcc_lo, s7, v22, vcc_lo
	global_store_b8 v[1:2], v3, off
	s_or_b32 exec_lo, exec_lo, s0
	s_mov_b32 s0, exec_lo
	v_cmpx_gt_u64_e64 s[2:3], v[7:8]
	s_cbranch_execz .LBB381_40
.LBB381_88:                             ;   in Loop: Header=BB381_41 Depth=1
	v_lshrrev_b32_e32 v1, 24, v42
	s_delay_alu instid0(VALU_DEP_1)
	v_and_or_b32 v3, 0x80, v1, v43
	v_add_co_u32 v1, vcc_lo, v15, s6
	v_add_co_ci_u32_e32 v2, vcc_lo, s7, v16, vcc_lo
	global_store_b8 v[1:2], v3, off
	s_branch .LBB381_40
.LBB381_89:
	s_nop 0
	s_sendmsg sendmsg(MSG_DEALLOC_VGPRS)
	s_endpgm
	.section	.rodata,"a",@progbits
	.p2align	6, 0x0
	.amdhsa_kernel _ZN2at6native12_GLOBAL__N_125multi_tensor_apply_kernelINS1_18TensorListMetadataILi2EEENS1_11CopyFunctorIN3c1011Float8_e5m2EaLi2ELi1ELi1EEEJNS0_4CopyIS7_aEEEEEvT_T0_DpT1_
		.amdhsa_group_segment_fixed_size 0
		.amdhsa_private_segment_fixed_size 0
		.amdhsa_kernarg_size 3408
		.amdhsa_user_sgpr_count 15
		.amdhsa_user_sgpr_dispatch_ptr 0
		.amdhsa_user_sgpr_queue_ptr 0
		.amdhsa_user_sgpr_kernarg_segment_ptr 1
		.amdhsa_user_sgpr_dispatch_id 0
		.amdhsa_user_sgpr_private_segment_size 0
		.amdhsa_wavefront_size32 1
		.amdhsa_uses_dynamic_stack 0
		.amdhsa_enable_private_segment 0
		.amdhsa_system_sgpr_workgroup_id_x 1
		.amdhsa_system_sgpr_workgroup_id_y 0
		.amdhsa_system_sgpr_workgroup_id_z 0
		.amdhsa_system_sgpr_workgroup_info 0
		.amdhsa_system_vgpr_workitem_id 0
		.amdhsa_next_free_vgpr 45
		.amdhsa_next_free_sgpr 19
		.amdhsa_reserve_vcc 1
		.amdhsa_float_round_mode_32 0
		.amdhsa_float_round_mode_16_64 0
		.amdhsa_float_denorm_mode_32 3
		.amdhsa_float_denorm_mode_16_64 3
		.amdhsa_dx10_clamp 1
		.amdhsa_ieee_mode 1
		.amdhsa_fp16_overflow 0
		.amdhsa_workgroup_processor_mode 1
		.amdhsa_memory_ordered 1
		.amdhsa_forward_progress 0
		.amdhsa_shared_vgpr_count 0
		.amdhsa_exception_fp_ieee_invalid_op 0
		.amdhsa_exception_fp_denorm_src 0
		.amdhsa_exception_fp_ieee_div_zero 0
		.amdhsa_exception_fp_ieee_overflow 0
		.amdhsa_exception_fp_ieee_underflow 0
		.amdhsa_exception_fp_ieee_inexact 0
		.amdhsa_exception_int_div_zero 0
	.end_amdhsa_kernel
	.section	.text._ZN2at6native12_GLOBAL__N_125multi_tensor_apply_kernelINS1_18TensorListMetadataILi2EEENS1_11CopyFunctorIN3c1011Float8_e5m2EaLi2ELi1ELi1EEEJNS0_4CopyIS7_aEEEEEvT_T0_DpT1_,"axG",@progbits,_ZN2at6native12_GLOBAL__N_125multi_tensor_apply_kernelINS1_18TensorListMetadataILi2EEENS1_11CopyFunctorIN3c1011Float8_e5m2EaLi2ELi1ELi1EEEJNS0_4CopyIS7_aEEEEEvT_T0_DpT1_,comdat
.Lfunc_end381:
	.size	_ZN2at6native12_GLOBAL__N_125multi_tensor_apply_kernelINS1_18TensorListMetadataILi2EEENS1_11CopyFunctorIN3c1011Float8_e5m2EaLi2ELi1ELi1EEEJNS0_4CopyIS7_aEEEEEvT_T0_DpT1_, .Lfunc_end381-_ZN2at6native12_GLOBAL__N_125multi_tensor_apply_kernelINS1_18TensorListMetadataILi2EEENS1_11CopyFunctorIN3c1011Float8_e5m2EaLi2ELi1ELi1EEEJNS0_4CopyIS7_aEEEEEvT_T0_DpT1_
                                        ; -- End function
	.section	.AMDGPU.csdata,"",@progbits
; Kernel info:
; codeLenInByte = 2676
; NumSgprs: 21
; NumVgprs: 45
; ScratchSize: 0
; MemoryBound: 0
; FloatMode: 240
; IeeeMode: 1
; LDSByteSize: 0 bytes/workgroup (compile time only)
; SGPRBlocks: 2
; VGPRBlocks: 5
; NumSGPRsForWavesPerEU: 21
; NumVGPRsForWavesPerEU: 45
; Occupancy: 16
; WaveLimiterHint : 0
; COMPUTE_PGM_RSRC2:SCRATCH_EN: 0
; COMPUTE_PGM_RSRC2:USER_SGPR: 15
; COMPUTE_PGM_RSRC2:TRAP_HANDLER: 0
; COMPUTE_PGM_RSRC2:TGID_X_EN: 1
; COMPUTE_PGM_RSRC2:TGID_Y_EN: 0
; COMPUTE_PGM_RSRC2:TGID_Z_EN: 0
; COMPUTE_PGM_RSRC2:TIDIG_COMP_CNT: 0
	.section	.text._ZN2at6native12_GLOBAL__N_125multi_tensor_apply_kernelINS1_18TensorListMetadataILi2EEENS1_11CopyFunctorIN3c1011Float8_e5m2ElLi2ELi1ELi1EEEJNS0_4CopyIS7_lEEEEEvT_T0_DpT1_,"axG",@progbits,_ZN2at6native12_GLOBAL__N_125multi_tensor_apply_kernelINS1_18TensorListMetadataILi2EEENS1_11CopyFunctorIN3c1011Float8_e5m2ElLi2ELi1ELi1EEEJNS0_4CopyIS7_lEEEEEvT_T0_DpT1_,comdat
	.globl	_ZN2at6native12_GLOBAL__N_125multi_tensor_apply_kernelINS1_18TensorListMetadataILi2EEENS1_11CopyFunctorIN3c1011Float8_e5m2ElLi2ELi1ELi1EEEJNS0_4CopyIS7_lEEEEEvT_T0_DpT1_ ; -- Begin function _ZN2at6native12_GLOBAL__N_125multi_tensor_apply_kernelINS1_18TensorListMetadataILi2EEENS1_11CopyFunctorIN3c1011Float8_e5m2ElLi2ELi1ELi1EEEJNS0_4CopyIS7_lEEEEEvT_T0_DpT1_
	.p2align	8
	.type	_ZN2at6native12_GLOBAL__N_125multi_tensor_apply_kernelINS1_18TensorListMetadataILi2EEENS1_11CopyFunctorIN3c1011Float8_e5m2ElLi2ELi1ELi1EEEJNS0_4CopyIS7_lEEEEEvT_T0_DpT1_,@function
_ZN2at6native12_GLOBAL__N_125multi_tensor_apply_kernelINS1_18TensorListMetadataILi2EEENS1_11CopyFunctorIN3c1011Float8_e5m2ElLi2ELi1ELi1EEEJNS0_4CopyIS7_lEEEEEvT_T0_DpT1_: ; @_ZN2at6native12_GLOBAL__N_125multi_tensor_apply_kernelINS1_18TensorListMetadataILi2EEENS1_11CopyFunctorIN3c1011Float8_e5m2ElLi2ELi1ELi1EEEJNS0_4CopyIS7_lEEEEEvT_T0_DpT1_
; %bb.0:
	v_mov_b32_e32 v1, s15
	s_add_u32 s2, s0, s15
	s_mul_i32 s4, s15, 3
	s_addc_u32 s3, s1, 0
	s_mul_hi_u32 s5, s15, 3
	global_load_u8 v1, v1, s[0:1] offset:1536
	s_add_u32 s2, s2, s4
	s_addc_u32 s3, s3, s5
	s_mov_b32 s17, 0
	s_load_b32 s10, s[2:3], 0x740
	s_waitcnt lgkmcnt(0)
	s_ashr_i32 s11, s10, 31
	s_delay_alu instid0(SALU_CYCLE_1) | instskip(SKIP_2) | instid1(VALU_DEP_1)
	s_lshl_b64 s[8:9], s[10:11], 16
	s_waitcnt vmcnt(0)
	v_readfirstlane_b32 s4, v1
	s_lshl_b32 s4, s4, 3
	s_clause 0x2
	s_load_b64 s[6:7], s[0:1], s4 offset:0x200
	s_load_b64 s[2:3], s[0:1], s4 offset:0x400
	;; [unrolled: 1-line block ×3, first 2 shown]
	s_waitcnt lgkmcnt(0)
	s_add_u32 s14, s6, s8
	s_addc_u32 s15, s7, s9
	s_delay_alu instid0(SALU_CYCLE_1) | instskip(SKIP_2) | instid1(SALU_CYCLE_1)
	s_or_b64 s[4:5], s[2:3], s[14:15]
	s_and_b32 s5, s12, 31
	s_and_b32 s4, s4, 3
	s_or_b32 s16, s4, s5
	s_sub_u32 s4, s2, s8
	s_subb_u32 s5, s3, s9
	s_cmp_eq_u64 s[16:17], 0
	s_mov_b32 s2, -1
	s_cbranch_scc0 .LBB382_37
; %bb.1:
	v_dual_mov_b32 v10, 0 :: v_dual_lshlrev_b32 v9, 2, v0
	s_mov_b32 s3, exec_lo
	s_delay_alu instid0(VALU_DEP_1)
	v_cmpx_gt_i64_e64 s[4:5], v[9:10]
	s_cbranch_execz .LBB382_36
; %bb.2:
	s_load_b32 s2, s[0:1], 0xc5c
	v_lshlrev_b32_e32 v1, 5, v0
	s_lshl_b64 s[18:19], s[10:11], 19
	v_mov_b32_e32 v13, 0x7f
	s_waitcnt lgkmcnt(0)
	s_and_b32 s2, s2, 0xffff
	s_delay_alu instid0(SALU_CYCLE_1) | instskip(SKIP_3) | instid1(VALU_DEP_1)
	s_lshl_b32 s16, s2, 2
	s_add_u32 s17, s12, s18
	s_addc_u32 s18, s13, s19
	v_add_co_u32 v11, s17, s17, v1
	v_add_co_ci_u32_e64 v12, null, s18, 0, s17
	s_mov_b32 s17, 0
	s_lshl_b32 s18, s2, 5
	s_branch .LBB382_4
.LBB382_3:                              ;   in Loop: Header=BB382_4 Depth=1
	s_or_b32 exec_lo, exec_lo, s2
	v_lshrrev_b32_e32 v2, 24, v2
	v_lshrrev_b32_e32 v8, 24, v8
	v_add_co_u32 v14, vcc_lo, s14, v9
	v_add_co_ci_u32_e32 v15, vcc_lo, s15, v10, vcc_lo
	s_delay_alu instid0(VALU_DEP_4) | instskip(NEXT) | instid1(VALU_DEP_4)
	v_and_b32_e32 v2, 0x80, v2
	v_and_b32_e32 v8, 0x80, v8
	v_add_co_u32 v9, vcc_lo, s16, v9
	v_add_co_ci_u32_e32 v10, vcc_lo, 0, v10, vcc_lo
	s_delay_alu instid0(VALU_DEP_4)
	v_and_or_b32 v1, 0xff, v1, v2
	v_lshrrev_b32_e32 v6, 24, v6
	v_lshlrev_b32_e32 v4, 24, v4
	v_and_or_b32 v2, 0xff, v7, v8
	v_and_b32_e32 v3, 0x80000000, v3
	v_and_b32_e32 v5, 0xff, v5
	v_lshlrev_b32_e32 v1, 16, v1
	v_cmp_le_i64_e32 vcc_lo, s[4:5], v[9:10]
	v_cmp_lt_u64_e64 s2, 0xffff, v[9:10]
	v_lshlrev_b32_e32 v2, 8, v2
	v_and_or_b32 v5, 0x80, v6, v5
	v_or3_b32 v1, v3, v4, v1
	s_delay_alu instid0(VALU_DEP_4) | instskip(SKIP_1) | instid1(VALU_DEP_2)
	s_or_b32 s2, vcc_lo, s2
	v_add_co_u32 v11, vcc_lo, v11, s18
	v_or3_b32 v1, v1, v2, v5
	v_add_co_ci_u32_e32 v12, vcc_lo, 0, v12, vcc_lo
	s_and_b32 s2, exec_lo, s2
	s_delay_alu instid0(SALU_CYCLE_1)
	s_or_b32 s17, s2, s17
	global_store_b32 v[14:15], v1, off
	s_and_not1_b32 exec_lo, exec_lo, s17
	s_cbranch_execz .LBB382_36
.LBB382_4:                              ; =>This Inner Loop Header: Depth=1
	s_clause 0x1
	global_load_b128 v[5:8], v[11:12], off
	global_load_b128 v[1:4], v[11:12], off offset:16
	s_mov_b32 s2, exec_lo
	s_waitcnt vmcnt(1)
	v_xor_b32_e32 v14, v5, v6
	v_cls_i32_e32 v15, v6
	s_delay_alu instid0(VALU_DEP_2) | instskip(NEXT) | instid1(VALU_DEP_2)
	v_ashrrev_i32_e32 v14, 31, v14
	v_add_nc_u32_e32 v15, -1, v15
	s_delay_alu instid0(VALU_DEP_2) | instskip(NEXT) | instid1(VALU_DEP_1)
	v_add_nc_u32_e32 v14, 32, v14
	v_min_u32_e32 v14, v15, v14
	s_delay_alu instid0(VALU_DEP_1) | instskip(NEXT) | instid1(VALU_DEP_1)
	v_lshlrev_b64 v[5:6], v14, v[5:6]
	v_min_u32_e32 v5, 1, v5
	s_delay_alu instid0(VALU_DEP_1) | instskip(SKIP_1) | instid1(VALU_DEP_2)
	v_or_b32_e32 v5, v6, v5
	v_sub_nc_u32_e32 v6, 32, v14
	v_cvt_f32_i32_e32 v5, v5
	s_delay_alu instid0(VALU_DEP_1) | instskip(NEXT) | instid1(VALU_DEP_1)
	v_ldexp_f32 v6, v5, v6
                                        ; implicit-def: $vgpr5
	v_and_b32_e32 v14, 0x7fffffff, v6
	s_delay_alu instid0(VALU_DEP_1)
	v_cmpx_gt_u32_e32 0x47800000, v14
	s_xor_b32 s2, exec_lo, s2
	s_cbranch_execz .LBB382_10
; %bb.5:                                ;   in Loop: Header=BB382_4 Depth=1
	s_mov_b32 s19, exec_lo
                                        ; implicit-def: $vgpr5
	v_cmpx_lt_u32_e32 0x387fffff, v14
	s_xor_b32 s19, exec_lo, s19
; %bb.6:                                ;   in Loop: Header=BB382_4 Depth=1
	v_bfe_u32 v5, v6, 21, 1
	s_delay_alu instid0(VALU_DEP_1) | instskip(NEXT) | instid1(VALU_DEP_1)
	v_add3_u32 v5, v6, v5, 0x80fffff
	v_lshrrev_b32_e32 v5, 21, v5
; %bb.7:                                ;   in Loop: Header=BB382_4 Depth=1
	s_and_not1_saveexec_b32 s19, s19
; %bb.8:                                ;   in Loop: Header=BB382_4 Depth=1
	v_add_f32_e64 v5, 0x43000000, |v6|
; %bb.9:                                ;   in Loop: Header=BB382_4 Depth=1
	s_or_b32 exec_lo, exec_lo, s19
                                        ; implicit-def: $vgpr14
.LBB382_10:                             ;   in Loop: Header=BB382_4 Depth=1
	s_and_not1_saveexec_b32 s2, s2
; %bb.11:                               ;   in Loop: Header=BB382_4 Depth=1
	v_cmp_lt_u32_e32 vcc_lo, 0x7f800000, v14
	v_cndmask_b32_e32 v5, 0x7c, v13, vcc_lo
; %bb.12:                               ;   in Loop: Header=BB382_4 Depth=1
	s_or_b32 exec_lo, exec_lo, s2
	v_xor_b32_e32 v14, v7, v8
	v_cls_i32_e32 v15, v8
	s_mov_b32 s2, exec_lo
	s_delay_alu instid0(VALU_DEP_2) | instskip(NEXT) | instid1(VALU_DEP_2)
	v_ashrrev_i32_e32 v14, 31, v14
	v_add_nc_u32_e32 v15, -1, v15
	s_delay_alu instid0(VALU_DEP_2) | instskip(NEXT) | instid1(VALU_DEP_1)
	v_add_nc_u32_e32 v14, 32, v14
	v_min_u32_e32 v14, v15, v14
	s_delay_alu instid0(VALU_DEP_1) | instskip(NEXT) | instid1(VALU_DEP_1)
	v_lshlrev_b64 v[7:8], v14, v[7:8]
	v_min_u32_e32 v7, 1, v7
	s_delay_alu instid0(VALU_DEP_1) | instskip(SKIP_1) | instid1(VALU_DEP_2)
	v_or_b32_e32 v7, v8, v7
	v_sub_nc_u32_e32 v8, 32, v14
	v_cvt_f32_i32_e32 v7, v7
	s_delay_alu instid0(VALU_DEP_1) | instskip(NEXT) | instid1(VALU_DEP_1)
	v_ldexp_f32 v8, v7, v8
                                        ; implicit-def: $vgpr7
	v_and_b32_e32 v14, 0x7fffffff, v8
	s_delay_alu instid0(VALU_DEP_1)
	v_cmpx_gt_u32_e32 0x47800000, v14
	s_xor_b32 s2, exec_lo, s2
	s_cbranch_execz .LBB382_18
; %bb.13:                               ;   in Loop: Header=BB382_4 Depth=1
	s_mov_b32 s19, exec_lo
                                        ; implicit-def: $vgpr7
	v_cmpx_lt_u32_e32 0x387fffff, v14
	s_xor_b32 s19, exec_lo, s19
; %bb.14:                               ;   in Loop: Header=BB382_4 Depth=1
	v_bfe_u32 v7, v8, 21, 1
	s_delay_alu instid0(VALU_DEP_1) | instskip(NEXT) | instid1(VALU_DEP_1)
	v_add3_u32 v7, v8, v7, 0x80fffff
	v_lshrrev_b32_e32 v7, 21, v7
; %bb.15:                               ;   in Loop: Header=BB382_4 Depth=1
	s_and_not1_saveexec_b32 s19, s19
; %bb.16:                               ;   in Loop: Header=BB382_4 Depth=1
	v_add_f32_e64 v7, 0x43000000, |v8|
; %bb.17:                               ;   in Loop: Header=BB382_4 Depth=1
	s_or_b32 exec_lo, exec_lo, s19
                                        ; implicit-def: $vgpr14
.LBB382_18:                             ;   in Loop: Header=BB382_4 Depth=1
	s_and_not1_saveexec_b32 s2, s2
; %bb.19:                               ;   in Loop: Header=BB382_4 Depth=1
	v_cmp_lt_u32_e32 vcc_lo, 0x7f800000, v14
	v_cndmask_b32_e32 v7, 0x7c, v13, vcc_lo
; %bb.20:                               ;   in Loop: Header=BB382_4 Depth=1
	s_or_b32 exec_lo, exec_lo, s2
	s_waitcnt vmcnt(0)
	v_xor_b32_e32 v14, v1, v2
	v_cls_i32_e32 v15, v2
	s_mov_b32 s2, exec_lo
	s_delay_alu instid0(VALU_DEP_2) | instskip(NEXT) | instid1(VALU_DEP_2)
	v_ashrrev_i32_e32 v14, 31, v14
	v_add_nc_u32_e32 v15, -1, v15
	s_delay_alu instid0(VALU_DEP_2) | instskip(NEXT) | instid1(VALU_DEP_1)
	v_add_nc_u32_e32 v14, 32, v14
	v_min_u32_e32 v14, v15, v14
	s_delay_alu instid0(VALU_DEP_1) | instskip(NEXT) | instid1(VALU_DEP_1)
	v_lshlrev_b64 v[1:2], v14, v[1:2]
	v_min_u32_e32 v1, 1, v1
	s_delay_alu instid0(VALU_DEP_1) | instskip(SKIP_1) | instid1(VALU_DEP_2)
	v_or_b32_e32 v1, v2, v1
	v_sub_nc_u32_e32 v2, 32, v14
	v_cvt_f32_i32_e32 v1, v1
	s_delay_alu instid0(VALU_DEP_1) | instskip(NEXT) | instid1(VALU_DEP_1)
	v_ldexp_f32 v2, v1, v2
                                        ; implicit-def: $vgpr1
	v_and_b32_e32 v14, 0x7fffffff, v2
	s_delay_alu instid0(VALU_DEP_1)
	v_cmpx_gt_u32_e32 0x47800000, v14
	s_xor_b32 s2, exec_lo, s2
	s_cbranch_execz .LBB382_26
; %bb.21:                               ;   in Loop: Header=BB382_4 Depth=1
	s_mov_b32 s19, exec_lo
                                        ; implicit-def: $vgpr1
	v_cmpx_lt_u32_e32 0x387fffff, v14
	s_xor_b32 s19, exec_lo, s19
; %bb.22:                               ;   in Loop: Header=BB382_4 Depth=1
	v_bfe_u32 v1, v2, 21, 1
	s_delay_alu instid0(VALU_DEP_1) | instskip(NEXT) | instid1(VALU_DEP_1)
	v_add3_u32 v1, v2, v1, 0x80fffff
	v_lshrrev_b32_e32 v1, 21, v1
; %bb.23:                               ;   in Loop: Header=BB382_4 Depth=1
	s_and_not1_saveexec_b32 s19, s19
; %bb.24:                               ;   in Loop: Header=BB382_4 Depth=1
	v_add_f32_e64 v1, 0x43000000, |v2|
; %bb.25:                               ;   in Loop: Header=BB382_4 Depth=1
	s_or_b32 exec_lo, exec_lo, s19
                                        ; implicit-def: $vgpr14
.LBB382_26:                             ;   in Loop: Header=BB382_4 Depth=1
	s_and_not1_saveexec_b32 s2, s2
; %bb.27:                               ;   in Loop: Header=BB382_4 Depth=1
	v_cmp_lt_u32_e32 vcc_lo, 0x7f800000, v14
	v_cndmask_b32_e32 v1, 0x7c, v13, vcc_lo
; %bb.28:                               ;   in Loop: Header=BB382_4 Depth=1
	s_or_b32 exec_lo, exec_lo, s2
	v_xor_b32_e32 v14, v3, v4
	v_cls_i32_e32 v15, v4
	s_mov_b32 s2, exec_lo
	s_delay_alu instid0(VALU_DEP_2) | instskip(NEXT) | instid1(VALU_DEP_2)
	v_ashrrev_i32_e32 v14, 31, v14
	v_add_nc_u32_e32 v15, -1, v15
	s_delay_alu instid0(VALU_DEP_2) | instskip(NEXT) | instid1(VALU_DEP_1)
	v_add_nc_u32_e32 v14, 32, v14
	v_min_u32_e32 v14, v15, v14
	s_delay_alu instid0(VALU_DEP_1) | instskip(NEXT) | instid1(VALU_DEP_1)
	v_lshlrev_b64 v[3:4], v14, v[3:4]
	v_min_u32_e32 v3, 1, v3
	s_delay_alu instid0(VALU_DEP_1) | instskip(SKIP_1) | instid1(VALU_DEP_2)
	v_or_b32_e32 v3, v4, v3
	v_sub_nc_u32_e32 v4, 32, v14
	v_cvt_f32_i32_e32 v3, v3
	s_delay_alu instid0(VALU_DEP_1) | instskip(NEXT) | instid1(VALU_DEP_1)
	v_ldexp_f32 v3, v3, v4
                                        ; implicit-def: $vgpr4
	v_and_b32_e32 v14, 0x7fffffff, v3
	s_delay_alu instid0(VALU_DEP_1)
	v_cmpx_gt_u32_e32 0x47800000, v14
	s_xor_b32 s2, exec_lo, s2
	s_cbranch_execz .LBB382_34
; %bb.29:                               ;   in Loop: Header=BB382_4 Depth=1
	s_mov_b32 s19, exec_lo
                                        ; implicit-def: $vgpr4
	v_cmpx_lt_u32_e32 0x387fffff, v14
	s_xor_b32 s19, exec_lo, s19
; %bb.30:                               ;   in Loop: Header=BB382_4 Depth=1
	v_bfe_u32 v4, v3, 21, 1
	s_delay_alu instid0(VALU_DEP_1) | instskip(NEXT) | instid1(VALU_DEP_1)
	v_add3_u32 v4, v3, v4, 0x80fffff
	v_lshrrev_b32_e32 v4, 21, v4
; %bb.31:                               ;   in Loop: Header=BB382_4 Depth=1
	s_and_not1_saveexec_b32 s19, s19
; %bb.32:                               ;   in Loop: Header=BB382_4 Depth=1
	v_add_f32_e64 v4, 0x43000000, |v3|
; %bb.33:                               ;   in Loop: Header=BB382_4 Depth=1
	s_or_b32 exec_lo, exec_lo, s19
                                        ; implicit-def: $vgpr14
.LBB382_34:                             ;   in Loop: Header=BB382_4 Depth=1
	s_and_not1_saveexec_b32 s2, s2
	s_cbranch_execz .LBB382_3
; %bb.35:                               ;   in Loop: Header=BB382_4 Depth=1
	v_cmp_lt_u32_e32 vcc_lo, 0x7f800000, v14
	v_cndmask_b32_e32 v4, 0x7c, v13, vcc_lo
	s_branch .LBB382_3
.LBB382_36:
	s_or_b32 exec_lo, exec_lo, s3
	s_mov_b32 s2, 0
.LBB382_37:
	s_delay_alu instid0(SALU_CYCLE_1)
	s_and_not1_b32 vcc_lo, exec_lo, s2
	s_cbranch_vccnz .LBB382_89
; %bb.38:
	v_cmp_lt_i64_e64 s2, s[4:5], 1
	s_delay_alu instid0(VALU_DEP_1)
	s_and_b32 vcc_lo, exec_lo, s2
	s_cbranch_vccnz .LBB382_89
; %bb.39:
	s_load_b32 s0, s[0:1], 0xc5c
	v_cmp_gt_u64_e64 s1, 0x10000, s[4:5]
	v_add_co_u32 v5, s2, s8, v0
	v_lshlrev_b32_e32 v1, 3, v0
	v_add_co_ci_u32_e64 v6, null, s9, 0, s2
	s_delay_alu instid0(VALU_DEP_3) | instskip(SKIP_1) | instid1(VALU_DEP_3)
	v_add_co_u32 v21, vcc_lo, s6, v5
	v_mov_b32_e32 v35, 0x7f
	v_add_co_ci_u32_e32 v22, vcc_lo, s7, v6, vcc_lo
                                        ; implicit-def: $vgpr9_vgpr10
                                        ; implicit-def: $vgpr11_vgpr12
                                        ; implicit-def: $vgpr7_vgpr8
	s_waitcnt lgkmcnt(0)
	s_and_b32 s0, s0, 0xffff
	s_and_b32 s1, s1, exec_lo
	s_cselect_b32 s3, s5, 0
	s_cselect_b32 s2, s4, 0x10000
	s_lshl_b64 s[10:11], s[10:11], 19
	s_lshl_b32 s14, s0, 1
	s_lshl_b32 s1, s0, 2
	s_add_u32 s12, s12, s10
	s_mul_i32 s15, s0, 3
	s_addc_u32 s13, s13, s11
	s_lshl_b32 s10, s0, 5
	v_add_co_u32 v1, s16, s12, v1
	s_add_u32 s11, s8, s15
	v_add_co_ci_u32_e64 v2, null, s13, 0, s16
	s_addc_u32 s16, s9, 0
	s_add_u32 s11, s6, s11
	s_addc_u32 s16, s7, s16
	v_add_co_u32 v23, s11, s11, v0
	s_delay_alu instid0(VALU_DEP_1)
	v_add_co_ci_u32_e64 v24, null, s16, 0, s11
	v_add_co_u32 v25, s11, s15, v0
	v_add_co_u32 v27, s15, v0, s0
	v_add_co_ci_u32_e64 v26, null, 0, 0, s11
	s_lshl_b32 s11, s0, 4
	s_add_u32 s8, s8, s14
	s_addc_u32 s9, s9, 0
	s_add_u32 s8, s6, s8
	v_lshlrev_b32_e32 v3, 3, v27
	s_addc_u32 s9, s7, s9
	v_add_co_u32 v28, s8, s8, v0
	s_delay_alu instid0(VALU_DEP_1)
	v_add_co_ci_u32_e64 v29, null, s9, 0, s8
	v_add_co_u32 v31, s8, s14, v0
	s_add_u32 s6, s6, s0
	v_add_co_ci_u32_e64 v32, null, 0, 0, s8
	v_add_co_u32 v3, s8, s12, v3
	s_addc_u32 s7, s7, 0
	v_add_co_u32 v33, vcc_lo, s6, v5
	v_add_co_ci_u32_e64 v30, null, 0, 0, s15
	v_add_co_ci_u32_e64 v4, null, s13, 0, s8
	v_add_co_ci_u32_e32 v34, vcc_lo, s7, v6, vcc_lo
	s_mul_i32 s8, s0, 24
	s_mov_b64 s[6:7], 0
                                        ; implicit-def: $vgpr5_vgpr6
	s_branch .LBB382_41
.LBB382_40:                             ;   in Loop: Header=BB382_41 Depth=1
	s_or_b32 exec_lo, exec_lo, s0
	s_add_u32 s6, s6, s1
	s_addc_u32 s7, s7, 0
	v_add_co_u32 v1, vcc_lo, v1, s10
	v_cmp_ge_i64_e64 s0, s[6:7], s[4:5]
	v_cmp_lt_u64_e64 s9, 0xffff, s[6:7]
	v_add_co_ci_u32_e32 v2, vcc_lo, 0, v2, vcc_lo
	v_add_co_u32 v3, vcc_lo, v3, s10
	v_add_co_ci_u32_e32 v4, vcc_lo, 0, v4, vcc_lo
	s_delay_alu instid0(VALU_DEP_4) | instskip(NEXT) | instid1(SALU_CYCLE_1)
	s_or_b32 s0, s0, s9
	s_and_b32 vcc_lo, exec_lo, s0
	s_cbranch_vccnz .LBB382_89
.LBB382_41:                             ; =>This Inner Loop Header: Depth=1
	v_add_co_u32 v13, s0, v0, s6
	s_delay_alu instid0(VALU_DEP_1) | instskip(NEXT) | instid1(VALU_DEP_1)
	v_add_co_ci_u32_e64 v14, null, 0, s7, s0
	v_cmp_gt_i64_e32 vcc_lo, s[4:5], v[13:14]
	v_cmp_gt_u64_e64 s0, 0x10000, v[13:14]
	s_delay_alu instid0(VALU_DEP_1) | instskip(NEXT) | instid1(SALU_CYCLE_1)
	s_and_b32 s9, vcc_lo, s0
	s_and_saveexec_b32 s0, s9
	s_cbranch_execz .LBB382_43
; %bb.42:                               ;   in Loop: Header=BB382_41 Depth=1
	global_load_b64 v[7:8], v[1:2], off
.LBB382_43:                             ;   in Loop: Header=BB382_41 Depth=1
	s_or_b32 exec_lo, exec_lo, s0
	v_add_co_u32 v15, vcc_lo, v27, s6
	v_add_co_ci_u32_e32 v16, vcc_lo, s7, v30, vcc_lo
	s_delay_alu instid0(VALU_DEP_1) | instskip(SKIP_1) | instid1(VALU_DEP_1)
	v_cmp_gt_i64_e32 vcc_lo, s[4:5], v[15:16]
	v_cmp_gt_u64_e64 s0, 0x10000, v[15:16]
	s_and_b32 s9, vcc_lo, s0
	s_delay_alu instid0(SALU_CYCLE_1)
	s_and_saveexec_b32 s0, s9
	s_cbranch_execz .LBB382_45
; %bb.44:                               ;   in Loop: Header=BB382_41 Depth=1
	global_load_b64 v[5:6], v[3:4], off
.LBB382_45:                             ;   in Loop: Header=BB382_41 Depth=1
	s_or_b32 exec_lo, exec_lo, s0
	v_add_co_u32 v17, vcc_lo, v31, s6
	v_add_co_ci_u32_e32 v18, vcc_lo, s7, v32, vcc_lo
	s_delay_alu instid0(VALU_DEP_1) | instskip(SKIP_1) | instid1(VALU_DEP_1)
	v_cmp_gt_i64_e32 vcc_lo, s[4:5], v[17:18]
	v_cmp_gt_u64_e64 s0, 0x10000, v[17:18]
	s_and_b32 s9, vcc_lo, s0
	s_delay_alu instid0(SALU_CYCLE_1)
	s_and_saveexec_b32 s0, s9
	s_cbranch_execz .LBB382_47
; %bb.46:                               ;   in Loop: Header=BB382_41 Depth=1
	v_add_co_u32 v11, vcc_lo, v1, s11
	v_add_co_ci_u32_e32 v12, vcc_lo, 0, v2, vcc_lo
	global_load_b64 v[11:12], v[11:12], off
.LBB382_47:                             ;   in Loop: Header=BB382_41 Depth=1
	s_or_b32 exec_lo, exec_lo, s0
	v_add_co_u32 v19, vcc_lo, v25, s6
	v_add_co_ci_u32_e32 v20, vcc_lo, s7, v26, vcc_lo
	s_delay_alu instid0(VALU_DEP_1) | instskip(SKIP_1) | instid1(VALU_DEP_1)
	v_cmp_gt_i64_e32 vcc_lo, s[4:5], v[19:20]
	v_cmp_gt_u64_e64 s0, 0x10000, v[19:20]
	s_and_b32 s9, vcc_lo, s0
	s_delay_alu instid0(SALU_CYCLE_1)
	s_and_saveexec_b32 s0, s9
	s_cbranch_execz .LBB382_49
; %bb.48:                               ;   in Loop: Header=BB382_41 Depth=1
	v_add_co_u32 v9, vcc_lo, v1, s8
	v_add_co_ci_u32_e32 v10, vcc_lo, 0, v2, vcc_lo
	global_load_b64 v[9:10], v[9:10], off
.LBB382_49:                             ;   in Loop: Header=BB382_41 Depth=1
	s_or_b32 exec_lo, exec_lo, s0
	s_waitcnt vmcnt(0)
	v_xor_b32_e32 v36, v7, v8
	v_cls_i32_e32 v37, v8
	s_mov_b32 s0, exec_lo
	s_delay_alu instid0(VALU_DEP_2) | instskip(NEXT) | instid1(VALU_DEP_2)
	v_ashrrev_i32_e32 v36, 31, v36
	v_add_nc_u32_e32 v37, -1, v37
	s_delay_alu instid0(VALU_DEP_2) | instskip(NEXT) | instid1(VALU_DEP_1)
	v_add_nc_u32_e32 v36, 32, v36
	v_min_u32_e32 v38, v37, v36
	s_delay_alu instid0(VALU_DEP_1) | instskip(NEXT) | instid1(VALU_DEP_1)
	v_lshlrev_b64 v[36:37], v38, v[7:8]
	v_min_u32_e32 v36, 1, v36
	s_delay_alu instid0(VALU_DEP_1) | instskip(SKIP_1) | instid1(VALU_DEP_2)
	v_or_b32_e32 v36, v37, v36
	v_sub_nc_u32_e32 v37, 32, v38
	v_cvt_f32_i32_e32 v36, v36
	s_delay_alu instid0(VALU_DEP_1) | instskip(NEXT) | instid1(VALU_DEP_1)
	v_ldexp_f32 v36, v36, v37
                                        ; implicit-def: $vgpr37
	v_and_b32_e32 v38, 0x7fffffff, v36
	s_delay_alu instid0(VALU_DEP_1)
	v_cmpx_gt_u32_e32 0x47800000, v38
	s_xor_b32 s0, exec_lo, s0
	s_cbranch_execz .LBB382_55
; %bb.50:                               ;   in Loop: Header=BB382_41 Depth=1
	s_mov_b32 s9, exec_lo
                                        ; implicit-def: $vgpr37
	v_cmpx_lt_u32_e32 0x387fffff, v38
	s_xor_b32 s9, exec_lo, s9
; %bb.51:                               ;   in Loop: Header=BB382_41 Depth=1
	v_bfe_u32 v37, v36, 21, 1
	s_delay_alu instid0(VALU_DEP_1) | instskip(NEXT) | instid1(VALU_DEP_1)
	v_add3_u32 v37, v36, v37, 0x80fffff
	v_lshrrev_b32_e32 v37, 21, v37
; %bb.52:                               ;   in Loop: Header=BB382_41 Depth=1
	s_and_not1_saveexec_b32 s9, s9
; %bb.53:                               ;   in Loop: Header=BB382_41 Depth=1
	v_add_f32_e64 v37, 0x43000000, |v36|
; %bb.54:                               ;   in Loop: Header=BB382_41 Depth=1
	s_or_b32 exec_lo, exec_lo, s9
                                        ; implicit-def: $vgpr38
.LBB382_55:                             ;   in Loop: Header=BB382_41 Depth=1
	s_and_not1_saveexec_b32 s0, s0
; %bb.56:                               ;   in Loop: Header=BB382_41 Depth=1
	v_cmp_lt_u32_e32 vcc_lo, 0x7f800000, v38
	v_cndmask_b32_e32 v37, 0x7c, v35, vcc_lo
; %bb.57:                               ;   in Loop: Header=BB382_41 Depth=1
	s_or_b32 exec_lo, exec_lo, s0
	v_xor_b32_e32 v38, v5, v6
	v_cls_i32_e32 v39, v6
	s_mov_b32 s0, exec_lo
	s_delay_alu instid0(VALU_DEP_2) | instskip(NEXT) | instid1(VALU_DEP_2)
	v_ashrrev_i32_e32 v38, 31, v38
	v_add_nc_u32_e32 v39, -1, v39
	s_delay_alu instid0(VALU_DEP_2) | instskip(NEXT) | instid1(VALU_DEP_1)
	v_add_nc_u32_e32 v38, 32, v38
	v_min_u32_e32 v40, v39, v38
	s_delay_alu instid0(VALU_DEP_1) | instskip(NEXT) | instid1(VALU_DEP_1)
	v_lshlrev_b64 v[38:39], v40, v[5:6]
	v_min_u32_e32 v38, 1, v38
	s_delay_alu instid0(VALU_DEP_1) | instskip(SKIP_1) | instid1(VALU_DEP_2)
	v_or_b32_e32 v38, v39, v38
	v_sub_nc_u32_e32 v39, 32, v40
	v_cvt_f32_i32_e32 v38, v38
	s_delay_alu instid0(VALU_DEP_1) | instskip(NEXT) | instid1(VALU_DEP_1)
	v_ldexp_f32 v38, v38, v39
                                        ; implicit-def: $vgpr39
	v_and_b32_e32 v40, 0x7fffffff, v38
	s_delay_alu instid0(VALU_DEP_1)
	v_cmpx_gt_u32_e32 0x47800000, v40
	s_xor_b32 s0, exec_lo, s0
	s_cbranch_execz .LBB382_63
; %bb.58:                               ;   in Loop: Header=BB382_41 Depth=1
	s_mov_b32 s9, exec_lo
                                        ; implicit-def: $vgpr39
	v_cmpx_lt_u32_e32 0x387fffff, v40
	s_xor_b32 s9, exec_lo, s9
; %bb.59:                               ;   in Loop: Header=BB382_41 Depth=1
	v_bfe_u32 v39, v38, 21, 1
	s_delay_alu instid0(VALU_DEP_1) | instskip(NEXT) | instid1(VALU_DEP_1)
	v_add3_u32 v39, v38, v39, 0x80fffff
	v_lshrrev_b32_e32 v39, 21, v39
; %bb.60:                               ;   in Loop: Header=BB382_41 Depth=1
	s_and_not1_saveexec_b32 s9, s9
; %bb.61:                               ;   in Loop: Header=BB382_41 Depth=1
	v_add_f32_e64 v39, 0x43000000, |v38|
; %bb.62:                               ;   in Loop: Header=BB382_41 Depth=1
	s_or_b32 exec_lo, exec_lo, s9
                                        ; implicit-def: $vgpr40
.LBB382_63:                             ;   in Loop: Header=BB382_41 Depth=1
	s_and_not1_saveexec_b32 s0, s0
; %bb.64:                               ;   in Loop: Header=BB382_41 Depth=1
	v_cmp_lt_u32_e32 vcc_lo, 0x7f800000, v40
	v_cndmask_b32_e32 v39, 0x7c, v35, vcc_lo
; %bb.65:                               ;   in Loop: Header=BB382_41 Depth=1
	s_or_b32 exec_lo, exec_lo, s0
	v_xor_b32_e32 v40, v11, v12
	v_cls_i32_e32 v41, v12
	s_mov_b32 s0, exec_lo
	s_delay_alu instid0(VALU_DEP_2) | instskip(NEXT) | instid1(VALU_DEP_2)
	v_ashrrev_i32_e32 v40, 31, v40
	v_add_nc_u32_e32 v41, -1, v41
	s_delay_alu instid0(VALU_DEP_2) | instskip(NEXT) | instid1(VALU_DEP_1)
	v_add_nc_u32_e32 v40, 32, v40
	v_min_u32_e32 v42, v41, v40
	s_delay_alu instid0(VALU_DEP_1) | instskip(NEXT) | instid1(VALU_DEP_1)
	v_lshlrev_b64 v[40:41], v42, v[11:12]
	v_min_u32_e32 v40, 1, v40
	s_delay_alu instid0(VALU_DEP_1) | instskip(SKIP_1) | instid1(VALU_DEP_2)
	v_or_b32_e32 v40, v41, v40
	v_sub_nc_u32_e32 v41, 32, v42
	v_cvt_f32_i32_e32 v40, v40
	s_delay_alu instid0(VALU_DEP_1) | instskip(NEXT) | instid1(VALU_DEP_1)
	v_ldexp_f32 v40, v40, v41
                                        ; implicit-def: $vgpr41
	v_and_b32_e32 v42, 0x7fffffff, v40
	s_delay_alu instid0(VALU_DEP_1)
	v_cmpx_gt_u32_e32 0x47800000, v42
	s_xor_b32 s0, exec_lo, s0
	s_cbranch_execz .LBB382_71
; %bb.66:                               ;   in Loop: Header=BB382_41 Depth=1
	s_mov_b32 s9, exec_lo
                                        ; implicit-def: $vgpr41
	v_cmpx_lt_u32_e32 0x387fffff, v42
	s_xor_b32 s9, exec_lo, s9
; %bb.67:                               ;   in Loop: Header=BB382_41 Depth=1
	v_bfe_u32 v41, v40, 21, 1
	s_delay_alu instid0(VALU_DEP_1) | instskip(NEXT) | instid1(VALU_DEP_1)
	v_add3_u32 v41, v40, v41, 0x80fffff
	v_lshrrev_b32_e32 v41, 21, v41
; %bb.68:                               ;   in Loop: Header=BB382_41 Depth=1
	s_and_not1_saveexec_b32 s9, s9
; %bb.69:                               ;   in Loop: Header=BB382_41 Depth=1
	v_add_f32_e64 v41, 0x43000000, |v40|
; %bb.70:                               ;   in Loop: Header=BB382_41 Depth=1
	s_or_b32 exec_lo, exec_lo, s9
                                        ; implicit-def: $vgpr42
.LBB382_71:                             ;   in Loop: Header=BB382_41 Depth=1
	s_and_not1_saveexec_b32 s0, s0
; %bb.72:                               ;   in Loop: Header=BB382_41 Depth=1
	v_cmp_lt_u32_e32 vcc_lo, 0x7f800000, v42
	v_cndmask_b32_e32 v41, 0x7c, v35, vcc_lo
; %bb.73:                               ;   in Loop: Header=BB382_41 Depth=1
	s_or_b32 exec_lo, exec_lo, s0
	v_xor_b32_e32 v42, v9, v10
	v_cls_i32_e32 v43, v10
	s_mov_b32 s0, exec_lo
	s_delay_alu instid0(VALU_DEP_2) | instskip(NEXT) | instid1(VALU_DEP_2)
	v_ashrrev_i32_e32 v42, 31, v42
	v_add_nc_u32_e32 v43, -1, v43
	s_delay_alu instid0(VALU_DEP_2) | instskip(NEXT) | instid1(VALU_DEP_1)
	v_add_nc_u32_e32 v42, 32, v42
	v_min_u32_e32 v44, v43, v42
	s_delay_alu instid0(VALU_DEP_1) | instskip(NEXT) | instid1(VALU_DEP_1)
	v_lshlrev_b64 v[42:43], v44, v[9:10]
	v_min_u32_e32 v42, 1, v42
	s_delay_alu instid0(VALU_DEP_1) | instskip(SKIP_1) | instid1(VALU_DEP_2)
	v_or_b32_e32 v42, v43, v42
	v_sub_nc_u32_e32 v43, 32, v44
	v_cvt_f32_i32_e32 v42, v42
	s_delay_alu instid0(VALU_DEP_1) | instskip(NEXT) | instid1(VALU_DEP_1)
	v_ldexp_f32 v42, v42, v43
                                        ; implicit-def: $vgpr43
	v_and_b32_e32 v44, 0x7fffffff, v42
	s_delay_alu instid0(VALU_DEP_1)
	v_cmpx_gt_u32_e32 0x47800000, v44
	s_xor_b32 s0, exec_lo, s0
	s_cbranch_execz .LBB382_79
; %bb.74:                               ;   in Loop: Header=BB382_41 Depth=1
	s_mov_b32 s9, exec_lo
                                        ; implicit-def: $vgpr43
	v_cmpx_lt_u32_e32 0x387fffff, v44
	s_xor_b32 s9, exec_lo, s9
; %bb.75:                               ;   in Loop: Header=BB382_41 Depth=1
	v_bfe_u32 v43, v42, 21, 1
	s_delay_alu instid0(VALU_DEP_1) | instskip(NEXT) | instid1(VALU_DEP_1)
	v_add3_u32 v43, v42, v43, 0x80fffff
	v_lshrrev_b32_e32 v43, 21, v43
; %bb.76:                               ;   in Loop: Header=BB382_41 Depth=1
	s_and_not1_saveexec_b32 s9, s9
; %bb.77:                               ;   in Loop: Header=BB382_41 Depth=1
	v_add_f32_e64 v43, 0x43000000, |v42|
; %bb.78:                               ;   in Loop: Header=BB382_41 Depth=1
	s_or_b32 exec_lo, exec_lo, s9
                                        ; implicit-def: $vgpr44
.LBB382_79:                             ;   in Loop: Header=BB382_41 Depth=1
	s_and_not1_saveexec_b32 s0, s0
; %bb.80:                               ;   in Loop: Header=BB382_41 Depth=1
	v_cmp_lt_u32_e32 vcc_lo, 0x7f800000, v44
	v_cndmask_b32_e32 v43, 0x7c, v35, vcc_lo
; %bb.81:                               ;   in Loop: Header=BB382_41 Depth=1
	s_or_b32 exec_lo, exec_lo, s0
	s_delay_alu instid0(SALU_CYCLE_1)
	s_mov_b32 s0, exec_lo
	v_cmpx_gt_u64_e64 s[2:3], v[13:14]
	s_xor_b32 s0, exec_lo, s0
	s_cbranch_execnz .LBB382_85
; %bb.82:                               ;   in Loop: Header=BB382_41 Depth=1
	s_or_b32 exec_lo, exec_lo, s0
	s_delay_alu instid0(SALU_CYCLE_1)
	s_mov_b32 s0, exec_lo
	v_cmpx_gt_u64_e64 s[2:3], v[15:16]
	s_cbranch_execnz .LBB382_86
.LBB382_83:                             ;   in Loop: Header=BB382_41 Depth=1
	s_or_b32 exec_lo, exec_lo, s0
	s_delay_alu instid0(SALU_CYCLE_1)
	s_mov_b32 s0, exec_lo
	v_cmpx_gt_u64_e64 s[2:3], v[17:18]
	s_cbranch_execnz .LBB382_87
.LBB382_84:                             ;   in Loop: Header=BB382_41 Depth=1
	s_or_b32 exec_lo, exec_lo, s0
	s_delay_alu instid0(SALU_CYCLE_1)
	s_mov_b32 s0, exec_lo
	v_cmpx_gt_u64_e64 s[2:3], v[19:20]
	s_cbranch_execz .LBB382_40
	s_branch .LBB382_88
.LBB382_85:                             ;   in Loop: Header=BB382_41 Depth=1
	v_lshrrev_b32_e32 v13, 24, v36
	s_delay_alu instid0(VALU_DEP_1) | instskip(SKIP_4) | instid1(SALU_CYCLE_1)
	v_and_or_b32 v36, 0x80, v13, v37
	v_add_co_u32 v13, vcc_lo, v21, s6
	v_add_co_ci_u32_e32 v14, vcc_lo, s7, v22, vcc_lo
	global_store_b8 v[13:14], v36, off
	s_or_b32 exec_lo, exec_lo, s0
	s_mov_b32 s0, exec_lo
	v_cmpx_gt_u64_e64 s[2:3], v[15:16]
	s_cbranch_execz .LBB382_83
.LBB382_86:                             ;   in Loop: Header=BB382_41 Depth=1
	v_lshrrev_b32_e32 v13, 24, v38
	s_delay_alu instid0(VALU_DEP_1) | instskip(SKIP_4) | instid1(SALU_CYCLE_1)
	v_and_or_b32 v15, 0x80, v13, v39
	v_add_co_u32 v13, vcc_lo, v33, s6
	v_add_co_ci_u32_e32 v14, vcc_lo, s7, v34, vcc_lo
	global_store_b8 v[13:14], v15, off
	s_or_b32 exec_lo, exec_lo, s0
	s_mov_b32 s0, exec_lo
	v_cmpx_gt_u64_e64 s[2:3], v[17:18]
	s_cbranch_execz .LBB382_84
.LBB382_87:                             ;   in Loop: Header=BB382_41 Depth=1
	v_lshrrev_b32_e32 v13, 24, v40
	s_delay_alu instid0(VALU_DEP_1) | instskip(SKIP_4) | instid1(SALU_CYCLE_1)
	v_and_or_b32 v15, 0x80, v13, v41
	v_add_co_u32 v13, vcc_lo, v28, s6
	v_add_co_ci_u32_e32 v14, vcc_lo, s7, v29, vcc_lo
	global_store_b8 v[13:14], v15, off
	s_or_b32 exec_lo, exec_lo, s0
	s_mov_b32 s0, exec_lo
	v_cmpx_gt_u64_e64 s[2:3], v[19:20]
	s_cbranch_execz .LBB382_40
.LBB382_88:                             ;   in Loop: Header=BB382_41 Depth=1
	v_lshrrev_b32_e32 v13, 24, v42
	s_delay_alu instid0(VALU_DEP_1)
	v_and_or_b32 v15, 0x80, v13, v43
	v_add_co_u32 v13, vcc_lo, v23, s6
	v_add_co_ci_u32_e32 v14, vcc_lo, s7, v24, vcc_lo
	global_store_b8 v[13:14], v15, off
	s_branch .LBB382_40
.LBB382_89:
	s_nop 0
	s_sendmsg sendmsg(MSG_DEALLOC_VGPRS)
	s_endpgm
	.section	.rodata,"a",@progbits
	.p2align	6, 0x0
	.amdhsa_kernel _ZN2at6native12_GLOBAL__N_125multi_tensor_apply_kernelINS1_18TensorListMetadataILi2EEENS1_11CopyFunctorIN3c1011Float8_e5m2ElLi2ELi1ELi1EEEJNS0_4CopyIS7_lEEEEEvT_T0_DpT1_
		.amdhsa_group_segment_fixed_size 0
		.amdhsa_private_segment_fixed_size 0
		.amdhsa_kernarg_size 3408
		.amdhsa_user_sgpr_count 15
		.amdhsa_user_sgpr_dispatch_ptr 0
		.amdhsa_user_sgpr_queue_ptr 0
		.amdhsa_user_sgpr_kernarg_segment_ptr 1
		.amdhsa_user_sgpr_dispatch_id 0
		.amdhsa_user_sgpr_private_segment_size 0
		.amdhsa_wavefront_size32 1
		.amdhsa_uses_dynamic_stack 0
		.amdhsa_enable_private_segment 0
		.amdhsa_system_sgpr_workgroup_id_x 1
		.amdhsa_system_sgpr_workgroup_id_y 0
		.amdhsa_system_sgpr_workgroup_id_z 0
		.amdhsa_system_sgpr_workgroup_info 0
		.amdhsa_system_vgpr_workitem_id 0
		.amdhsa_next_free_vgpr 45
		.amdhsa_next_free_sgpr 20
		.amdhsa_reserve_vcc 1
		.amdhsa_float_round_mode_32 0
		.amdhsa_float_round_mode_16_64 0
		.amdhsa_float_denorm_mode_32 3
		.amdhsa_float_denorm_mode_16_64 3
		.amdhsa_dx10_clamp 1
		.amdhsa_ieee_mode 1
		.amdhsa_fp16_overflow 0
		.amdhsa_workgroup_processor_mode 1
		.amdhsa_memory_ordered 1
		.amdhsa_forward_progress 0
		.amdhsa_shared_vgpr_count 0
		.amdhsa_exception_fp_ieee_invalid_op 0
		.amdhsa_exception_fp_denorm_src 0
		.amdhsa_exception_fp_ieee_div_zero 0
		.amdhsa_exception_fp_ieee_overflow 0
		.amdhsa_exception_fp_ieee_underflow 0
		.amdhsa_exception_fp_ieee_inexact 0
		.amdhsa_exception_int_div_zero 0
	.end_amdhsa_kernel
	.section	.text._ZN2at6native12_GLOBAL__N_125multi_tensor_apply_kernelINS1_18TensorListMetadataILi2EEENS1_11CopyFunctorIN3c1011Float8_e5m2ElLi2ELi1ELi1EEEJNS0_4CopyIS7_lEEEEEvT_T0_DpT1_,"axG",@progbits,_ZN2at6native12_GLOBAL__N_125multi_tensor_apply_kernelINS1_18TensorListMetadataILi2EEENS1_11CopyFunctorIN3c1011Float8_e5m2ElLi2ELi1ELi1EEEJNS0_4CopyIS7_lEEEEEvT_T0_DpT1_,comdat
.Lfunc_end382:
	.size	_ZN2at6native12_GLOBAL__N_125multi_tensor_apply_kernelINS1_18TensorListMetadataILi2EEENS1_11CopyFunctorIN3c1011Float8_e5m2ElLi2ELi1ELi1EEEJNS0_4CopyIS7_lEEEEEvT_T0_DpT1_, .Lfunc_end382-_ZN2at6native12_GLOBAL__N_125multi_tensor_apply_kernelINS1_18TensorListMetadataILi2EEENS1_11CopyFunctorIN3c1011Float8_e5m2ElLi2ELi1ELi1EEEJNS0_4CopyIS7_lEEEEEvT_T0_DpT1_
                                        ; -- End function
	.section	.AMDGPU.csdata,"",@progbits
; Kernel info:
; codeLenInByte = 3104
; NumSgprs: 22
; NumVgprs: 45
; ScratchSize: 0
; MemoryBound: 1
; FloatMode: 240
; IeeeMode: 1
; LDSByteSize: 0 bytes/workgroup (compile time only)
; SGPRBlocks: 2
; VGPRBlocks: 5
; NumSGPRsForWavesPerEU: 22
; NumVGPRsForWavesPerEU: 45
; Occupancy: 16
; WaveLimiterHint : 0
; COMPUTE_PGM_RSRC2:SCRATCH_EN: 0
; COMPUTE_PGM_RSRC2:USER_SGPR: 15
; COMPUTE_PGM_RSRC2:TRAP_HANDLER: 0
; COMPUTE_PGM_RSRC2:TGID_X_EN: 1
; COMPUTE_PGM_RSRC2:TGID_Y_EN: 0
; COMPUTE_PGM_RSRC2:TGID_Z_EN: 0
; COMPUTE_PGM_RSRC2:TIDIG_COMP_CNT: 0
	.section	.text._ZN2at6native12_GLOBAL__N_125multi_tensor_apply_kernelINS1_18TensorListMetadataILi2EEENS1_11CopyFunctorIN3c1011Float8_e5m2EsLi2ELi1ELi1EEEJNS0_4CopyIS7_sEEEEEvT_T0_DpT1_,"axG",@progbits,_ZN2at6native12_GLOBAL__N_125multi_tensor_apply_kernelINS1_18TensorListMetadataILi2EEENS1_11CopyFunctorIN3c1011Float8_e5m2EsLi2ELi1ELi1EEEJNS0_4CopyIS7_sEEEEEvT_T0_DpT1_,comdat
	.globl	_ZN2at6native12_GLOBAL__N_125multi_tensor_apply_kernelINS1_18TensorListMetadataILi2EEENS1_11CopyFunctorIN3c1011Float8_e5m2EsLi2ELi1ELi1EEEJNS0_4CopyIS7_sEEEEEvT_T0_DpT1_ ; -- Begin function _ZN2at6native12_GLOBAL__N_125multi_tensor_apply_kernelINS1_18TensorListMetadataILi2EEENS1_11CopyFunctorIN3c1011Float8_e5m2EsLi2ELi1ELi1EEEJNS0_4CopyIS7_sEEEEEvT_T0_DpT1_
	.p2align	8
	.type	_ZN2at6native12_GLOBAL__N_125multi_tensor_apply_kernelINS1_18TensorListMetadataILi2EEENS1_11CopyFunctorIN3c1011Float8_e5m2EsLi2ELi1ELi1EEEJNS0_4CopyIS7_sEEEEEvT_T0_DpT1_,@function
_ZN2at6native12_GLOBAL__N_125multi_tensor_apply_kernelINS1_18TensorListMetadataILi2EEENS1_11CopyFunctorIN3c1011Float8_e5m2EsLi2ELi1ELi1EEEJNS0_4CopyIS7_sEEEEEvT_T0_DpT1_: ; @_ZN2at6native12_GLOBAL__N_125multi_tensor_apply_kernelINS1_18TensorListMetadataILi2EEENS1_11CopyFunctorIN3c1011Float8_e5m2EsLi2ELi1ELi1EEEJNS0_4CopyIS7_sEEEEEvT_T0_DpT1_
; %bb.0:
	v_mov_b32_e32 v1, s15
	s_add_u32 s2, s0, s15
	s_mul_i32 s4, s15, 3
	s_addc_u32 s3, s1, 0
	s_mul_hi_u32 s5, s15, 3
	global_load_u8 v1, v1, s[0:1] offset:1536
	s_add_u32 s2, s2, s4
	s_addc_u32 s3, s3, s5
	s_mov_b32 s17, 0
	s_load_b32 s10, s[2:3], 0x740
	s_waitcnt lgkmcnt(0)
	s_ashr_i32 s11, s10, 31
	s_delay_alu instid0(SALU_CYCLE_1) | instskip(SKIP_2) | instid1(VALU_DEP_1)
	s_lshl_b64 s[8:9], s[10:11], 16
	s_waitcnt vmcnt(0)
	v_readfirstlane_b32 s4, v1
	s_lshl_b32 s4, s4, 3
	s_clause 0x2
	s_load_b64 s[6:7], s[0:1], s4 offset:0x200
	s_load_b64 s[2:3], s[0:1], s4 offset:0x400
	;; [unrolled: 1-line block ×3, first 2 shown]
	s_waitcnt lgkmcnt(0)
	s_add_u32 s14, s6, s8
	s_addc_u32 s15, s7, s9
	s_delay_alu instid0(SALU_CYCLE_1) | instskip(SKIP_2) | instid1(SALU_CYCLE_1)
	s_or_b64 s[4:5], s[2:3], s[14:15]
	s_and_b32 s5, s12, 7
	s_and_b32 s4, s4, 3
	s_or_b32 s16, s4, s5
	s_sub_u32 s4, s2, s8
	s_subb_u32 s5, s3, s9
	s_cmp_eq_u64 s[16:17], 0
	s_mov_b32 s2, -1
	s_cbranch_scc0 .LBB383_37
; %bb.1:
	v_dual_mov_b32 v2, 0 :: v_dual_lshlrev_b32 v1, 2, v0
	s_mov_b32 s3, exec_lo
	s_delay_alu instid0(VALU_DEP_1)
	v_cmpx_gt_i64_e64 s[4:5], v[1:2]
	s_cbranch_execz .LBB383_36
; %bb.2:
	s_load_b32 s2, s[0:1], 0xc5c
	v_lshlrev_b32_e32 v3, 3, v0
	s_lshl_b64 s[16:17], s[10:11], 17
	v_mov_b32_e32 v7, 0x7f
	s_waitcnt lgkmcnt(0)
	s_and_b32 s2, s2, 0xffff
	s_add_u32 s16, s12, s16
	s_addc_u32 s17, s13, s17
	v_add_co_u32 v3, s16, s16, v3
	s_delay_alu instid0(VALU_DEP_1)
	v_add_co_ci_u32_e64 v4, null, s17, 0, s16
	s_mov_b32 s16, 0
	s_lshl_b32 s17, s2, 3
	s_lshl_b32 s18, s2, 2
	s_branch .LBB383_4
.LBB383_3:                              ;   in Loop: Header=BB383_4 Depth=1
	s_or_b32 exec_lo, exec_lo, s2
	v_lshrrev_b32_e32 v12, 24, v12
	v_lshrrev_b32_e32 v10, 24, v10
	v_lshrrev_b32_e32 v14, 24, v9
	v_add_co_u32 v9, vcc_lo, s14, v1
	s_delay_alu instid0(VALU_DEP_4) | instskip(NEXT) | instid1(VALU_DEP_4)
	v_and_b32_e32 v12, 0x80, v12
	v_and_b32_e32 v15, 0x80, v10
	v_add_co_ci_u32_e32 v10, vcc_lo, s15, v2, vcc_lo
	v_add_co_u32 v1, vcc_lo, s18, v1
	s_delay_alu instid0(VALU_DEP_4)
	v_and_or_b32 v11, 0xff, v11, v12
	v_add_co_ci_u32_e32 v2, vcc_lo, 0, v2, vcc_lo
	v_lshlrev_b32_e32 v13, 24, v13
	v_and_or_b32 v5, 0xff, v5, v15
	v_and_b32_e32 v6, 0x80000000, v6
	v_and_b32_e32 v8, 0xff, v8
	v_lshlrev_b32_e32 v11, 16, v11
	v_cmp_le_i64_e32 vcc_lo, s[4:5], v[1:2]
	v_cmp_lt_u64_e64 s2, 0xffff, v[1:2]
	v_lshlrev_b32_e32 v5, 8, v5
	v_and_or_b32 v8, 0x80, v14, v8
	v_or3_b32 v6, v6, v13, v11
	s_delay_alu instid0(VALU_DEP_4) | instskip(SKIP_1) | instid1(VALU_DEP_2)
	s_or_b32 s2, vcc_lo, s2
	v_add_co_u32 v3, vcc_lo, v3, s17
	v_or3_b32 v5, v6, v5, v8
	v_add_co_ci_u32_e32 v4, vcc_lo, 0, v4, vcc_lo
	s_and_b32 s2, exec_lo, s2
	s_delay_alu instid0(SALU_CYCLE_1)
	s_or_b32 s16, s2, s16
	global_store_b32 v[9:10], v5, off
	s_and_not1_b32 exec_lo, exec_lo, s16
	s_cbranch_execz .LBB383_36
.LBB383_4:                              ; =>This Inner Loop Header: Depth=1
	global_load_b64 v[5:6], v[3:4], off
	s_mov_b32 s2, exec_lo
	s_waitcnt vmcnt(0)
	v_bfe_i32 v8, v5, 0, 16
	s_delay_alu instid0(VALU_DEP_1) | instskip(NEXT) | instid1(VALU_DEP_1)
	v_cvt_f32_i32_e32 v9, v8
                                        ; implicit-def: $vgpr8
	v_and_b32_e32 v10, 0x7fffffff, v9
	s_delay_alu instid0(VALU_DEP_1)
	v_cmpx_gt_u32_e32 0x47800000, v10
	s_xor_b32 s2, exec_lo, s2
	s_cbranch_execz .LBB383_10
; %bb.5:                                ;   in Loop: Header=BB383_4 Depth=1
	s_mov_b32 s19, exec_lo
                                        ; implicit-def: $vgpr8
	v_cmpx_lt_u32_e32 0x387fffff, v10
	s_xor_b32 s19, exec_lo, s19
; %bb.6:                                ;   in Loop: Header=BB383_4 Depth=1
	v_bfe_u32 v8, v9, 21, 1
	s_delay_alu instid0(VALU_DEP_1) | instskip(NEXT) | instid1(VALU_DEP_1)
	v_add3_u32 v8, v9, v8, 0x80fffff
	v_lshrrev_b32_e32 v8, 21, v8
; %bb.7:                                ;   in Loop: Header=BB383_4 Depth=1
	s_and_not1_saveexec_b32 s19, s19
; %bb.8:                                ;   in Loop: Header=BB383_4 Depth=1
	v_add_f32_e64 v8, 0x43000000, |v9|
; %bb.9:                                ;   in Loop: Header=BB383_4 Depth=1
	s_or_b32 exec_lo, exec_lo, s19
                                        ; implicit-def: $vgpr10
.LBB383_10:                             ;   in Loop: Header=BB383_4 Depth=1
	s_and_not1_saveexec_b32 s2, s2
; %bb.11:                               ;   in Loop: Header=BB383_4 Depth=1
	v_cmp_lt_u32_e32 vcc_lo, 0x7f800000, v10
	v_cndmask_b32_e32 v8, 0x7c, v7, vcc_lo
; %bb.12:                               ;   in Loop: Header=BB383_4 Depth=1
	s_or_b32 exec_lo, exec_lo, s2
	v_ashrrev_i32_e32 v5, 16, v5
	s_mov_b32 s2, exec_lo
	s_delay_alu instid0(VALU_DEP_1) | instskip(NEXT) | instid1(VALU_DEP_1)
	v_cvt_f32_i32_e32 v10, v5
                                        ; implicit-def: $vgpr5
	v_and_b32_e32 v11, 0x7fffffff, v10
	s_delay_alu instid0(VALU_DEP_1)
	v_cmpx_gt_u32_e32 0x47800000, v11
	s_xor_b32 s2, exec_lo, s2
	s_cbranch_execz .LBB383_18
; %bb.13:                               ;   in Loop: Header=BB383_4 Depth=1
	s_mov_b32 s19, exec_lo
                                        ; implicit-def: $vgpr5
	v_cmpx_lt_u32_e32 0x387fffff, v11
	s_xor_b32 s19, exec_lo, s19
; %bb.14:                               ;   in Loop: Header=BB383_4 Depth=1
	v_bfe_u32 v5, v10, 21, 1
	s_delay_alu instid0(VALU_DEP_1) | instskip(NEXT) | instid1(VALU_DEP_1)
	v_add3_u32 v5, v10, v5, 0x80fffff
	v_lshrrev_b32_e32 v5, 21, v5
; %bb.15:                               ;   in Loop: Header=BB383_4 Depth=1
	s_and_not1_saveexec_b32 s19, s19
; %bb.16:                               ;   in Loop: Header=BB383_4 Depth=1
	v_add_f32_e64 v5, 0x43000000, |v10|
; %bb.17:                               ;   in Loop: Header=BB383_4 Depth=1
	s_or_b32 exec_lo, exec_lo, s19
                                        ; implicit-def: $vgpr11
.LBB383_18:                             ;   in Loop: Header=BB383_4 Depth=1
	s_and_not1_saveexec_b32 s2, s2
; %bb.19:                               ;   in Loop: Header=BB383_4 Depth=1
	v_cmp_lt_u32_e32 vcc_lo, 0x7f800000, v11
	v_cndmask_b32_e32 v5, 0x7c, v7, vcc_lo
; %bb.20:                               ;   in Loop: Header=BB383_4 Depth=1
	s_or_b32 exec_lo, exec_lo, s2
	v_bfe_i32 v11, v6, 0, 16
	s_mov_b32 s2, exec_lo
	s_delay_alu instid0(VALU_DEP_1) | instskip(NEXT) | instid1(VALU_DEP_1)
	v_cvt_f32_i32_e32 v12, v11
                                        ; implicit-def: $vgpr11
	v_and_b32_e32 v13, 0x7fffffff, v12
	s_delay_alu instid0(VALU_DEP_1)
	v_cmpx_gt_u32_e32 0x47800000, v13
	s_xor_b32 s2, exec_lo, s2
	s_cbranch_execz .LBB383_26
; %bb.21:                               ;   in Loop: Header=BB383_4 Depth=1
	s_mov_b32 s19, exec_lo
                                        ; implicit-def: $vgpr11
	v_cmpx_lt_u32_e32 0x387fffff, v13
	s_xor_b32 s19, exec_lo, s19
; %bb.22:                               ;   in Loop: Header=BB383_4 Depth=1
	v_bfe_u32 v11, v12, 21, 1
	s_delay_alu instid0(VALU_DEP_1) | instskip(NEXT) | instid1(VALU_DEP_1)
	v_add3_u32 v11, v12, v11, 0x80fffff
	v_lshrrev_b32_e32 v11, 21, v11
; %bb.23:                               ;   in Loop: Header=BB383_4 Depth=1
	s_and_not1_saveexec_b32 s19, s19
; %bb.24:                               ;   in Loop: Header=BB383_4 Depth=1
	v_add_f32_e64 v11, 0x43000000, |v12|
; %bb.25:                               ;   in Loop: Header=BB383_4 Depth=1
	s_or_b32 exec_lo, exec_lo, s19
                                        ; implicit-def: $vgpr13
.LBB383_26:                             ;   in Loop: Header=BB383_4 Depth=1
	s_and_not1_saveexec_b32 s2, s2
; %bb.27:                               ;   in Loop: Header=BB383_4 Depth=1
	v_cmp_lt_u32_e32 vcc_lo, 0x7f800000, v13
	v_cndmask_b32_e32 v11, 0x7c, v7, vcc_lo
; %bb.28:                               ;   in Loop: Header=BB383_4 Depth=1
	s_or_b32 exec_lo, exec_lo, s2
	v_ashrrev_i32_e32 v6, 16, v6
	s_mov_b32 s2, exec_lo
                                        ; implicit-def: $vgpr13
	s_delay_alu instid0(VALU_DEP_1) | instskip(NEXT) | instid1(VALU_DEP_1)
	v_cvt_f32_i32_e32 v6, v6
	v_and_b32_e32 v14, 0x7fffffff, v6
	s_delay_alu instid0(VALU_DEP_1)
	v_cmpx_gt_u32_e32 0x47800000, v14
	s_xor_b32 s2, exec_lo, s2
	s_cbranch_execz .LBB383_34
; %bb.29:                               ;   in Loop: Header=BB383_4 Depth=1
	s_mov_b32 s19, exec_lo
                                        ; implicit-def: $vgpr13
	v_cmpx_lt_u32_e32 0x387fffff, v14
	s_xor_b32 s19, exec_lo, s19
; %bb.30:                               ;   in Loop: Header=BB383_4 Depth=1
	v_bfe_u32 v13, v6, 21, 1
	s_delay_alu instid0(VALU_DEP_1) | instskip(NEXT) | instid1(VALU_DEP_1)
	v_add3_u32 v13, v6, v13, 0x80fffff
	v_lshrrev_b32_e32 v13, 21, v13
; %bb.31:                               ;   in Loop: Header=BB383_4 Depth=1
	s_and_not1_saveexec_b32 s19, s19
; %bb.32:                               ;   in Loop: Header=BB383_4 Depth=1
	v_add_f32_e64 v13, 0x43000000, |v6|
; %bb.33:                               ;   in Loop: Header=BB383_4 Depth=1
	s_or_b32 exec_lo, exec_lo, s19
                                        ; implicit-def: $vgpr14
.LBB383_34:                             ;   in Loop: Header=BB383_4 Depth=1
	s_and_not1_saveexec_b32 s2, s2
	s_cbranch_execz .LBB383_3
; %bb.35:                               ;   in Loop: Header=BB383_4 Depth=1
	v_cmp_lt_u32_e32 vcc_lo, 0x7f800000, v14
	v_cndmask_b32_e32 v13, 0x7c, v7, vcc_lo
	s_branch .LBB383_3
.LBB383_36:
	s_or_b32 exec_lo, exec_lo, s3
	s_mov_b32 s2, 0
.LBB383_37:
	s_delay_alu instid0(SALU_CYCLE_1)
	s_and_not1_b32 vcc_lo, exec_lo, s2
	s_cbranch_vccnz .LBB383_89
; %bb.38:
	v_cmp_lt_i64_e64 s2, s[4:5], 1
	s_delay_alu instid0(VALU_DEP_1)
	s_and_b32 vcc_lo, exec_lo, s2
	s_cbranch_vccnz .LBB383_89
; %bb.39:
	s_load_b32 s0, s[0:1], 0xc5c
	v_cmp_gt_u64_e64 s1, 0x10000, s[4:5]
	v_add_co_u32 v5, s2, s8, v0
	v_lshlrev_b32_e32 v1, 1, v0
	v_add_co_ci_u32_e64 v6, null, s9, 0, s2
	s_delay_alu instid0(VALU_DEP_3) | instskip(SKIP_1) | instid1(VALU_DEP_3)
	v_add_co_u32 v15, vcc_lo, s6, v5
	v_mov_b32_e32 v29, 0x7f
	v_add_co_ci_u32_e32 v16, vcc_lo, s7, v6, vcc_lo
	s_waitcnt lgkmcnt(0)
	s_and_b32 s0, s0, 0xffff
	s_and_b32 s1, s1, exec_lo
	s_cselect_b32 s3, s5, 0
	s_cselect_b32 s2, s4, 0x10000
	s_lshl_b64 s[10:11], s[10:11], 17
	s_lshl_b32 s14, s0, 1
	s_lshl_b32 s1, s0, 2
	s_add_u32 s12, s12, s10
	s_mul_i32 s15, s0, 3
	s_addc_u32 s11, s13, s11
	s_lshl_b32 s10, s0, 3
	v_add_co_u32 v1, s16, s12, v1
	s_add_u32 s13, s8, s15
	v_add_co_ci_u32_e64 v2, null, s11, 0, s16
	s_addc_u32 s16, s9, 0
	s_add_u32 s13, s6, s13
	s_addc_u32 s16, s7, s16
	v_add_co_u32 v17, s13, s13, v0
	s_delay_alu instid0(VALU_DEP_1) | instskip(SKIP_1) | instid1(VALU_DEP_1)
	v_add_co_ci_u32_e64 v18, null, s16, 0, s13
	v_add_co_u32 v19, s13, s15, v0
	v_add_co_ci_u32_e64 v20, null, 0, 0, s13
	v_add_co_u32 v21, s13, v0, s0
	s_add_u32 s8, s8, s14
	s_addc_u32 s9, s9, 0
	s_add_u32 s8, s6, s8
	s_delay_alu instid0(VALU_DEP_1) | instskip(SKIP_2) | instid1(VALU_DEP_1)
	v_lshlrev_b32_e32 v3, 1, v21
	s_addc_u32 s9, s7, s9
	v_add_co_u32 v22, s8, s8, v0
	v_add_co_ci_u32_e64 v23, null, s9, 0, s8
	v_add_co_u32 v25, s8, s14, v0
	s_add_u32 s6, s6, s0
	v_add_co_ci_u32_e64 v26, null, 0, 0, s8
	v_add_co_u32 v3, s8, s12, v3
	s_addc_u32 s7, s7, 0
	v_add_co_u32 v27, vcc_lo, s6, v5
	v_add_co_ci_u32_e64 v24, null, 0, 0, s13
	v_add_co_ci_u32_e64 v4, null, s11, 0, s8
	v_add_co_ci_u32_e32 v28, vcc_lo, s7, v6, vcc_lo
	s_mul_i32 s8, s0, 6
	s_mov_b64 s[6:7], 0
                                        ; implicit-def: $vgpr5_vgpr6
	s_branch .LBB383_41
.LBB383_40:                             ;   in Loop: Header=BB383_41 Depth=1
	s_or_b32 exec_lo, exec_lo, s0
	s_add_u32 s6, s6, s1
	s_addc_u32 s7, s7, 0
	v_add_co_u32 v1, vcc_lo, v1, s10
	v_cmp_ge_i64_e64 s0, s[6:7], s[4:5]
	v_cmp_lt_u64_e64 s9, 0xffff, s[6:7]
	v_add_co_ci_u32_e32 v2, vcc_lo, 0, v2, vcc_lo
	v_add_co_u32 v3, vcc_lo, v3, s10
	v_add_co_ci_u32_e32 v4, vcc_lo, 0, v4, vcc_lo
	s_delay_alu instid0(VALU_DEP_4) | instskip(NEXT) | instid1(SALU_CYCLE_1)
	s_or_b32 s0, s0, s9
	s_and_b32 vcc_lo, exec_lo, s0
	s_cbranch_vccnz .LBB383_89
.LBB383_41:                             ; =>This Inner Loop Header: Depth=1
	v_add_co_u32 v7, s0, v0, s6
	s_delay_alu instid0(VALU_DEP_1) | instskip(NEXT) | instid1(VALU_DEP_1)
	v_add_co_ci_u32_e64 v8, null, 0, s7, s0
	v_cmp_gt_i64_e32 vcc_lo, s[4:5], v[7:8]
	v_cmp_gt_u64_e64 s0, 0x10000, v[7:8]
	s_delay_alu instid0(VALU_DEP_1) | instskip(NEXT) | instid1(SALU_CYCLE_1)
	s_and_b32 s9, vcc_lo, s0
	s_and_saveexec_b32 s0, s9
	s_cbranch_execz .LBB383_43
; %bb.42:                               ;   in Loop: Header=BB383_41 Depth=1
	global_load_d16_b16 v5, v[1:2], off
.LBB383_43:                             ;   in Loop: Header=BB383_41 Depth=1
	s_or_b32 exec_lo, exec_lo, s0
	v_add_co_u32 v9, vcc_lo, v21, s6
	v_add_co_ci_u32_e32 v10, vcc_lo, s7, v24, vcc_lo
	s_delay_alu instid0(VALU_DEP_1) | instskip(SKIP_1) | instid1(VALU_DEP_1)
	v_cmp_gt_i64_e32 vcc_lo, s[4:5], v[9:10]
	v_cmp_gt_u64_e64 s0, 0x10000, v[9:10]
	s_and_b32 s9, vcc_lo, s0
	s_delay_alu instid0(SALU_CYCLE_1)
	s_and_saveexec_b32 s0, s9
	s_cbranch_execz .LBB383_45
; %bb.44:                               ;   in Loop: Header=BB383_41 Depth=1
	global_load_d16_hi_b16 v5, v[3:4], off
.LBB383_45:                             ;   in Loop: Header=BB383_41 Depth=1
	s_or_b32 exec_lo, exec_lo, s0
	v_add_co_u32 v11, vcc_lo, v25, s6
	v_add_co_ci_u32_e32 v12, vcc_lo, s7, v26, vcc_lo
	s_delay_alu instid0(VALU_DEP_1) | instskip(SKIP_1) | instid1(VALU_DEP_1)
	v_cmp_gt_i64_e32 vcc_lo, s[4:5], v[11:12]
	v_cmp_gt_u64_e64 s0, 0x10000, v[11:12]
	s_and_b32 s9, vcc_lo, s0
	s_delay_alu instid0(SALU_CYCLE_1)
	s_and_saveexec_b32 s0, s9
	s_cbranch_execz .LBB383_47
; %bb.46:                               ;   in Loop: Header=BB383_41 Depth=1
	v_add_co_u32 v13, vcc_lo, v1, s1
	v_add_co_ci_u32_e32 v14, vcc_lo, 0, v2, vcc_lo
	global_load_d16_b16 v6, v[13:14], off
.LBB383_47:                             ;   in Loop: Header=BB383_41 Depth=1
	s_or_b32 exec_lo, exec_lo, s0
	v_add_co_u32 v13, vcc_lo, v19, s6
	v_add_co_ci_u32_e32 v14, vcc_lo, s7, v20, vcc_lo
	s_delay_alu instid0(VALU_DEP_1) | instskip(SKIP_1) | instid1(VALU_DEP_1)
	v_cmp_gt_i64_e32 vcc_lo, s[4:5], v[13:14]
	v_cmp_gt_u64_e64 s0, 0x10000, v[13:14]
	s_and_b32 s9, vcc_lo, s0
	s_delay_alu instid0(SALU_CYCLE_1)
	s_and_saveexec_b32 s0, s9
	s_cbranch_execz .LBB383_49
; %bb.48:                               ;   in Loop: Header=BB383_41 Depth=1
	v_add_co_u32 v30, vcc_lo, v1, s8
	v_add_co_ci_u32_e32 v31, vcc_lo, 0, v2, vcc_lo
	global_load_d16_hi_b16 v6, v[30:31], off
.LBB383_49:                             ;   in Loop: Header=BB383_41 Depth=1
	s_or_b32 exec_lo, exec_lo, s0
	s_waitcnt vmcnt(0)
	v_bfe_i32 v30, v5, 0, 16
	s_mov_b32 s0, exec_lo
                                        ; implicit-def: $vgpr31
	s_delay_alu instid0(VALU_DEP_1) | instskip(NEXT) | instid1(VALU_DEP_1)
	v_cvt_f32_i32_e32 v30, v30
	v_and_b32_e32 v32, 0x7fffffff, v30
	s_delay_alu instid0(VALU_DEP_1)
	v_cmpx_gt_u32_e32 0x47800000, v32
	s_xor_b32 s0, exec_lo, s0
	s_cbranch_execz .LBB383_55
; %bb.50:                               ;   in Loop: Header=BB383_41 Depth=1
	s_mov_b32 s9, exec_lo
                                        ; implicit-def: $vgpr31
	v_cmpx_lt_u32_e32 0x387fffff, v32
	s_xor_b32 s9, exec_lo, s9
; %bb.51:                               ;   in Loop: Header=BB383_41 Depth=1
	v_bfe_u32 v31, v30, 21, 1
	s_delay_alu instid0(VALU_DEP_1) | instskip(NEXT) | instid1(VALU_DEP_1)
	v_add3_u32 v31, v30, v31, 0x80fffff
	v_lshrrev_b32_e32 v31, 21, v31
; %bb.52:                               ;   in Loop: Header=BB383_41 Depth=1
	s_and_not1_saveexec_b32 s9, s9
; %bb.53:                               ;   in Loop: Header=BB383_41 Depth=1
	v_add_f32_e64 v31, 0x43000000, |v30|
; %bb.54:                               ;   in Loop: Header=BB383_41 Depth=1
	s_or_b32 exec_lo, exec_lo, s9
                                        ; implicit-def: $vgpr32
.LBB383_55:                             ;   in Loop: Header=BB383_41 Depth=1
	s_and_not1_saveexec_b32 s0, s0
; %bb.56:                               ;   in Loop: Header=BB383_41 Depth=1
	v_cmp_lt_u32_e32 vcc_lo, 0x7f800000, v32
	v_cndmask_b32_e32 v31, 0x7c, v29, vcc_lo
; %bb.57:                               ;   in Loop: Header=BB383_41 Depth=1
	s_or_b32 exec_lo, exec_lo, s0
	v_ashrrev_i32_e32 v32, 16, v5
	s_mov_b32 s0, exec_lo
                                        ; implicit-def: $vgpr33
	s_delay_alu instid0(VALU_DEP_1) | instskip(NEXT) | instid1(VALU_DEP_1)
	v_cvt_f32_i32_e32 v32, v32
	v_and_b32_e32 v34, 0x7fffffff, v32
	s_delay_alu instid0(VALU_DEP_1)
	v_cmpx_gt_u32_e32 0x47800000, v34
	s_xor_b32 s0, exec_lo, s0
	s_cbranch_execz .LBB383_63
; %bb.58:                               ;   in Loop: Header=BB383_41 Depth=1
	s_mov_b32 s9, exec_lo
                                        ; implicit-def: $vgpr33
	v_cmpx_lt_u32_e32 0x387fffff, v34
	s_xor_b32 s9, exec_lo, s9
; %bb.59:                               ;   in Loop: Header=BB383_41 Depth=1
	v_bfe_u32 v33, v32, 21, 1
	s_delay_alu instid0(VALU_DEP_1) | instskip(NEXT) | instid1(VALU_DEP_1)
	v_add3_u32 v33, v32, v33, 0x80fffff
	v_lshrrev_b32_e32 v33, 21, v33
; %bb.60:                               ;   in Loop: Header=BB383_41 Depth=1
	s_and_not1_saveexec_b32 s9, s9
; %bb.61:                               ;   in Loop: Header=BB383_41 Depth=1
	v_add_f32_e64 v33, 0x43000000, |v32|
; %bb.62:                               ;   in Loop: Header=BB383_41 Depth=1
	s_or_b32 exec_lo, exec_lo, s9
                                        ; implicit-def: $vgpr34
.LBB383_63:                             ;   in Loop: Header=BB383_41 Depth=1
	s_and_not1_saveexec_b32 s0, s0
; %bb.64:                               ;   in Loop: Header=BB383_41 Depth=1
	v_cmp_lt_u32_e32 vcc_lo, 0x7f800000, v34
	v_cndmask_b32_e32 v33, 0x7c, v29, vcc_lo
; %bb.65:                               ;   in Loop: Header=BB383_41 Depth=1
	s_or_b32 exec_lo, exec_lo, s0
	v_bfe_i32 v34, v6, 0, 16
	s_mov_b32 s0, exec_lo
                                        ; implicit-def: $vgpr35
	s_delay_alu instid0(VALU_DEP_1) | instskip(NEXT) | instid1(VALU_DEP_1)
	v_cvt_f32_i32_e32 v34, v34
	v_and_b32_e32 v36, 0x7fffffff, v34
	s_delay_alu instid0(VALU_DEP_1)
	v_cmpx_gt_u32_e32 0x47800000, v36
	s_xor_b32 s0, exec_lo, s0
	s_cbranch_execz .LBB383_71
; %bb.66:                               ;   in Loop: Header=BB383_41 Depth=1
	s_mov_b32 s9, exec_lo
                                        ; implicit-def: $vgpr35
	v_cmpx_lt_u32_e32 0x387fffff, v36
	s_xor_b32 s9, exec_lo, s9
; %bb.67:                               ;   in Loop: Header=BB383_41 Depth=1
	v_bfe_u32 v35, v34, 21, 1
	s_delay_alu instid0(VALU_DEP_1) | instskip(NEXT) | instid1(VALU_DEP_1)
	v_add3_u32 v35, v34, v35, 0x80fffff
	v_lshrrev_b32_e32 v35, 21, v35
; %bb.68:                               ;   in Loop: Header=BB383_41 Depth=1
	s_and_not1_saveexec_b32 s9, s9
; %bb.69:                               ;   in Loop: Header=BB383_41 Depth=1
	v_add_f32_e64 v35, 0x43000000, |v34|
; %bb.70:                               ;   in Loop: Header=BB383_41 Depth=1
	s_or_b32 exec_lo, exec_lo, s9
                                        ; implicit-def: $vgpr36
.LBB383_71:                             ;   in Loop: Header=BB383_41 Depth=1
	s_and_not1_saveexec_b32 s0, s0
; %bb.72:                               ;   in Loop: Header=BB383_41 Depth=1
	v_cmp_lt_u32_e32 vcc_lo, 0x7f800000, v36
	v_cndmask_b32_e32 v35, 0x7c, v29, vcc_lo
; %bb.73:                               ;   in Loop: Header=BB383_41 Depth=1
	s_or_b32 exec_lo, exec_lo, s0
	v_ashrrev_i32_e32 v36, 16, v6
	s_mov_b32 s0, exec_lo
                                        ; implicit-def: $vgpr37
	s_delay_alu instid0(VALU_DEP_1) | instskip(NEXT) | instid1(VALU_DEP_1)
	v_cvt_f32_i32_e32 v36, v36
	v_and_b32_e32 v38, 0x7fffffff, v36
	s_delay_alu instid0(VALU_DEP_1)
	v_cmpx_gt_u32_e32 0x47800000, v38
	s_xor_b32 s0, exec_lo, s0
	s_cbranch_execz .LBB383_79
; %bb.74:                               ;   in Loop: Header=BB383_41 Depth=1
	s_mov_b32 s9, exec_lo
                                        ; implicit-def: $vgpr37
	v_cmpx_lt_u32_e32 0x387fffff, v38
	s_xor_b32 s9, exec_lo, s9
; %bb.75:                               ;   in Loop: Header=BB383_41 Depth=1
	v_bfe_u32 v37, v36, 21, 1
	s_delay_alu instid0(VALU_DEP_1) | instskip(NEXT) | instid1(VALU_DEP_1)
	v_add3_u32 v37, v36, v37, 0x80fffff
	v_lshrrev_b32_e32 v37, 21, v37
; %bb.76:                               ;   in Loop: Header=BB383_41 Depth=1
	s_and_not1_saveexec_b32 s9, s9
; %bb.77:                               ;   in Loop: Header=BB383_41 Depth=1
	v_add_f32_e64 v37, 0x43000000, |v36|
; %bb.78:                               ;   in Loop: Header=BB383_41 Depth=1
	s_or_b32 exec_lo, exec_lo, s9
                                        ; implicit-def: $vgpr38
.LBB383_79:                             ;   in Loop: Header=BB383_41 Depth=1
	s_and_not1_saveexec_b32 s0, s0
; %bb.80:                               ;   in Loop: Header=BB383_41 Depth=1
	v_cmp_lt_u32_e32 vcc_lo, 0x7f800000, v38
	v_cndmask_b32_e32 v37, 0x7c, v29, vcc_lo
; %bb.81:                               ;   in Loop: Header=BB383_41 Depth=1
	s_or_b32 exec_lo, exec_lo, s0
	s_delay_alu instid0(SALU_CYCLE_1)
	s_mov_b32 s0, exec_lo
	v_cmpx_gt_u64_e64 s[2:3], v[7:8]
	s_xor_b32 s0, exec_lo, s0
	s_cbranch_execnz .LBB383_85
; %bb.82:                               ;   in Loop: Header=BB383_41 Depth=1
	s_or_b32 exec_lo, exec_lo, s0
	s_delay_alu instid0(SALU_CYCLE_1)
	s_mov_b32 s0, exec_lo
	v_cmpx_gt_u64_e64 s[2:3], v[9:10]
	s_cbranch_execnz .LBB383_86
.LBB383_83:                             ;   in Loop: Header=BB383_41 Depth=1
	s_or_b32 exec_lo, exec_lo, s0
	s_delay_alu instid0(SALU_CYCLE_1)
	s_mov_b32 s0, exec_lo
	v_cmpx_gt_u64_e64 s[2:3], v[11:12]
	s_cbranch_execnz .LBB383_87
.LBB383_84:                             ;   in Loop: Header=BB383_41 Depth=1
	s_or_b32 exec_lo, exec_lo, s0
	s_delay_alu instid0(SALU_CYCLE_1)
	s_mov_b32 s0, exec_lo
	v_cmpx_gt_u64_e64 s[2:3], v[13:14]
	s_cbranch_execz .LBB383_40
	s_branch .LBB383_88
.LBB383_85:                             ;   in Loop: Header=BB383_41 Depth=1
	v_lshrrev_b32_e32 v7, 24, v30
	s_delay_alu instid0(VALU_DEP_1) | instskip(SKIP_4) | instid1(SALU_CYCLE_1)
	v_and_or_b32 v30, 0x80, v7, v31
	v_add_co_u32 v7, vcc_lo, v15, s6
	v_add_co_ci_u32_e32 v8, vcc_lo, s7, v16, vcc_lo
	global_store_b8 v[7:8], v30, off
	s_or_b32 exec_lo, exec_lo, s0
	s_mov_b32 s0, exec_lo
	v_cmpx_gt_u64_e64 s[2:3], v[9:10]
	s_cbranch_execz .LBB383_83
.LBB383_86:                             ;   in Loop: Header=BB383_41 Depth=1
	v_lshrrev_b32_e32 v7, 24, v32
	s_delay_alu instid0(VALU_DEP_1) | instskip(SKIP_4) | instid1(SALU_CYCLE_1)
	v_and_or_b32 v9, 0x80, v7, v33
	v_add_co_u32 v7, vcc_lo, v27, s6
	v_add_co_ci_u32_e32 v8, vcc_lo, s7, v28, vcc_lo
	global_store_b8 v[7:8], v9, off
	s_or_b32 exec_lo, exec_lo, s0
	s_mov_b32 s0, exec_lo
	v_cmpx_gt_u64_e64 s[2:3], v[11:12]
	s_cbranch_execz .LBB383_84
.LBB383_87:                             ;   in Loop: Header=BB383_41 Depth=1
	v_lshrrev_b32_e32 v7, 24, v34
	s_delay_alu instid0(VALU_DEP_1) | instskip(SKIP_4) | instid1(SALU_CYCLE_1)
	v_and_or_b32 v9, 0x80, v7, v35
	v_add_co_u32 v7, vcc_lo, v22, s6
	v_add_co_ci_u32_e32 v8, vcc_lo, s7, v23, vcc_lo
	global_store_b8 v[7:8], v9, off
	s_or_b32 exec_lo, exec_lo, s0
	s_mov_b32 s0, exec_lo
	v_cmpx_gt_u64_e64 s[2:3], v[13:14]
	s_cbranch_execz .LBB383_40
.LBB383_88:                             ;   in Loop: Header=BB383_41 Depth=1
	v_lshrrev_b32_e32 v7, 24, v36
	s_delay_alu instid0(VALU_DEP_1)
	v_and_or_b32 v9, 0x80, v7, v37
	v_add_co_u32 v7, vcc_lo, v17, s6
	v_add_co_ci_u32_e32 v8, vcc_lo, s7, v18, vcc_lo
	global_store_b8 v[7:8], v9, off
	s_branch .LBB383_40
.LBB383_89:
	s_nop 0
	s_sendmsg sendmsg(MSG_DEALLOC_VGPRS)
	s_endpgm
	.section	.rodata,"a",@progbits
	.p2align	6, 0x0
	.amdhsa_kernel _ZN2at6native12_GLOBAL__N_125multi_tensor_apply_kernelINS1_18TensorListMetadataILi2EEENS1_11CopyFunctorIN3c1011Float8_e5m2EsLi2ELi1ELi1EEEJNS0_4CopyIS7_sEEEEEvT_T0_DpT1_
		.amdhsa_group_segment_fixed_size 0
		.amdhsa_private_segment_fixed_size 0
		.amdhsa_kernarg_size 3408
		.amdhsa_user_sgpr_count 15
		.amdhsa_user_sgpr_dispatch_ptr 0
		.amdhsa_user_sgpr_queue_ptr 0
		.amdhsa_user_sgpr_kernarg_segment_ptr 1
		.amdhsa_user_sgpr_dispatch_id 0
		.amdhsa_user_sgpr_private_segment_size 0
		.amdhsa_wavefront_size32 1
		.amdhsa_uses_dynamic_stack 0
		.amdhsa_enable_private_segment 0
		.amdhsa_system_sgpr_workgroup_id_x 1
		.amdhsa_system_sgpr_workgroup_id_y 0
		.amdhsa_system_sgpr_workgroup_id_z 0
		.amdhsa_system_sgpr_workgroup_info 0
		.amdhsa_system_vgpr_workitem_id 0
		.amdhsa_next_free_vgpr 39
		.amdhsa_next_free_sgpr 20
		.amdhsa_reserve_vcc 1
		.amdhsa_float_round_mode_32 0
		.amdhsa_float_round_mode_16_64 0
		.amdhsa_float_denorm_mode_32 3
		.amdhsa_float_denorm_mode_16_64 3
		.amdhsa_dx10_clamp 1
		.amdhsa_ieee_mode 1
		.amdhsa_fp16_overflow 0
		.amdhsa_workgroup_processor_mode 1
		.amdhsa_memory_ordered 1
		.amdhsa_forward_progress 0
		.amdhsa_shared_vgpr_count 0
		.amdhsa_exception_fp_ieee_invalid_op 0
		.amdhsa_exception_fp_denorm_src 0
		.amdhsa_exception_fp_ieee_div_zero 0
		.amdhsa_exception_fp_ieee_overflow 0
		.amdhsa_exception_fp_ieee_underflow 0
		.amdhsa_exception_fp_ieee_inexact 0
		.amdhsa_exception_int_div_zero 0
	.end_amdhsa_kernel
	.section	.text._ZN2at6native12_GLOBAL__N_125multi_tensor_apply_kernelINS1_18TensorListMetadataILi2EEENS1_11CopyFunctorIN3c1011Float8_e5m2EsLi2ELi1ELi1EEEJNS0_4CopyIS7_sEEEEEvT_T0_DpT1_,"axG",@progbits,_ZN2at6native12_GLOBAL__N_125multi_tensor_apply_kernelINS1_18TensorListMetadataILi2EEENS1_11CopyFunctorIN3c1011Float8_e5m2EsLi2ELi1ELi1EEEJNS0_4CopyIS7_sEEEEEvT_T0_DpT1_,comdat
.Lfunc_end383:
	.size	_ZN2at6native12_GLOBAL__N_125multi_tensor_apply_kernelINS1_18TensorListMetadataILi2EEENS1_11CopyFunctorIN3c1011Float8_e5m2EsLi2ELi1ELi1EEEJNS0_4CopyIS7_sEEEEEvT_T0_DpT1_, .Lfunc_end383-_ZN2at6native12_GLOBAL__N_125multi_tensor_apply_kernelINS1_18TensorListMetadataILi2EEENS1_11CopyFunctorIN3c1011Float8_e5m2EsLi2ELi1ELi1EEEJNS0_4CopyIS7_sEEEEEvT_T0_DpT1_
                                        ; -- End function
	.section	.AMDGPU.csdata,"",@progbits
; Kernel info:
; codeLenInByte = 2588
; NumSgprs: 22
; NumVgprs: 39
; ScratchSize: 0
; MemoryBound: 0
; FloatMode: 240
; IeeeMode: 1
; LDSByteSize: 0 bytes/workgroup (compile time only)
; SGPRBlocks: 2
; VGPRBlocks: 4
; NumSGPRsForWavesPerEU: 22
; NumVGPRsForWavesPerEU: 39
; Occupancy: 16
; WaveLimiterHint : 0
; COMPUTE_PGM_RSRC2:SCRATCH_EN: 0
; COMPUTE_PGM_RSRC2:USER_SGPR: 15
; COMPUTE_PGM_RSRC2:TRAP_HANDLER: 0
; COMPUTE_PGM_RSRC2:TGID_X_EN: 1
; COMPUTE_PGM_RSRC2:TGID_Y_EN: 0
; COMPUTE_PGM_RSRC2:TGID_Z_EN: 0
; COMPUTE_PGM_RSRC2:TIDIG_COMP_CNT: 0
	.section	.text._ZN2at6native12_GLOBAL__N_125multi_tensor_apply_kernelINS1_18TensorListMetadataILi2EEENS1_11CopyFunctorIN3c1011Float8_e5m2EiLi2ELi1ELi1EEEJNS0_4CopyIS7_iEEEEEvT_T0_DpT1_,"axG",@progbits,_ZN2at6native12_GLOBAL__N_125multi_tensor_apply_kernelINS1_18TensorListMetadataILi2EEENS1_11CopyFunctorIN3c1011Float8_e5m2EiLi2ELi1ELi1EEEJNS0_4CopyIS7_iEEEEEvT_T0_DpT1_,comdat
	.globl	_ZN2at6native12_GLOBAL__N_125multi_tensor_apply_kernelINS1_18TensorListMetadataILi2EEENS1_11CopyFunctorIN3c1011Float8_e5m2EiLi2ELi1ELi1EEEJNS0_4CopyIS7_iEEEEEvT_T0_DpT1_ ; -- Begin function _ZN2at6native12_GLOBAL__N_125multi_tensor_apply_kernelINS1_18TensorListMetadataILi2EEENS1_11CopyFunctorIN3c1011Float8_e5m2EiLi2ELi1ELi1EEEJNS0_4CopyIS7_iEEEEEvT_T0_DpT1_
	.p2align	8
	.type	_ZN2at6native12_GLOBAL__N_125multi_tensor_apply_kernelINS1_18TensorListMetadataILi2EEENS1_11CopyFunctorIN3c1011Float8_e5m2EiLi2ELi1ELi1EEEJNS0_4CopyIS7_iEEEEEvT_T0_DpT1_,@function
_ZN2at6native12_GLOBAL__N_125multi_tensor_apply_kernelINS1_18TensorListMetadataILi2EEENS1_11CopyFunctorIN3c1011Float8_e5m2EiLi2ELi1ELi1EEEJNS0_4CopyIS7_iEEEEEvT_T0_DpT1_: ; @_ZN2at6native12_GLOBAL__N_125multi_tensor_apply_kernelINS1_18TensorListMetadataILi2EEENS1_11CopyFunctorIN3c1011Float8_e5m2EiLi2ELi1ELi1EEEJNS0_4CopyIS7_iEEEEEvT_T0_DpT1_
; %bb.0:
	v_mov_b32_e32 v1, s15
	s_add_u32 s2, s0, s15
	s_mul_i32 s4, s15, 3
	s_addc_u32 s3, s1, 0
	s_mul_hi_u32 s5, s15, 3
	global_load_u8 v1, v1, s[0:1] offset:1536
	s_add_u32 s2, s2, s4
	s_addc_u32 s3, s3, s5
	s_mov_b32 s17, 0
	s_load_b32 s10, s[2:3], 0x740
	s_waitcnt lgkmcnt(0)
	s_ashr_i32 s11, s10, 31
	s_delay_alu instid0(SALU_CYCLE_1) | instskip(SKIP_2) | instid1(VALU_DEP_1)
	s_lshl_b64 s[8:9], s[10:11], 16
	s_waitcnt vmcnt(0)
	v_readfirstlane_b32 s4, v1
	s_lshl_b32 s4, s4, 3
	s_clause 0x2
	s_load_b64 s[6:7], s[0:1], s4 offset:0x200
	s_load_b64 s[2:3], s[0:1], s4 offset:0x400
	;; [unrolled: 1-line block ×3, first 2 shown]
	s_waitcnt lgkmcnt(0)
	s_add_u32 s14, s6, s8
	s_addc_u32 s15, s7, s9
	s_delay_alu instid0(SALU_CYCLE_1) | instskip(SKIP_2) | instid1(SALU_CYCLE_1)
	s_or_b64 s[4:5], s[2:3], s[14:15]
	s_and_b32 s5, s12, 15
	s_and_b32 s4, s4, 3
	s_or_b32 s16, s4, s5
	s_sub_u32 s4, s2, s8
	s_subb_u32 s5, s3, s9
	s_cmp_eq_u64 s[16:17], 0
	s_mov_b32 s2, -1
	s_cbranch_scc0 .LBB384_37
; %bb.1:
	v_dual_mov_b32 v6, 0 :: v_dual_lshlrev_b32 v5, 2, v0
	s_mov_b32 s3, exec_lo
	s_delay_alu instid0(VALU_DEP_1)
	v_cmpx_gt_i64_e64 s[4:5], v[5:6]
	s_cbranch_execz .LBB384_36
; %bb.2:
	s_load_b32 s2, s[0:1], 0xc5c
	v_lshlrev_b32_e32 v1, 4, v0
	s_lshl_b64 s[18:19], s[10:11], 18
	v_mov_b32_e32 v9, 0x7f
	s_waitcnt lgkmcnt(0)
	s_and_b32 s2, s2, 0xffff
	s_delay_alu instid0(SALU_CYCLE_1) | instskip(SKIP_3) | instid1(VALU_DEP_1)
	s_lshl_b32 s16, s2, 2
	s_add_u32 s17, s12, s18
	s_addc_u32 s18, s13, s19
	v_add_co_u32 v7, s17, s17, v1
	v_add_co_ci_u32_e64 v8, null, s18, 0, s17
	s_mov_b32 s17, 0
	s_lshl_b32 s18, s2, 4
	s_branch .LBB384_4
.LBB384_3:                              ;   in Loop: Header=BB384_4 Depth=1
	s_or_b32 exec_lo, exec_lo, s2
	v_lshrrev_b32_e32 v12, 24, v12
	v_lshrrev_b32_e32 v11, 24, v11
	;; [unrolled: 1-line block ×3, first 2 shown]
	v_add_co_u32 v10, vcc_lo, s14, v5
	s_delay_alu instid0(VALU_DEP_4) | instskip(NEXT) | instid1(VALU_DEP_4)
	v_and_b32_e32 v12, 0x80, v12
	v_and_b32_e32 v15, 0x80, v11
	v_add_co_ci_u32_e32 v11, vcc_lo, s15, v6, vcc_lo
	v_add_co_u32 v5, vcc_lo, s16, v5
	s_delay_alu instid0(VALU_DEP_4)
	v_and_or_b32 v3, 0xff, v3, v12
	v_add_co_ci_u32_e32 v6, vcc_lo, 0, v6, vcc_lo
	v_lshlrev_b32_e32 v13, 24, v13
	v_and_or_b32 v2, 0xff, v2, v15
	v_and_b32_e32 v4, 0x80000000, v4
	v_and_b32_e32 v1, 0xff, v1
	v_lshlrev_b32_e32 v3, 16, v3
	v_cmp_le_i64_e32 vcc_lo, s[4:5], v[5:6]
	v_cmp_lt_u64_e64 s2, 0xffff, v[5:6]
	v_lshlrev_b32_e32 v2, 8, v2
	v_and_or_b32 v1, 0x80, v14, v1
	v_or3_b32 v3, v4, v13, v3
	s_delay_alu instid0(VALU_DEP_4) | instskip(SKIP_1) | instid1(VALU_DEP_2)
	s_or_b32 s2, vcc_lo, s2
	v_add_co_u32 v7, vcc_lo, v7, s18
	v_or3_b32 v1, v3, v2, v1
	v_add_co_ci_u32_e32 v8, vcc_lo, 0, v8, vcc_lo
	s_and_b32 s2, exec_lo, s2
	s_delay_alu instid0(SALU_CYCLE_1)
	s_or_b32 s17, s2, s17
	global_store_b32 v[10:11], v1, off
	s_and_not1_b32 exec_lo, exec_lo, s17
	s_cbranch_execz .LBB384_36
.LBB384_4:                              ; =>This Inner Loop Header: Depth=1
	global_load_b128 v[1:4], v[7:8], off
	s_mov_b32 s2, exec_lo
	s_waitcnt vmcnt(0)
	v_cvt_f32_i32_e32 v10, v1
                                        ; implicit-def: $vgpr1
	s_delay_alu instid0(VALU_DEP_1) | instskip(NEXT) | instid1(VALU_DEP_1)
	v_and_b32_e32 v11, 0x7fffffff, v10
	v_cmpx_gt_u32_e32 0x47800000, v11
	s_xor_b32 s2, exec_lo, s2
	s_cbranch_execz .LBB384_10
; %bb.5:                                ;   in Loop: Header=BB384_4 Depth=1
	s_mov_b32 s19, exec_lo
                                        ; implicit-def: $vgpr1
	v_cmpx_lt_u32_e32 0x387fffff, v11
	s_xor_b32 s19, exec_lo, s19
; %bb.6:                                ;   in Loop: Header=BB384_4 Depth=1
	v_bfe_u32 v1, v10, 21, 1
	s_delay_alu instid0(VALU_DEP_1) | instskip(NEXT) | instid1(VALU_DEP_1)
	v_add3_u32 v1, v10, v1, 0x80fffff
	v_lshrrev_b32_e32 v1, 21, v1
; %bb.7:                                ;   in Loop: Header=BB384_4 Depth=1
	s_and_not1_saveexec_b32 s19, s19
; %bb.8:                                ;   in Loop: Header=BB384_4 Depth=1
	v_add_f32_e64 v1, 0x43000000, |v10|
; %bb.9:                                ;   in Loop: Header=BB384_4 Depth=1
	s_or_b32 exec_lo, exec_lo, s19
                                        ; implicit-def: $vgpr11
.LBB384_10:                             ;   in Loop: Header=BB384_4 Depth=1
	s_and_not1_saveexec_b32 s2, s2
; %bb.11:                               ;   in Loop: Header=BB384_4 Depth=1
	v_cmp_lt_u32_e32 vcc_lo, 0x7f800000, v11
	v_cndmask_b32_e32 v1, 0x7c, v9, vcc_lo
; %bb.12:                               ;   in Loop: Header=BB384_4 Depth=1
	s_or_b32 exec_lo, exec_lo, s2
	v_cvt_f32_i32_e32 v11, v2
	s_mov_b32 s2, exec_lo
                                        ; implicit-def: $vgpr2
	s_delay_alu instid0(VALU_DEP_1) | instskip(NEXT) | instid1(VALU_DEP_1)
	v_and_b32_e32 v12, 0x7fffffff, v11
	v_cmpx_gt_u32_e32 0x47800000, v12
	s_xor_b32 s2, exec_lo, s2
	s_cbranch_execz .LBB384_18
; %bb.13:                               ;   in Loop: Header=BB384_4 Depth=1
	s_mov_b32 s19, exec_lo
                                        ; implicit-def: $vgpr2
	v_cmpx_lt_u32_e32 0x387fffff, v12
	s_xor_b32 s19, exec_lo, s19
; %bb.14:                               ;   in Loop: Header=BB384_4 Depth=1
	v_bfe_u32 v2, v11, 21, 1
	s_delay_alu instid0(VALU_DEP_1) | instskip(NEXT) | instid1(VALU_DEP_1)
	v_add3_u32 v2, v11, v2, 0x80fffff
	v_lshrrev_b32_e32 v2, 21, v2
; %bb.15:                               ;   in Loop: Header=BB384_4 Depth=1
	s_and_not1_saveexec_b32 s19, s19
; %bb.16:                               ;   in Loop: Header=BB384_4 Depth=1
	v_add_f32_e64 v2, 0x43000000, |v11|
; %bb.17:                               ;   in Loop: Header=BB384_4 Depth=1
	s_or_b32 exec_lo, exec_lo, s19
                                        ; implicit-def: $vgpr12
.LBB384_18:                             ;   in Loop: Header=BB384_4 Depth=1
	s_and_not1_saveexec_b32 s2, s2
; %bb.19:                               ;   in Loop: Header=BB384_4 Depth=1
	v_cmp_lt_u32_e32 vcc_lo, 0x7f800000, v12
	v_cndmask_b32_e32 v2, 0x7c, v9, vcc_lo
; %bb.20:                               ;   in Loop: Header=BB384_4 Depth=1
	s_or_b32 exec_lo, exec_lo, s2
	v_cvt_f32_i32_e32 v12, v3
	s_mov_b32 s2, exec_lo
                                        ; implicit-def: $vgpr3
	s_delay_alu instid0(VALU_DEP_1) | instskip(NEXT) | instid1(VALU_DEP_1)
	v_and_b32_e32 v13, 0x7fffffff, v12
	v_cmpx_gt_u32_e32 0x47800000, v13
	s_xor_b32 s2, exec_lo, s2
	s_cbranch_execz .LBB384_26
; %bb.21:                               ;   in Loop: Header=BB384_4 Depth=1
	s_mov_b32 s19, exec_lo
                                        ; implicit-def: $vgpr3
	v_cmpx_lt_u32_e32 0x387fffff, v13
	s_xor_b32 s19, exec_lo, s19
; %bb.22:                               ;   in Loop: Header=BB384_4 Depth=1
	v_bfe_u32 v3, v12, 21, 1
	s_delay_alu instid0(VALU_DEP_1) | instskip(NEXT) | instid1(VALU_DEP_1)
	v_add3_u32 v3, v12, v3, 0x80fffff
	v_lshrrev_b32_e32 v3, 21, v3
; %bb.23:                               ;   in Loop: Header=BB384_4 Depth=1
	s_and_not1_saveexec_b32 s19, s19
; %bb.24:                               ;   in Loop: Header=BB384_4 Depth=1
	v_add_f32_e64 v3, 0x43000000, |v12|
; %bb.25:                               ;   in Loop: Header=BB384_4 Depth=1
	s_or_b32 exec_lo, exec_lo, s19
                                        ; implicit-def: $vgpr13
.LBB384_26:                             ;   in Loop: Header=BB384_4 Depth=1
	s_and_not1_saveexec_b32 s2, s2
; %bb.27:                               ;   in Loop: Header=BB384_4 Depth=1
	v_cmp_lt_u32_e32 vcc_lo, 0x7f800000, v13
	v_cndmask_b32_e32 v3, 0x7c, v9, vcc_lo
; %bb.28:                               ;   in Loop: Header=BB384_4 Depth=1
	s_or_b32 exec_lo, exec_lo, s2
	v_cvt_f32_i32_e32 v4, v4
	s_mov_b32 s2, exec_lo
                                        ; implicit-def: $vgpr13
	s_delay_alu instid0(VALU_DEP_1) | instskip(NEXT) | instid1(VALU_DEP_1)
	v_and_b32_e32 v14, 0x7fffffff, v4
	v_cmpx_gt_u32_e32 0x47800000, v14
	s_xor_b32 s2, exec_lo, s2
	s_cbranch_execz .LBB384_34
; %bb.29:                               ;   in Loop: Header=BB384_4 Depth=1
	s_mov_b32 s19, exec_lo
                                        ; implicit-def: $vgpr13
	v_cmpx_lt_u32_e32 0x387fffff, v14
	s_xor_b32 s19, exec_lo, s19
; %bb.30:                               ;   in Loop: Header=BB384_4 Depth=1
	v_bfe_u32 v13, v4, 21, 1
	s_delay_alu instid0(VALU_DEP_1) | instskip(NEXT) | instid1(VALU_DEP_1)
	v_add3_u32 v13, v4, v13, 0x80fffff
	v_lshrrev_b32_e32 v13, 21, v13
; %bb.31:                               ;   in Loop: Header=BB384_4 Depth=1
	s_and_not1_saveexec_b32 s19, s19
; %bb.32:                               ;   in Loop: Header=BB384_4 Depth=1
	v_add_f32_e64 v13, 0x43000000, |v4|
; %bb.33:                               ;   in Loop: Header=BB384_4 Depth=1
	s_or_b32 exec_lo, exec_lo, s19
                                        ; implicit-def: $vgpr14
.LBB384_34:                             ;   in Loop: Header=BB384_4 Depth=1
	s_and_not1_saveexec_b32 s2, s2
	s_cbranch_execz .LBB384_3
; %bb.35:                               ;   in Loop: Header=BB384_4 Depth=1
	v_cmp_lt_u32_e32 vcc_lo, 0x7f800000, v14
	v_cndmask_b32_e32 v13, 0x7c, v9, vcc_lo
	s_branch .LBB384_3
.LBB384_36:
	s_or_b32 exec_lo, exec_lo, s3
	s_mov_b32 s2, 0
.LBB384_37:
	s_delay_alu instid0(SALU_CYCLE_1)
	s_and_not1_b32 vcc_lo, exec_lo, s2
	s_cbranch_vccnz .LBB384_89
; %bb.38:
	v_cmp_lt_i64_e64 s2, s[4:5], 1
	s_delay_alu instid0(VALU_DEP_1)
	s_and_b32 vcc_lo, exec_lo, s2
	s_cbranch_vccnz .LBB384_89
; %bb.39:
	s_load_b32 s0, s[0:1], 0xc5c
	v_cmp_gt_u64_e64 s1, 0x10000, s[4:5]
	v_add_co_u32 v5, s2, s8, v0
	v_lshlrev_b32_e32 v1, 2, v0
	v_add_co_ci_u32_e64 v6, null, s9, 0, s2
	s_delay_alu instid0(VALU_DEP_3) | instskip(SKIP_1) | instid1(VALU_DEP_3)
	v_add_co_u32 v13, vcc_lo, s6, v5
	v_mov_b32_e32 v27, 0x7f
	v_add_co_ci_u32_e32 v14, vcc_lo, s7, v6, vcc_lo
                                        ; implicit-def: $vgpr30
                                        ; implicit-def: $vgpr31
                                        ; implicit-def: $vgpr28
                                        ; implicit-def: $vgpr29
	s_waitcnt lgkmcnt(0)
	s_and_b32 s0, s0, 0xffff
	s_and_b32 s1, s1, exec_lo
	s_cselect_b32 s3, s5, 0
	s_cselect_b32 s2, s4, 0x10000
	s_lshl_b64 s[10:11], s[10:11], 18
	s_lshl_b32 s14, s0, 1
	s_lshl_b32 s1, s0, 2
	s_add_u32 s12, s12, s10
	s_mul_i32 s15, s0, 3
	s_addc_u32 s13, s13, s11
	s_lshl_b32 s10, s0, 4
	v_add_co_u32 v1, s16, s12, v1
	s_add_u32 s11, s8, s15
	v_add_co_ci_u32_e64 v2, null, s13, 0, s16
	s_addc_u32 s16, s9, 0
	s_add_u32 s11, s6, s11
	s_addc_u32 s16, s7, s16
	v_add_co_u32 v15, s11, s11, v0
	s_delay_alu instid0(VALU_DEP_1)
	v_add_co_ci_u32_e64 v16, null, s16, 0, s11
	v_add_co_u32 v17, s11, s15, v0
	v_add_co_u32 v19, s15, v0, s0
	v_add_co_ci_u32_e64 v18, null, 0, 0, s11
	s_lshl_b32 s11, s0, 3
	s_add_u32 s8, s8, s14
	s_addc_u32 s9, s9, 0
	s_add_u32 s8, s6, s8
	v_lshlrev_b32_e32 v3, 2, v19
	s_addc_u32 s9, s7, s9
	v_add_co_u32 v20, s8, s8, v0
	s_delay_alu instid0(VALU_DEP_1)
	v_add_co_ci_u32_e64 v21, null, s9, 0, s8
	v_add_co_u32 v23, s8, s14, v0
	s_add_u32 s6, s6, s0
	v_add_co_ci_u32_e64 v24, null, 0, 0, s8
	v_add_co_u32 v3, s8, s12, v3
	s_addc_u32 s7, s7, 0
	v_add_co_u32 v25, vcc_lo, s6, v5
	v_add_co_ci_u32_e64 v22, null, 0, 0, s15
	v_add_co_ci_u32_e64 v4, null, s13, 0, s8
	v_add_co_ci_u32_e32 v26, vcc_lo, s7, v6, vcc_lo
	s_mul_i32 s8, s0, 12
	s_mov_b64 s[6:7], 0
	s_branch .LBB384_41
.LBB384_40:                             ;   in Loop: Header=BB384_41 Depth=1
	s_or_b32 exec_lo, exec_lo, s0
	s_add_u32 s6, s6, s1
	s_addc_u32 s7, s7, 0
	v_add_co_u32 v1, vcc_lo, v1, s10
	v_cmp_ge_i64_e64 s0, s[6:7], s[4:5]
	v_cmp_lt_u64_e64 s9, 0xffff, s[6:7]
	v_add_co_ci_u32_e32 v2, vcc_lo, 0, v2, vcc_lo
	v_add_co_u32 v3, vcc_lo, v3, s10
	v_add_co_ci_u32_e32 v4, vcc_lo, 0, v4, vcc_lo
	s_delay_alu instid0(VALU_DEP_4) | instskip(NEXT) | instid1(SALU_CYCLE_1)
	s_or_b32 s0, s0, s9
	s_and_b32 vcc_lo, exec_lo, s0
	s_cbranch_vccnz .LBB384_89
.LBB384_41:                             ; =>This Inner Loop Header: Depth=1
	v_add_co_u32 v5, s0, v0, s6
	s_delay_alu instid0(VALU_DEP_1) | instskip(NEXT) | instid1(VALU_DEP_1)
	v_add_co_ci_u32_e64 v6, null, 0, s7, s0
	v_cmp_gt_i64_e32 vcc_lo, s[4:5], v[5:6]
	v_cmp_gt_u64_e64 s0, 0x10000, v[5:6]
	s_delay_alu instid0(VALU_DEP_1) | instskip(NEXT) | instid1(SALU_CYCLE_1)
	s_and_b32 s9, vcc_lo, s0
	s_and_saveexec_b32 s0, s9
	s_cbranch_execz .LBB384_43
; %bb.42:                               ;   in Loop: Header=BB384_41 Depth=1
	global_load_b32 v29, v[1:2], off
.LBB384_43:                             ;   in Loop: Header=BB384_41 Depth=1
	s_or_b32 exec_lo, exec_lo, s0
	v_add_co_u32 v7, vcc_lo, v19, s6
	v_add_co_ci_u32_e32 v8, vcc_lo, s7, v22, vcc_lo
	s_delay_alu instid0(VALU_DEP_1) | instskip(SKIP_1) | instid1(VALU_DEP_1)
	v_cmp_gt_i64_e32 vcc_lo, s[4:5], v[7:8]
	v_cmp_gt_u64_e64 s0, 0x10000, v[7:8]
	s_and_b32 s9, vcc_lo, s0
	s_delay_alu instid0(SALU_CYCLE_1)
	s_and_saveexec_b32 s0, s9
	s_cbranch_execz .LBB384_45
; %bb.44:                               ;   in Loop: Header=BB384_41 Depth=1
	global_load_b32 v28, v[3:4], off
.LBB384_45:                             ;   in Loop: Header=BB384_41 Depth=1
	s_or_b32 exec_lo, exec_lo, s0
	v_add_co_u32 v9, vcc_lo, v23, s6
	v_add_co_ci_u32_e32 v10, vcc_lo, s7, v24, vcc_lo
	s_delay_alu instid0(VALU_DEP_1) | instskip(SKIP_1) | instid1(VALU_DEP_1)
	v_cmp_gt_i64_e32 vcc_lo, s[4:5], v[9:10]
	v_cmp_gt_u64_e64 s0, 0x10000, v[9:10]
	s_and_b32 s9, vcc_lo, s0
	s_delay_alu instid0(SALU_CYCLE_1)
	s_and_saveexec_b32 s0, s9
	s_cbranch_execz .LBB384_47
; %bb.46:                               ;   in Loop: Header=BB384_41 Depth=1
	v_add_co_u32 v11, vcc_lo, v1, s11
	v_add_co_ci_u32_e32 v12, vcc_lo, 0, v2, vcc_lo
	global_load_b32 v31, v[11:12], off
.LBB384_47:                             ;   in Loop: Header=BB384_41 Depth=1
	s_or_b32 exec_lo, exec_lo, s0
	v_add_co_u32 v11, vcc_lo, v17, s6
	v_add_co_ci_u32_e32 v12, vcc_lo, s7, v18, vcc_lo
	s_delay_alu instid0(VALU_DEP_1) | instskip(SKIP_1) | instid1(VALU_DEP_1)
	v_cmp_gt_i64_e32 vcc_lo, s[4:5], v[11:12]
	v_cmp_gt_u64_e64 s0, 0x10000, v[11:12]
	s_and_b32 s9, vcc_lo, s0
	s_delay_alu instid0(SALU_CYCLE_1)
	s_and_saveexec_b32 s0, s9
	s_cbranch_execz .LBB384_49
; %bb.48:                               ;   in Loop: Header=BB384_41 Depth=1
	v_add_co_u32 v32, vcc_lo, v1, s8
	v_add_co_ci_u32_e32 v33, vcc_lo, 0, v2, vcc_lo
	global_load_b32 v30, v[32:33], off
.LBB384_49:                             ;   in Loop: Header=BB384_41 Depth=1
	s_or_b32 exec_lo, exec_lo, s0
	s_waitcnt vmcnt(0)
	v_cvt_f32_i32_e32 v32, v29
	s_mov_b32 s0, exec_lo
                                        ; implicit-def: $vgpr33
	s_delay_alu instid0(VALU_DEP_1) | instskip(NEXT) | instid1(VALU_DEP_1)
	v_and_b32_e32 v34, 0x7fffffff, v32
	v_cmpx_gt_u32_e32 0x47800000, v34
	s_xor_b32 s0, exec_lo, s0
	s_cbranch_execz .LBB384_55
; %bb.50:                               ;   in Loop: Header=BB384_41 Depth=1
	s_mov_b32 s9, exec_lo
                                        ; implicit-def: $vgpr33
	v_cmpx_lt_u32_e32 0x387fffff, v34
	s_xor_b32 s9, exec_lo, s9
; %bb.51:                               ;   in Loop: Header=BB384_41 Depth=1
	v_bfe_u32 v33, v32, 21, 1
	s_delay_alu instid0(VALU_DEP_1) | instskip(NEXT) | instid1(VALU_DEP_1)
	v_add3_u32 v33, v32, v33, 0x80fffff
	v_lshrrev_b32_e32 v33, 21, v33
; %bb.52:                               ;   in Loop: Header=BB384_41 Depth=1
	s_and_not1_saveexec_b32 s9, s9
; %bb.53:                               ;   in Loop: Header=BB384_41 Depth=1
	v_add_f32_e64 v33, 0x43000000, |v32|
; %bb.54:                               ;   in Loop: Header=BB384_41 Depth=1
	s_or_b32 exec_lo, exec_lo, s9
                                        ; implicit-def: $vgpr34
.LBB384_55:                             ;   in Loop: Header=BB384_41 Depth=1
	s_and_not1_saveexec_b32 s0, s0
; %bb.56:                               ;   in Loop: Header=BB384_41 Depth=1
	v_cmp_lt_u32_e32 vcc_lo, 0x7f800000, v34
	v_cndmask_b32_e32 v33, 0x7c, v27, vcc_lo
; %bb.57:                               ;   in Loop: Header=BB384_41 Depth=1
	s_or_b32 exec_lo, exec_lo, s0
	v_cvt_f32_i32_e32 v34, v28
	s_mov_b32 s0, exec_lo
                                        ; implicit-def: $vgpr35
	s_delay_alu instid0(VALU_DEP_1) | instskip(NEXT) | instid1(VALU_DEP_1)
	v_and_b32_e32 v36, 0x7fffffff, v34
	v_cmpx_gt_u32_e32 0x47800000, v36
	s_xor_b32 s0, exec_lo, s0
	s_cbranch_execz .LBB384_63
; %bb.58:                               ;   in Loop: Header=BB384_41 Depth=1
	s_mov_b32 s9, exec_lo
                                        ; implicit-def: $vgpr35
	v_cmpx_lt_u32_e32 0x387fffff, v36
	s_xor_b32 s9, exec_lo, s9
; %bb.59:                               ;   in Loop: Header=BB384_41 Depth=1
	v_bfe_u32 v35, v34, 21, 1
	s_delay_alu instid0(VALU_DEP_1) | instskip(NEXT) | instid1(VALU_DEP_1)
	v_add3_u32 v35, v34, v35, 0x80fffff
	v_lshrrev_b32_e32 v35, 21, v35
; %bb.60:                               ;   in Loop: Header=BB384_41 Depth=1
	s_and_not1_saveexec_b32 s9, s9
; %bb.61:                               ;   in Loop: Header=BB384_41 Depth=1
	v_add_f32_e64 v35, 0x43000000, |v34|
; %bb.62:                               ;   in Loop: Header=BB384_41 Depth=1
	s_or_b32 exec_lo, exec_lo, s9
                                        ; implicit-def: $vgpr36
.LBB384_63:                             ;   in Loop: Header=BB384_41 Depth=1
	s_and_not1_saveexec_b32 s0, s0
; %bb.64:                               ;   in Loop: Header=BB384_41 Depth=1
	v_cmp_lt_u32_e32 vcc_lo, 0x7f800000, v36
	v_cndmask_b32_e32 v35, 0x7c, v27, vcc_lo
; %bb.65:                               ;   in Loop: Header=BB384_41 Depth=1
	s_or_b32 exec_lo, exec_lo, s0
	v_cvt_f32_i32_e32 v36, v31
	s_mov_b32 s0, exec_lo
                                        ; implicit-def: $vgpr37
	s_delay_alu instid0(VALU_DEP_1) | instskip(NEXT) | instid1(VALU_DEP_1)
	v_and_b32_e32 v38, 0x7fffffff, v36
	v_cmpx_gt_u32_e32 0x47800000, v38
	s_xor_b32 s0, exec_lo, s0
	s_cbranch_execz .LBB384_71
; %bb.66:                               ;   in Loop: Header=BB384_41 Depth=1
	s_mov_b32 s9, exec_lo
                                        ; implicit-def: $vgpr37
	v_cmpx_lt_u32_e32 0x387fffff, v38
	s_xor_b32 s9, exec_lo, s9
; %bb.67:                               ;   in Loop: Header=BB384_41 Depth=1
	v_bfe_u32 v37, v36, 21, 1
	s_delay_alu instid0(VALU_DEP_1) | instskip(NEXT) | instid1(VALU_DEP_1)
	v_add3_u32 v37, v36, v37, 0x80fffff
	v_lshrrev_b32_e32 v37, 21, v37
; %bb.68:                               ;   in Loop: Header=BB384_41 Depth=1
	s_and_not1_saveexec_b32 s9, s9
; %bb.69:                               ;   in Loop: Header=BB384_41 Depth=1
	v_add_f32_e64 v37, 0x43000000, |v36|
; %bb.70:                               ;   in Loop: Header=BB384_41 Depth=1
	s_or_b32 exec_lo, exec_lo, s9
                                        ; implicit-def: $vgpr38
.LBB384_71:                             ;   in Loop: Header=BB384_41 Depth=1
	s_and_not1_saveexec_b32 s0, s0
; %bb.72:                               ;   in Loop: Header=BB384_41 Depth=1
	v_cmp_lt_u32_e32 vcc_lo, 0x7f800000, v38
	v_cndmask_b32_e32 v37, 0x7c, v27, vcc_lo
; %bb.73:                               ;   in Loop: Header=BB384_41 Depth=1
	s_or_b32 exec_lo, exec_lo, s0
	v_cvt_f32_i32_e32 v38, v30
	s_mov_b32 s0, exec_lo
                                        ; implicit-def: $vgpr39
	s_delay_alu instid0(VALU_DEP_1) | instskip(NEXT) | instid1(VALU_DEP_1)
	v_and_b32_e32 v40, 0x7fffffff, v38
	v_cmpx_gt_u32_e32 0x47800000, v40
	s_xor_b32 s0, exec_lo, s0
	s_cbranch_execz .LBB384_79
; %bb.74:                               ;   in Loop: Header=BB384_41 Depth=1
	s_mov_b32 s9, exec_lo
                                        ; implicit-def: $vgpr39
	v_cmpx_lt_u32_e32 0x387fffff, v40
	s_xor_b32 s9, exec_lo, s9
; %bb.75:                               ;   in Loop: Header=BB384_41 Depth=1
	v_bfe_u32 v39, v38, 21, 1
	s_delay_alu instid0(VALU_DEP_1) | instskip(NEXT) | instid1(VALU_DEP_1)
	v_add3_u32 v39, v38, v39, 0x80fffff
	v_lshrrev_b32_e32 v39, 21, v39
; %bb.76:                               ;   in Loop: Header=BB384_41 Depth=1
	s_and_not1_saveexec_b32 s9, s9
; %bb.77:                               ;   in Loop: Header=BB384_41 Depth=1
	v_add_f32_e64 v39, 0x43000000, |v38|
; %bb.78:                               ;   in Loop: Header=BB384_41 Depth=1
	s_or_b32 exec_lo, exec_lo, s9
                                        ; implicit-def: $vgpr40
.LBB384_79:                             ;   in Loop: Header=BB384_41 Depth=1
	s_and_not1_saveexec_b32 s0, s0
; %bb.80:                               ;   in Loop: Header=BB384_41 Depth=1
	v_cmp_lt_u32_e32 vcc_lo, 0x7f800000, v40
	v_cndmask_b32_e32 v39, 0x7c, v27, vcc_lo
; %bb.81:                               ;   in Loop: Header=BB384_41 Depth=1
	s_or_b32 exec_lo, exec_lo, s0
	s_delay_alu instid0(SALU_CYCLE_1)
	s_mov_b32 s0, exec_lo
	v_cmpx_gt_u64_e64 s[2:3], v[5:6]
	s_xor_b32 s0, exec_lo, s0
	s_cbranch_execnz .LBB384_85
; %bb.82:                               ;   in Loop: Header=BB384_41 Depth=1
	s_or_b32 exec_lo, exec_lo, s0
	s_delay_alu instid0(SALU_CYCLE_1)
	s_mov_b32 s0, exec_lo
	v_cmpx_gt_u64_e64 s[2:3], v[7:8]
	s_cbranch_execnz .LBB384_86
.LBB384_83:                             ;   in Loop: Header=BB384_41 Depth=1
	s_or_b32 exec_lo, exec_lo, s0
	s_delay_alu instid0(SALU_CYCLE_1)
	s_mov_b32 s0, exec_lo
	v_cmpx_gt_u64_e64 s[2:3], v[9:10]
	s_cbranch_execnz .LBB384_87
.LBB384_84:                             ;   in Loop: Header=BB384_41 Depth=1
	s_or_b32 exec_lo, exec_lo, s0
	s_delay_alu instid0(SALU_CYCLE_1)
	s_mov_b32 s0, exec_lo
	v_cmpx_gt_u64_e64 s[2:3], v[11:12]
	s_cbranch_execz .LBB384_40
	s_branch .LBB384_88
.LBB384_85:                             ;   in Loop: Header=BB384_41 Depth=1
	v_lshrrev_b32_e32 v5, 24, v32
	s_delay_alu instid0(VALU_DEP_1) | instskip(SKIP_4) | instid1(SALU_CYCLE_1)
	v_and_or_b32 v32, 0x80, v5, v33
	v_add_co_u32 v5, vcc_lo, v13, s6
	v_add_co_ci_u32_e32 v6, vcc_lo, s7, v14, vcc_lo
	global_store_b8 v[5:6], v32, off
	s_or_b32 exec_lo, exec_lo, s0
	s_mov_b32 s0, exec_lo
	v_cmpx_gt_u64_e64 s[2:3], v[7:8]
	s_cbranch_execz .LBB384_83
.LBB384_86:                             ;   in Loop: Header=BB384_41 Depth=1
	v_lshrrev_b32_e32 v5, 24, v34
	s_delay_alu instid0(VALU_DEP_1) | instskip(SKIP_4) | instid1(SALU_CYCLE_1)
	v_and_or_b32 v7, 0x80, v5, v35
	v_add_co_u32 v5, vcc_lo, v25, s6
	v_add_co_ci_u32_e32 v6, vcc_lo, s7, v26, vcc_lo
	global_store_b8 v[5:6], v7, off
	s_or_b32 exec_lo, exec_lo, s0
	s_mov_b32 s0, exec_lo
	v_cmpx_gt_u64_e64 s[2:3], v[9:10]
	s_cbranch_execz .LBB384_84
.LBB384_87:                             ;   in Loop: Header=BB384_41 Depth=1
	v_lshrrev_b32_e32 v5, 24, v36
	s_delay_alu instid0(VALU_DEP_1) | instskip(SKIP_4) | instid1(SALU_CYCLE_1)
	v_and_or_b32 v7, 0x80, v5, v37
	v_add_co_u32 v5, vcc_lo, v20, s6
	v_add_co_ci_u32_e32 v6, vcc_lo, s7, v21, vcc_lo
	global_store_b8 v[5:6], v7, off
	s_or_b32 exec_lo, exec_lo, s0
	s_mov_b32 s0, exec_lo
	v_cmpx_gt_u64_e64 s[2:3], v[11:12]
	s_cbranch_execz .LBB384_40
.LBB384_88:                             ;   in Loop: Header=BB384_41 Depth=1
	v_lshrrev_b32_e32 v5, 24, v38
	s_delay_alu instid0(VALU_DEP_1)
	v_and_or_b32 v7, 0x80, v5, v39
	v_add_co_u32 v5, vcc_lo, v15, s6
	v_add_co_ci_u32_e32 v6, vcc_lo, s7, v16, vcc_lo
	global_store_b8 v[5:6], v7, off
	s_branch .LBB384_40
.LBB384_89:
	s_nop 0
	s_sendmsg sendmsg(MSG_DEALLOC_VGPRS)
	s_endpgm
	.section	.rodata,"a",@progbits
	.p2align	6, 0x0
	.amdhsa_kernel _ZN2at6native12_GLOBAL__N_125multi_tensor_apply_kernelINS1_18TensorListMetadataILi2EEENS1_11CopyFunctorIN3c1011Float8_e5m2EiLi2ELi1ELi1EEEJNS0_4CopyIS7_iEEEEEvT_T0_DpT1_
		.amdhsa_group_segment_fixed_size 0
		.amdhsa_private_segment_fixed_size 0
		.amdhsa_kernarg_size 3408
		.amdhsa_user_sgpr_count 15
		.amdhsa_user_sgpr_dispatch_ptr 0
		.amdhsa_user_sgpr_queue_ptr 0
		.amdhsa_user_sgpr_kernarg_segment_ptr 1
		.amdhsa_user_sgpr_dispatch_id 0
		.amdhsa_user_sgpr_private_segment_size 0
		.amdhsa_wavefront_size32 1
		.amdhsa_uses_dynamic_stack 0
		.amdhsa_enable_private_segment 0
		.amdhsa_system_sgpr_workgroup_id_x 1
		.amdhsa_system_sgpr_workgroup_id_y 0
		.amdhsa_system_sgpr_workgroup_id_z 0
		.amdhsa_system_sgpr_workgroup_info 0
		.amdhsa_system_vgpr_workitem_id 0
		.amdhsa_next_free_vgpr 41
		.amdhsa_next_free_sgpr 20
		.amdhsa_reserve_vcc 1
		.amdhsa_float_round_mode_32 0
		.amdhsa_float_round_mode_16_64 0
		.amdhsa_float_denorm_mode_32 3
		.amdhsa_float_denorm_mode_16_64 3
		.amdhsa_dx10_clamp 1
		.amdhsa_ieee_mode 1
		.amdhsa_fp16_overflow 0
		.amdhsa_workgroup_processor_mode 1
		.amdhsa_memory_ordered 1
		.amdhsa_forward_progress 0
		.amdhsa_shared_vgpr_count 0
		.amdhsa_exception_fp_ieee_invalid_op 0
		.amdhsa_exception_fp_denorm_src 0
		.amdhsa_exception_fp_ieee_div_zero 0
		.amdhsa_exception_fp_ieee_overflow 0
		.amdhsa_exception_fp_ieee_underflow 0
		.amdhsa_exception_fp_ieee_inexact 0
		.amdhsa_exception_int_div_zero 0
	.end_amdhsa_kernel
	.section	.text._ZN2at6native12_GLOBAL__N_125multi_tensor_apply_kernelINS1_18TensorListMetadataILi2EEENS1_11CopyFunctorIN3c1011Float8_e5m2EiLi2ELi1ELi1EEEJNS0_4CopyIS7_iEEEEEvT_T0_DpT1_,"axG",@progbits,_ZN2at6native12_GLOBAL__N_125multi_tensor_apply_kernelINS1_18TensorListMetadataILi2EEENS1_11CopyFunctorIN3c1011Float8_e5m2EiLi2ELi1ELi1EEEJNS0_4CopyIS7_iEEEEEvT_T0_DpT1_,comdat
.Lfunc_end384:
	.size	_ZN2at6native12_GLOBAL__N_125multi_tensor_apply_kernelINS1_18TensorListMetadataILi2EEENS1_11CopyFunctorIN3c1011Float8_e5m2EiLi2ELi1ELi1EEEJNS0_4CopyIS7_iEEEEEvT_T0_DpT1_, .Lfunc_end384-_ZN2at6native12_GLOBAL__N_125multi_tensor_apply_kernelINS1_18TensorListMetadataILi2EEENS1_11CopyFunctorIN3c1011Float8_e5m2EiLi2ELi1ELi1EEEJNS0_4CopyIS7_iEEEEEvT_T0_DpT1_
                                        ; -- End function
	.section	.AMDGPU.csdata,"",@progbits
; Kernel info:
; codeLenInByte = 2512
; NumSgprs: 22
; NumVgprs: 41
; ScratchSize: 0
; MemoryBound: 0
; FloatMode: 240
; IeeeMode: 1
; LDSByteSize: 0 bytes/workgroup (compile time only)
; SGPRBlocks: 2
; VGPRBlocks: 5
; NumSGPRsForWavesPerEU: 22
; NumVGPRsForWavesPerEU: 41
; Occupancy: 16
; WaveLimiterHint : 0
; COMPUTE_PGM_RSRC2:SCRATCH_EN: 0
; COMPUTE_PGM_RSRC2:USER_SGPR: 15
; COMPUTE_PGM_RSRC2:TRAP_HANDLER: 0
; COMPUTE_PGM_RSRC2:TGID_X_EN: 1
; COMPUTE_PGM_RSRC2:TGID_Y_EN: 0
; COMPUTE_PGM_RSRC2:TGID_Z_EN: 0
; COMPUTE_PGM_RSRC2:TIDIG_COMP_CNT: 0
	.section	.text._ZN2at6native12_GLOBAL__N_125multi_tensor_apply_kernelINS1_18TensorListMetadataILi2EEENS1_11CopyFunctorIN3c1011Float8_e5m2EdLi2ELi1ELi1EEEJNS0_4CopyIS7_dEEEEEvT_T0_DpT1_,"axG",@progbits,_ZN2at6native12_GLOBAL__N_125multi_tensor_apply_kernelINS1_18TensorListMetadataILi2EEENS1_11CopyFunctorIN3c1011Float8_e5m2EdLi2ELi1ELi1EEEJNS0_4CopyIS7_dEEEEEvT_T0_DpT1_,comdat
	.globl	_ZN2at6native12_GLOBAL__N_125multi_tensor_apply_kernelINS1_18TensorListMetadataILi2EEENS1_11CopyFunctorIN3c1011Float8_e5m2EdLi2ELi1ELi1EEEJNS0_4CopyIS7_dEEEEEvT_T0_DpT1_ ; -- Begin function _ZN2at6native12_GLOBAL__N_125multi_tensor_apply_kernelINS1_18TensorListMetadataILi2EEENS1_11CopyFunctorIN3c1011Float8_e5m2EdLi2ELi1ELi1EEEJNS0_4CopyIS7_dEEEEEvT_T0_DpT1_
	.p2align	8
	.type	_ZN2at6native12_GLOBAL__N_125multi_tensor_apply_kernelINS1_18TensorListMetadataILi2EEENS1_11CopyFunctorIN3c1011Float8_e5m2EdLi2ELi1ELi1EEEJNS0_4CopyIS7_dEEEEEvT_T0_DpT1_,@function
_ZN2at6native12_GLOBAL__N_125multi_tensor_apply_kernelINS1_18TensorListMetadataILi2EEENS1_11CopyFunctorIN3c1011Float8_e5m2EdLi2ELi1ELi1EEEJNS0_4CopyIS7_dEEEEEvT_T0_DpT1_: ; @_ZN2at6native12_GLOBAL__N_125multi_tensor_apply_kernelINS1_18TensorListMetadataILi2EEENS1_11CopyFunctorIN3c1011Float8_e5m2EdLi2ELi1ELi1EEEJNS0_4CopyIS7_dEEEEEvT_T0_DpT1_
; %bb.0:
	v_mov_b32_e32 v1, s15
	s_add_u32 s2, s0, s15
	s_mul_i32 s4, s15, 3
	s_addc_u32 s3, s1, 0
	s_mul_hi_u32 s5, s15, 3
	global_load_u8 v1, v1, s[0:1] offset:1536
	s_add_u32 s2, s2, s4
	s_addc_u32 s3, s3, s5
	s_mov_b32 s17, 0
	s_load_b32 s10, s[2:3], 0x740
	s_waitcnt lgkmcnt(0)
	s_ashr_i32 s11, s10, 31
	s_delay_alu instid0(SALU_CYCLE_1) | instskip(SKIP_2) | instid1(VALU_DEP_1)
	s_lshl_b64 s[8:9], s[10:11], 16
	s_waitcnt vmcnt(0)
	v_readfirstlane_b32 s4, v1
	s_lshl_b32 s4, s4, 3
	s_clause 0x2
	s_load_b64 s[6:7], s[0:1], s4 offset:0x200
	s_load_b64 s[2:3], s[0:1], s4 offset:0x400
	;; [unrolled: 1-line block ×3, first 2 shown]
	s_waitcnt lgkmcnt(0)
	s_add_u32 s14, s6, s8
	s_addc_u32 s15, s7, s9
	s_delay_alu instid0(SALU_CYCLE_1) | instskip(SKIP_2) | instid1(SALU_CYCLE_1)
	s_or_b64 s[4:5], s[2:3], s[14:15]
	s_and_b32 s5, s12, 31
	s_and_b32 s4, s4, 3
	s_or_b32 s16, s4, s5
	s_sub_u32 s4, s2, s8
	s_subb_u32 s5, s3, s9
	s_cmp_eq_u64 s[16:17], 0
	s_mov_b32 s2, -1
	s_cbranch_scc0 .LBB385_37
; %bb.1:
	v_dual_mov_b32 v10, 0 :: v_dual_lshlrev_b32 v9, 2, v0
	s_mov_b32 s3, exec_lo
	s_delay_alu instid0(VALU_DEP_1)
	v_cmpx_gt_i64_e64 s[4:5], v[9:10]
	s_cbranch_execz .LBB385_36
; %bb.2:
	s_load_b32 s2, s[0:1], 0xc5c
	v_lshlrev_b32_e32 v1, 5, v0
	s_lshl_b64 s[18:19], s[10:11], 19
	v_mov_b32_e32 v13, 0x7f
	s_waitcnt lgkmcnt(0)
	s_and_b32 s2, s2, 0xffff
	s_delay_alu instid0(SALU_CYCLE_1) | instskip(SKIP_3) | instid1(VALU_DEP_1)
	s_lshl_b32 s16, s2, 2
	s_add_u32 s17, s12, s18
	s_addc_u32 s18, s13, s19
	v_add_co_u32 v11, s17, s17, v1
	v_add_co_ci_u32_e64 v12, null, s18, 0, s17
	s_mov_b32 s17, 0
	s_lshl_b32 s18, s2, 5
	s_branch .LBB385_4
.LBB385_3:                              ;   in Loop: Header=BB385_4 Depth=1
	s_or_b32 exec_lo, exec_lo, s2
	v_lshrrev_b32_e32 v2, 24, v2
	v_lshrrev_b32_e32 v8, 24, v8
	v_add_co_u32 v14, vcc_lo, s14, v9
	v_add_co_ci_u32_e32 v15, vcc_lo, s15, v10, vcc_lo
	s_delay_alu instid0(VALU_DEP_4) | instskip(NEXT) | instid1(VALU_DEP_4)
	v_and_b32_e32 v2, 0x80, v2
	v_and_b32_e32 v8, 0x80, v8
	v_add_co_u32 v9, vcc_lo, s16, v9
	v_add_co_ci_u32_e32 v10, vcc_lo, 0, v10, vcc_lo
	s_delay_alu instid0(VALU_DEP_4)
	v_and_or_b32 v1, 0xff, v1, v2
	v_lshrrev_b32_e32 v6, 24, v6
	v_lshlrev_b32_e32 v4, 24, v4
	v_and_or_b32 v2, 0xff, v7, v8
	v_and_b32_e32 v3, 0x80000000, v3
	v_and_b32_e32 v5, 0xff, v5
	v_lshlrev_b32_e32 v1, 16, v1
	v_cmp_le_i64_e32 vcc_lo, s[4:5], v[9:10]
	v_cmp_lt_u64_e64 s2, 0xffff, v[9:10]
	v_lshlrev_b32_e32 v2, 8, v2
	v_and_or_b32 v5, 0x80, v6, v5
	v_or3_b32 v1, v3, v4, v1
	s_delay_alu instid0(VALU_DEP_4) | instskip(SKIP_1) | instid1(VALU_DEP_2)
	s_or_b32 s2, vcc_lo, s2
	v_add_co_u32 v11, vcc_lo, v11, s18
	v_or3_b32 v1, v1, v2, v5
	v_add_co_ci_u32_e32 v12, vcc_lo, 0, v12, vcc_lo
	s_and_b32 s2, exec_lo, s2
	s_delay_alu instid0(SALU_CYCLE_1)
	s_or_b32 s17, s2, s17
	global_store_b32 v[14:15], v1, off
	s_and_not1_b32 exec_lo, exec_lo, s17
	s_cbranch_execz .LBB385_36
.LBB385_4:                              ; =>This Inner Loop Header: Depth=1
	s_clause 0x1
	global_load_b128 v[5:8], v[11:12], off
	global_load_b128 v[1:4], v[11:12], off offset:16
	s_mov_b32 s2, exec_lo
	s_waitcnt vmcnt(1)
	v_cvt_f32_f64_e32 v6, v[5:6]
                                        ; implicit-def: $vgpr5
	s_delay_alu instid0(VALU_DEP_1) | instskip(NEXT) | instid1(VALU_DEP_1)
	v_and_b32_e32 v14, 0x7fffffff, v6
	v_cmpx_gt_u32_e32 0x47800000, v14
	s_xor_b32 s2, exec_lo, s2
	s_cbranch_execz .LBB385_10
; %bb.5:                                ;   in Loop: Header=BB385_4 Depth=1
	s_mov_b32 s19, exec_lo
                                        ; implicit-def: $vgpr5
	v_cmpx_lt_u32_e32 0x387fffff, v14
	s_xor_b32 s19, exec_lo, s19
; %bb.6:                                ;   in Loop: Header=BB385_4 Depth=1
	v_bfe_u32 v5, v6, 21, 1
	s_delay_alu instid0(VALU_DEP_1) | instskip(NEXT) | instid1(VALU_DEP_1)
	v_add3_u32 v5, v6, v5, 0x80fffff
	v_lshrrev_b32_e32 v5, 21, v5
; %bb.7:                                ;   in Loop: Header=BB385_4 Depth=1
	s_and_not1_saveexec_b32 s19, s19
; %bb.8:                                ;   in Loop: Header=BB385_4 Depth=1
	v_add_f32_e64 v5, 0x43000000, |v6|
; %bb.9:                                ;   in Loop: Header=BB385_4 Depth=1
	s_or_b32 exec_lo, exec_lo, s19
                                        ; implicit-def: $vgpr14
.LBB385_10:                             ;   in Loop: Header=BB385_4 Depth=1
	s_and_not1_saveexec_b32 s2, s2
; %bb.11:                               ;   in Loop: Header=BB385_4 Depth=1
	v_cmp_lt_u32_e32 vcc_lo, 0x7f800000, v14
	v_cndmask_b32_e32 v5, 0x7c, v13, vcc_lo
; %bb.12:                               ;   in Loop: Header=BB385_4 Depth=1
	s_or_b32 exec_lo, exec_lo, s2
	v_cvt_f32_f64_e32 v8, v[7:8]
	s_mov_b32 s2, exec_lo
                                        ; implicit-def: $vgpr7
	s_delay_alu instid0(VALU_DEP_1) | instskip(NEXT) | instid1(VALU_DEP_1)
	v_and_b32_e32 v14, 0x7fffffff, v8
	v_cmpx_gt_u32_e32 0x47800000, v14
	s_xor_b32 s2, exec_lo, s2
	s_cbranch_execz .LBB385_18
; %bb.13:                               ;   in Loop: Header=BB385_4 Depth=1
	s_mov_b32 s19, exec_lo
                                        ; implicit-def: $vgpr7
	v_cmpx_lt_u32_e32 0x387fffff, v14
	s_xor_b32 s19, exec_lo, s19
; %bb.14:                               ;   in Loop: Header=BB385_4 Depth=1
	v_bfe_u32 v7, v8, 21, 1
	s_delay_alu instid0(VALU_DEP_1) | instskip(NEXT) | instid1(VALU_DEP_1)
	v_add3_u32 v7, v8, v7, 0x80fffff
	v_lshrrev_b32_e32 v7, 21, v7
; %bb.15:                               ;   in Loop: Header=BB385_4 Depth=1
	s_and_not1_saveexec_b32 s19, s19
; %bb.16:                               ;   in Loop: Header=BB385_4 Depth=1
	v_add_f32_e64 v7, 0x43000000, |v8|
; %bb.17:                               ;   in Loop: Header=BB385_4 Depth=1
	s_or_b32 exec_lo, exec_lo, s19
                                        ; implicit-def: $vgpr14
.LBB385_18:                             ;   in Loop: Header=BB385_4 Depth=1
	s_and_not1_saveexec_b32 s2, s2
; %bb.19:                               ;   in Loop: Header=BB385_4 Depth=1
	v_cmp_lt_u32_e32 vcc_lo, 0x7f800000, v14
	v_cndmask_b32_e32 v7, 0x7c, v13, vcc_lo
; %bb.20:                               ;   in Loop: Header=BB385_4 Depth=1
	s_or_b32 exec_lo, exec_lo, s2
	s_waitcnt vmcnt(0)
	v_cvt_f32_f64_e32 v2, v[1:2]
	s_mov_b32 s2, exec_lo
                                        ; implicit-def: $vgpr1
	s_delay_alu instid0(VALU_DEP_1) | instskip(NEXT) | instid1(VALU_DEP_1)
	v_and_b32_e32 v14, 0x7fffffff, v2
	v_cmpx_gt_u32_e32 0x47800000, v14
	s_xor_b32 s2, exec_lo, s2
	s_cbranch_execz .LBB385_26
; %bb.21:                               ;   in Loop: Header=BB385_4 Depth=1
	s_mov_b32 s19, exec_lo
                                        ; implicit-def: $vgpr1
	v_cmpx_lt_u32_e32 0x387fffff, v14
	s_xor_b32 s19, exec_lo, s19
; %bb.22:                               ;   in Loop: Header=BB385_4 Depth=1
	v_bfe_u32 v1, v2, 21, 1
	s_delay_alu instid0(VALU_DEP_1) | instskip(NEXT) | instid1(VALU_DEP_1)
	v_add3_u32 v1, v2, v1, 0x80fffff
	v_lshrrev_b32_e32 v1, 21, v1
; %bb.23:                               ;   in Loop: Header=BB385_4 Depth=1
	s_and_not1_saveexec_b32 s19, s19
; %bb.24:                               ;   in Loop: Header=BB385_4 Depth=1
	v_add_f32_e64 v1, 0x43000000, |v2|
; %bb.25:                               ;   in Loop: Header=BB385_4 Depth=1
	s_or_b32 exec_lo, exec_lo, s19
                                        ; implicit-def: $vgpr14
.LBB385_26:                             ;   in Loop: Header=BB385_4 Depth=1
	s_and_not1_saveexec_b32 s2, s2
; %bb.27:                               ;   in Loop: Header=BB385_4 Depth=1
	v_cmp_lt_u32_e32 vcc_lo, 0x7f800000, v14
	v_cndmask_b32_e32 v1, 0x7c, v13, vcc_lo
; %bb.28:                               ;   in Loop: Header=BB385_4 Depth=1
	s_or_b32 exec_lo, exec_lo, s2
	v_cvt_f32_f64_e32 v3, v[3:4]
	s_mov_b32 s2, exec_lo
                                        ; implicit-def: $vgpr4
	s_delay_alu instid0(VALU_DEP_1) | instskip(NEXT) | instid1(VALU_DEP_1)
	v_and_b32_e32 v14, 0x7fffffff, v3
	v_cmpx_gt_u32_e32 0x47800000, v14
	s_xor_b32 s2, exec_lo, s2
	s_cbranch_execz .LBB385_34
; %bb.29:                               ;   in Loop: Header=BB385_4 Depth=1
	s_mov_b32 s19, exec_lo
                                        ; implicit-def: $vgpr4
	v_cmpx_lt_u32_e32 0x387fffff, v14
	s_xor_b32 s19, exec_lo, s19
; %bb.30:                               ;   in Loop: Header=BB385_4 Depth=1
	v_bfe_u32 v4, v3, 21, 1
	s_delay_alu instid0(VALU_DEP_1) | instskip(NEXT) | instid1(VALU_DEP_1)
	v_add3_u32 v4, v3, v4, 0x80fffff
	v_lshrrev_b32_e32 v4, 21, v4
; %bb.31:                               ;   in Loop: Header=BB385_4 Depth=1
	s_and_not1_saveexec_b32 s19, s19
; %bb.32:                               ;   in Loop: Header=BB385_4 Depth=1
	v_add_f32_e64 v4, 0x43000000, |v3|
; %bb.33:                               ;   in Loop: Header=BB385_4 Depth=1
	s_or_b32 exec_lo, exec_lo, s19
                                        ; implicit-def: $vgpr14
.LBB385_34:                             ;   in Loop: Header=BB385_4 Depth=1
	s_and_not1_saveexec_b32 s2, s2
	s_cbranch_execz .LBB385_3
; %bb.35:                               ;   in Loop: Header=BB385_4 Depth=1
	v_cmp_lt_u32_e32 vcc_lo, 0x7f800000, v14
	v_cndmask_b32_e32 v4, 0x7c, v13, vcc_lo
	s_branch .LBB385_3
.LBB385_36:
	s_or_b32 exec_lo, exec_lo, s3
	s_mov_b32 s2, 0
.LBB385_37:
	s_delay_alu instid0(SALU_CYCLE_1)
	s_and_not1_b32 vcc_lo, exec_lo, s2
	s_cbranch_vccnz .LBB385_89
; %bb.38:
	v_cmp_lt_i64_e64 s2, s[4:5], 1
	s_delay_alu instid0(VALU_DEP_1)
	s_and_b32 vcc_lo, exec_lo, s2
	s_cbranch_vccnz .LBB385_89
; %bb.39:
	s_load_b32 s0, s[0:1], 0xc5c
	v_cmp_gt_u64_e64 s1, 0x10000, s[4:5]
	v_add_co_u32 v5, s2, s8, v0
	v_lshlrev_b32_e32 v1, 3, v0
	v_add_co_ci_u32_e64 v6, null, s9, 0, s2
	s_delay_alu instid0(VALU_DEP_3) | instskip(SKIP_1) | instid1(VALU_DEP_3)
	v_add_co_u32 v21, vcc_lo, s6, v5
	v_mov_b32_e32 v35, 0x7f
	v_add_co_ci_u32_e32 v22, vcc_lo, s7, v6, vcc_lo
                                        ; implicit-def: $vgpr9_vgpr10
                                        ; implicit-def: $vgpr11_vgpr12
                                        ; implicit-def: $vgpr7_vgpr8
	s_waitcnt lgkmcnt(0)
	s_and_b32 s0, s0, 0xffff
	s_and_b32 s1, s1, exec_lo
	s_cselect_b32 s3, s5, 0
	s_cselect_b32 s2, s4, 0x10000
	s_lshl_b64 s[10:11], s[10:11], 19
	s_lshl_b32 s14, s0, 1
	s_lshl_b32 s1, s0, 2
	s_add_u32 s12, s12, s10
	s_mul_i32 s15, s0, 3
	s_addc_u32 s13, s13, s11
	s_lshl_b32 s10, s0, 5
	v_add_co_u32 v1, s16, s12, v1
	s_add_u32 s11, s8, s15
	v_add_co_ci_u32_e64 v2, null, s13, 0, s16
	s_addc_u32 s16, s9, 0
	s_add_u32 s11, s6, s11
	s_addc_u32 s16, s7, s16
	v_add_co_u32 v23, s11, s11, v0
	s_delay_alu instid0(VALU_DEP_1)
	v_add_co_ci_u32_e64 v24, null, s16, 0, s11
	v_add_co_u32 v25, s11, s15, v0
	v_add_co_u32 v27, s15, v0, s0
	v_add_co_ci_u32_e64 v26, null, 0, 0, s11
	s_lshl_b32 s11, s0, 4
	s_add_u32 s8, s8, s14
	s_addc_u32 s9, s9, 0
	s_add_u32 s8, s6, s8
	v_lshlrev_b32_e32 v3, 3, v27
	s_addc_u32 s9, s7, s9
	v_add_co_u32 v28, s8, s8, v0
	s_delay_alu instid0(VALU_DEP_1)
	v_add_co_ci_u32_e64 v29, null, s9, 0, s8
	v_add_co_u32 v31, s8, s14, v0
	s_add_u32 s6, s6, s0
	v_add_co_ci_u32_e64 v32, null, 0, 0, s8
	v_add_co_u32 v3, s8, s12, v3
	s_addc_u32 s7, s7, 0
	v_add_co_u32 v33, vcc_lo, s6, v5
	v_add_co_ci_u32_e64 v30, null, 0, 0, s15
	v_add_co_ci_u32_e64 v4, null, s13, 0, s8
	v_add_co_ci_u32_e32 v34, vcc_lo, s7, v6, vcc_lo
	s_mul_i32 s8, s0, 24
	s_mov_b64 s[6:7], 0
                                        ; implicit-def: $vgpr5_vgpr6
	s_branch .LBB385_41
.LBB385_40:                             ;   in Loop: Header=BB385_41 Depth=1
	s_or_b32 exec_lo, exec_lo, s0
	s_add_u32 s6, s6, s1
	s_addc_u32 s7, s7, 0
	v_add_co_u32 v1, vcc_lo, v1, s10
	v_cmp_ge_i64_e64 s0, s[6:7], s[4:5]
	v_cmp_lt_u64_e64 s9, 0xffff, s[6:7]
	v_add_co_ci_u32_e32 v2, vcc_lo, 0, v2, vcc_lo
	v_add_co_u32 v3, vcc_lo, v3, s10
	v_add_co_ci_u32_e32 v4, vcc_lo, 0, v4, vcc_lo
	s_delay_alu instid0(VALU_DEP_4) | instskip(NEXT) | instid1(SALU_CYCLE_1)
	s_or_b32 s0, s0, s9
	s_and_b32 vcc_lo, exec_lo, s0
	s_cbranch_vccnz .LBB385_89
.LBB385_41:                             ; =>This Inner Loop Header: Depth=1
	v_add_co_u32 v13, s0, v0, s6
	s_delay_alu instid0(VALU_DEP_1) | instskip(NEXT) | instid1(VALU_DEP_1)
	v_add_co_ci_u32_e64 v14, null, 0, s7, s0
	v_cmp_gt_i64_e32 vcc_lo, s[4:5], v[13:14]
	v_cmp_gt_u64_e64 s0, 0x10000, v[13:14]
	s_delay_alu instid0(VALU_DEP_1) | instskip(NEXT) | instid1(SALU_CYCLE_1)
	s_and_b32 s9, vcc_lo, s0
	s_and_saveexec_b32 s0, s9
	s_cbranch_execz .LBB385_43
; %bb.42:                               ;   in Loop: Header=BB385_41 Depth=1
	global_load_b64 v[7:8], v[1:2], off
.LBB385_43:                             ;   in Loop: Header=BB385_41 Depth=1
	s_or_b32 exec_lo, exec_lo, s0
	v_add_co_u32 v15, vcc_lo, v27, s6
	v_add_co_ci_u32_e32 v16, vcc_lo, s7, v30, vcc_lo
	s_delay_alu instid0(VALU_DEP_1) | instskip(SKIP_1) | instid1(VALU_DEP_1)
	v_cmp_gt_i64_e32 vcc_lo, s[4:5], v[15:16]
	v_cmp_gt_u64_e64 s0, 0x10000, v[15:16]
	s_and_b32 s9, vcc_lo, s0
	s_delay_alu instid0(SALU_CYCLE_1)
	s_and_saveexec_b32 s0, s9
	s_cbranch_execz .LBB385_45
; %bb.44:                               ;   in Loop: Header=BB385_41 Depth=1
	global_load_b64 v[5:6], v[3:4], off
.LBB385_45:                             ;   in Loop: Header=BB385_41 Depth=1
	s_or_b32 exec_lo, exec_lo, s0
	v_add_co_u32 v17, vcc_lo, v31, s6
	v_add_co_ci_u32_e32 v18, vcc_lo, s7, v32, vcc_lo
	s_delay_alu instid0(VALU_DEP_1) | instskip(SKIP_1) | instid1(VALU_DEP_1)
	v_cmp_gt_i64_e32 vcc_lo, s[4:5], v[17:18]
	v_cmp_gt_u64_e64 s0, 0x10000, v[17:18]
	s_and_b32 s9, vcc_lo, s0
	s_delay_alu instid0(SALU_CYCLE_1)
	s_and_saveexec_b32 s0, s9
	s_cbranch_execz .LBB385_47
; %bb.46:                               ;   in Loop: Header=BB385_41 Depth=1
	v_add_co_u32 v11, vcc_lo, v1, s11
	v_add_co_ci_u32_e32 v12, vcc_lo, 0, v2, vcc_lo
	global_load_b64 v[11:12], v[11:12], off
.LBB385_47:                             ;   in Loop: Header=BB385_41 Depth=1
	s_or_b32 exec_lo, exec_lo, s0
	v_add_co_u32 v19, vcc_lo, v25, s6
	v_add_co_ci_u32_e32 v20, vcc_lo, s7, v26, vcc_lo
	s_delay_alu instid0(VALU_DEP_1) | instskip(SKIP_1) | instid1(VALU_DEP_1)
	v_cmp_gt_i64_e32 vcc_lo, s[4:5], v[19:20]
	v_cmp_gt_u64_e64 s0, 0x10000, v[19:20]
	s_and_b32 s9, vcc_lo, s0
	s_delay_alu instid0(SALU_CYCLE_1)
	s_and_saveexec_b32 s0, s9
	s_cbranch_execz .LBB385_49
; %bb.48:                               ;   in Loop: Header=BB385_41 Depth=1
	v_add_co_u32 v9, vcc_lo, v1, s8
	v_add_co_ci_u32_e32 v10, vcc_lo, 0, v2, vcc_lo
	global_load_b64 v[9:10], v[9:10], off
.LBB385_49:                             ;   in Loop: Header=BB385_41 Depth=1
	s_or_b32 exec_lo, exec_lo, s0
	s_waitcnt vmcnt(0)
	v_cvt_f32_f64_e32 v36, v[7:8]
	s_mov_b32 s0, exec_lo
                                        ; implicit-def: $vgpr37
	s_delay_alu instid0(VALU_DEP_1) | instskip(NEXT) | instid1(VALU_DEP_1)
	v_and_b32_e32 v38, 0x7fffffff, v36
	v_cmpx_gt_u32_e32 0x47800000, v38
	s_xor_b32 s0, exec_lo, s0
	s_cbranch_execz .LBB385_55
; %bb.50:                               ;   in Loop: Header=BB385_41 Depth=1
	s_mov_b32 s9, exec_lo
                                        ; implicit-def: $vgpr37
	v_cmpx_lt_u32_e32 0x387fffff, v38
	s_xor_b32 s9, exec_lo, s9
; %bb.51:                               ;   in Loop: Header=BB385_41 Depth=1
	v_bfe_u32 v37, v36, 21, 1
	s_delay_alu instid0(VALU_DEP_1) | instskip(NEXT) | instid1(VALU_DEP_1)
	v_add3_u32 v37, v36, v37, 0x80fffff
	v_lshrrev_b32_e32 v37, 21, v37
; %bb.52:                               ;   in Loop: Header=BB385_41 Depth=1
	s_and_not1_saveexec_b32 s9, s9
; %bb.53:                               ;   in Loop: Header=BB385_41 Depth=1
	v_add_f32_e64 v37, 0x43000000, |v36|
; %bb.54:                               ;   in Loop: Header=BB385_41 Depth=1
	s_or_b32 exec_lo, exec_lo, s9
                                        ; implicit-def: $vgpr38
.LBB385_55:                             ;   in Loop: Header=BB385_41 Depth=1
	s_and_not1_saveexec_b32 s0, s0
; %bb.56:                               ;   in Loop: Header=BB385_41 Depth=1
	v_cmp_lt_u32_e32 vcc_lo, 0x7f800000, v38
	v_cndmask_b32_e32 v37, 0x7c, v35, vcc_lo
; %bb.57:                               ;   in Loop: Header=BB385_41 Depth=1
	s_or_b32 exec_lo, exec_lo, s0
	v_cvt_f32_f64_e32 v38, v[5:6]
	s_mov_b32 s0, exec_lo
                                        ; implicit-def: $vgpr39
	s_delay_alu instid0(VALU_DEP_1) | instskip(NEXT) | instid1(VALU_DEP_1)
	v_and_b32_e32 v40, 0x7fffffff, v38
	v_cmpx_gt_u32_e32 0x47800000, v40
	s_xor_b32 s0, exec_lo, s0
	s_cbranch_execz .LBB385_63
; %bb.58:                               ;   in Loop: Header=BB385_41 Depth=1
	s_mov_b32 s9, exec_lo
                                        ; implicit-def: $vgpr39
	v_cmpx_lt_u32_e32 0x387fffff, v40
	s_xor_b32 s9, exec_lo, s9
; %bb.59:                               ;   in Loop: Header=BB385_41 Depth=1
	v_bfe_u32 v39, v38, 21, 1
	s_delay_alu instid0(VALU_DEP_1) | instskip(NEXT) | instid1(VALU_DEP_1)
	v_add3_u32 v39, v38, v39, 0x80fffff
	v_lshrrev_b32_e32 v39, 21, v39
; %bb.60:                               ;   in Loop: Header=BB385_41 Depth=1
	s_and_not1_saveexec_b32 s9, s9
; %bb.61:                               ;   in Loop: Header=BB385_41 Depth=1
	v_add_f32_e64 v39, 0x43000000, |v38|
; %bb.62:                               ;   in Loop: Header=BB385_41 Depth=1
	s_or_b32 exec_lo, exec_lo, s9
                                        ; implicit-def: $vgpr40
.LBB385_63:                             ;   in Loop: Header=BB385_41 Depth=1
	s_and_not1_saveexec_b32 s0, s0
; %bb.64:                               ;   in Loop: Header=BB385_41 Depth=1
	v_cmp_lt_u32_e32 vcc_lo, 0x7f800000, v40
	v_cndmask_b32_e32 v39, 0x7c, v35, vcc_lo
; %bb.65:                               ;   in Loop: Header=BB385_41 Depth=1
	s_or_b32 exec_lo, exec_lo, s0
	v_cvt_f32_f64_e32 v40, v[11:12]
	s_mov_b32 s0, exec_lo
                                        ; implicit-def: $vgpr41
	s_delay_alu instid0(VALU_DEP_1) | instskip(NEXT) | instid1(VALU_DEP_1)
	v_and_b32_e32 v42, 0x7fffffff, v40
	v_cmpx_gt_u32_e32 0x47800000, v42
	s_xor_b32 s0, exec_lo, s0
	s_cbranch_execz .LBB385_71
; %bb.66:                               ;   in Loop: Header=BB385_41 Depth=1
	s_mov_b32 s9, exec_lo
                                        ; implicit-def: $vgpr41
	v_cmpx_lt_u32_e32 0x387fffff, v42
	s_xor_b32 s9, exec_lo, s9
; %bb.67:                               ;   in Loop: Header=BB385_41 Depth=1
	v_bfe_u32 v41, v40, 21, 1
	s_delay_alu instid0(VALU_DEP_1) | instskip(NEXT) | instid1(VALU_DEP_1)
	v_add3_u32 v41, v40, v41, 0x80fffff
	v_lshrrev_b32_e32 v41, 21, v41
; %bb.68:                               ;   in Loop: Header=BB385_41 Depth=1
	s_and_not1_saveexec_b32 s9, s9
; %bb.69:                               ;   in Loop: Header=BB385_41 Depth=1
	v_add_f32_e64 v41, 0x43000000, |v40|
; %bb.70:                               ;   in Loop: Header=BB385_41 Depth=1
	s_or_b32 exec_lo, exec_lo, s9
                                        ; implicit-def: $vgpr42
.LBB385_71:                             ;   in Loop: Header=BB385_41 Depth=1
	s_and_not1_saveexec_b32 s0, s0
; %bb.72:                               ;   in Loop: Header=BB385_41 Depth=1
	v_cmp_lt_u32_e32 vcc_lo, 0x7f800000, v42
	v_cndmask_b32_e32 v41, 0x7c, v35, vcc_lo
; %bb.73:                               ;   in Loop: Header=BB385_41 Depth=1
	s_or_b32 exec_lo, exec_lo, s0
	v_cvt_f32_f64_e32 v42, v[9:10]
	s_mov_b32 s0, exec_lo
                                        ; implicit-def: $vgpr43
	s_delay_alu instid0(VALU_DEP_1) | instskip(NEXT) | instid1(VALU_DEP_1)
	v_and_b32_e32 v44, 0x7fffffff, v42
	v_cmpx_gt_u32_e32 0x47800000, v44
	s_xor_b32 s0, exec_lo, s0
	s_cbranch_execz .LBB385_79
; %bb.74:                               ;   in Loop: Header=BB385_41 Depth=1
	s_mov_b32 s9, exec_lo
                                        ; implicit-def: $vgpr43
	v_cmpx_lt_u32_e32 0x387fffff, v44
	s_xor_b32 s9, exec_lo, s9
; %bb.75:                               ;   in Loop: Header=BB385_41 Depth=1
	v_bfe_u32 v43, v42, 21, 1
	s_delay_alu instid0(VALU_DEP_1) | instskip(NEXT) | instid1(VALU_DEP_1)
	v_add3_u32 v43, v42, v43, 0x80fffff
	v_lshrrev_b32_e32 v43, 21, v43
; %bb.76:                               ;   in Loop: Header=BB385_41 Depth=1
	s_and_not1_saveexec_b32 s9, s9
; %bb.77:                               ;   in Loop: Header=BB385_41 Depth=1
	v_add_f32_e64 v43, 0x43000000, |v42|
; %bb.78:                               ;   in Loop: Header=BB385_41 Depth=1
	s_or_b32 exec_lo, exec_lo, s9
                                        ; implicit-def: $vgpr44
.LBB385_79:                             ;   in Loop: Header=BB385_41 Depth=1
	s_and_not1_saveexec_b32 s0, s0
; %bb.80:                               ;   in Loop: Header=BB385_41 Depth=1
	v_cmp_lt_u32_e32 vcc_lo, 0x7f800000, v44
	v_cndmask_b32_e32 v43, 0x7c, v35, vcc_lo
; %bb.81:                               ;   in Loop: Header=BB385_41 Depth=1
	s_or_b32 exec_lo, exec_lo, s0
	s_delay_alu instid0(SALU_CYCLE_1)
	s_mov_b32 s0, exec_lo
	v_cmpx_gt_u64_e64 s[2:3], v[13:14]
	s_xor_b32 s0, exec_lo, s0
	s_cbranch_execnz .LBB385_85
; %bb.82:                               ;   in Loop: Header=BB385_41 Depth=1
	s_or_b32 exec_lo, exec_lo, s0
	s_delay_alu instid0(SALU_CYCLE_1)
	s_mov_b32 s0, exec_lo
	v_cmpx_gt_u64_e64 s[2:3], v[15:16]
	s_cbranch_execnz .LBB385_86
.LBB385_83:                             ;   in Loop: Header=BB385_41 Depth=1
	s_or_b32 exec_lo, exec_lo, s0
	s_delay_alu instid0(SALU_CYCLE_1)
	s_mov_b32 s0, exec_lo
	v_cmpx_gt_u64_e64 s[2:3], v[17:18]
	s_cbranch_execnz .LBB385_87
.LBB385_84:                             ;   in Loop: Header=BB385_41 Depth=1
	s_or_b32 exec_lo, exec_lo, s0
	s_delay_alu instid0(SALU_CYCLE_1)
	s_mov_b32 s0, exec_lo
	v_cmpx_gt_u64_e64 s[2:3], v[19:20]
	s_cbranch_execz .LBB385_40
	s_branch .LBB385_88
.LBB385_85:                             ;   in Loop: Header=BB385_41 Depth=1
	v_lshrrev_b32_e32 v13, 24, v36
	s_delay_alu instid0(VALU_DEP_1) | instskip(SKIP_4) | instid1(SALU_CYCLE_1)
	v_and_or_b32 v36, 0x80, v13, v37
	v_add_co_u32 v13, vcc_lo, v21, s6
	v_add_co_ci_u32_e32 v14, vcc_lo, s7, v22, vcc_lo
	global_store_b8 v[13:14], v36, off
	s_or_b32 exec_lo, exec_lo, s0
	s_mov_b32 s0, exec_lo
	v_cmpx_gt_u64_e64 s[2:3], v[15:16]
	s_cbranch_execz .LBB385_83
.LBB385_86:                             ;   in Loop: Header=BB385_41 Depth=1
	v_lshrrev_b32_e32 v13, 24, v38
	s_delay_alu instid0(VALU_DEP_1) | instskip(SKIP_4) | instid1(SALU_CYCLE_1)
	v_and_or_b32 v15, 0x80, v13, v39
	v_add_co_u32 v13, vcc_lo, v33, s6
	v_add_co_ci_u32_e32 v14, vcc_lo, s7, v34, vcc_lo
	global_store_b8 v[13:14], v15, off
	s_or_b32 exec_lo, exec_lo, s0
	s_mov_b32 s0, exec_lo
	v_cmpx_gt_u64_e64 s[2:3], v[17:18]
	s_cbranch_execz .LBB385_84
.LBB385_87:                             ;   in Loop: Header=BB385_41 Depth=1
	v_lshrrev_b32_e32 v13, 24, v40
	s_delay_alu instid0(VALU_DEP_1) | instskip(SKIP_4) | instid1(SALU_CYCLE_1)
	v_and_or_b32 v15, 0x80, v13, v41
	v_add_co_u32 v13, vcc_lo, v28, s6
	v_add_co_ci_u32_e32 v14, vcc_lo, s7, v29, vcc_lo
	global_store_b8 v[13:14], v15, off
	s_or_b32 exec_lo, exec_lo, s0
	s_mov_b32 s0, exec_lo
	v_cmpx_gt_u64_e64 s[2:3], v[19:20]
	s_cbranch_execz .LBB385_40
.LBB385_88:                             ;   in Loop: Header=BB385_41 Depth=1
	v_lshrrev_b32_e32 v13, 24, v42
	s_delay_alu instid0(VALU_DEP_1)
	v_and_or_b32 v15, 0x80, v13, v43
	v_add_co_u32 v13, vcc_lo, v23, s6
	v_add_co_ci_u32_e32 v14, vcc_lo, s7, v24, vcc_lo
	global_store_b8 v[13:14], v15, off
	s_branch .LBB385_40
.LBB385_89:
	s_nop 0
	s_sendmsg sendmsg(MSG_DEALLOC_VGPRS)
	s_endpgm
	.section	.rodata,"a",@progbits
	.p2align	6, 0x0
	.amdhsa_kernel _ZN2at6native12_GLOBAL__N_125multi_tensor_apply_kernelINS1_18TensorListMetadataILi2EEENS1_11CopyFunctorIN3c1011Float8_e5m2EdLi2ELi1ELi1EEEJNS0_4CopyIS7_dEEEEEvT_T0_DpT1_
		.amdhsa_group_segment_fixed_size 0
		.amdhsa_private_segment_fixed_size 0
		.amdhsa_kernarg_size 3408
		.amdhsa_user_sgpr_count 15
		.amdhsa_user_sgpr_dispatch_ptr 0
		.amdhsa_user_sgpr_queue_ptr 0
		.amdhsa_user_sgpr_kernarg_segment_ptr 1
		.amdhsa_user_sgpr_dispatch_id 0
		.amdhsa_user_sgpr_private_segment_size 0
		.amdhsa_wavefront_size32 1
		.amdhsa_uses_dynamic_stack 0
		.amdhsa_enable_private_segment 0
		.amdhsa_system_sgpr_workgroup_id_x 1
		.amdhsa_system_sgpr_workgroup_id_y 0
		.amdhsa_system_sgpr_workgroup_id_z 0
		.amdhsa_system_sgpr_workgroup_info 0
		.amdhsa_system_vgpr_workitem_id 0
		.amdhsa_next_free_vgpr 45
		.amdhsa_next_free_sgpr 20
		.amdhsa_reserve_vcc 1
		.amdhsa_float_round_mode_32 0
		.amdhsa_float_round_mode_16_64 0
		.amdhsa_float_denorm_mode_32 3
		.amdhsa_float_denorm_mode_16_64 3
		.amdhsa_dx10_clamp 1
		.amdhsa_ieee_mode 1
		.amdhsa_fp16_overflow 0
		.amdhsa_workgroup_processor_mode 1
		.amdhsa_memory_ordered 1
		.amdhsa_forward_progress 0
		.amdhsa_shared_vgpr_count 0
		.amdhsa_exception_fp_ieee_invalid_op 0
		.amdhsa_exception_fp_denorm_src 0
		.amdhsa_exception_fp_ieee_div_zero 0
		.amdhsa_exception_fp_ieee_overflow 0
		.amdhsa_exception_fp_ieee_underflow 0
		.amdhsa_exception_fp_ieee_inexact 0
		.amdhsa_exception_int_div_zero 0
	.end_amdhsa_kernel
	.section	.text._ZN2at6native12_GLOBAL__N_125multi_tensor_apply_kernelINS1_18TensorListMetadataILi2EEENS1_11CopyFunctorIN3c1011Float8_e5m2EdLi2ELi1ELi1EEEJNS0_4CopyIS7_dEEEEEvT_T0_DpT1_,"axG",@progbits,_ZN2at6native12_GLOBAL__N_125multi_tensor_apply_kernelINS1_18TensorListMetadataILi2EEENS1_11CopyFunctorIN3c1011Float8_e5m2EdLi2ELi1ELi1EEEJNS0_4CopyIS7_dEEEEEvT_T0_DpT1_,comdat
.Lfunc_end385:
	.size	_ZN2at6native12_GLOBAL__N_125multi_tensor_apply_kernelINS1_18TensorListMetadataILi2EEENS1_11CopyFunctorIN3c1011Float8_e5m2EdLi2ELi1ELi1EEEJNS0_4CopyIS7_dEEEEEvT_T0_DpT1_, .Lfunc_end385-_ZN2at6native12_GLOBAL__N_125multi_tensor_apply_kernelINS1_18TensorListMetadataILi2EEENS1_11CopyFunctorIN3c1011Float8_e5m2EdLi2ELi1ELi1EEEJNS0_4CopyIS7_dEEEEEvT_T0_DpT1_
                                        ; -- End function
	.section	.AMDGPU.csdata,"",@progbits
; Kernel info:
; codeLenInByte = 2528
; NumSgprs: 22
; NumVgprs: 45
; ScratchSize: 0
; MemoryBound: 1
; FloatMode: 240
; IeeeMode: 1
; LDSByteSize: 0 bytes/workgroup (compile time only)
; SGPRBlocks: 2
; VGPRBlocks: 5
; NumSGPRsForWavesPerEU: 22
; NumVGPRsForWavesPerEU: 45
; Occupancy: 16
; WaveLimiterHint : 0
; COMPUTE_PGM_RSRC2:SCRATCH_EN: 0
; COMPUTE_PGM_RSRC2:USER_SGPR: 15
; COMPUTE_PGM_RSRC2:TRAP_HANDLER: 0
; COMPUTE_PGM_RSRC2:TGID_X_EN: 1
; COMPUTE_PGM_RSRC2:TGID_Y_EN: 0
; COMPUTE_PGM_RSRC2:TGID_Z_EN: 0
; COMPUTE_PGM_RSRC2:TIDIG_COMP_CNT: 0
	.section	.text._ZN2at6native12_GLOBAL__N_125multi_tensor_apply_kernelINS1_18TensorListMetadataILi2EEENS1_11CopyFunctorIN3c1011Float8_e5m2EfLi2ELi1ELi1EEEJNS0_4CopyIS7_fEEEEEvT_T0_DpT1_,"axG",@progbits,_ZN2at6native12_GLOBAL__N_125multi_tensor_apply_kernelINS1_18TensorListMetadataILi2EEENS1_11CopyFunctorIN3c1011Float8_e5m2EfLi2ELi1ELi1EEEJNS0_4CopyIS7_fEEEEEvT_T0_DpT1_,comdat
	.globl	_ZN2at6native12_GLOBAL__N_125multi_tensor_apply_kernelINS1_18TensorListMetadataILi2EEENS1_11CopyFunctorIN3c1011Float8_e5m2EfLi2ELi1ELi1EEEJNS0_4CopyIS7_fEEEEEvT_T0_DpT1_ ; -- Begin function _ZN2at6native12_GLOBAL__N_125multi_tensor_apply_kernelINS1_18TensorListMetadataILi2EEENS1_11CopyFunctorIN3c1011Float8_e5m2EfLi2ELi1ELi1EEEJNS0_4CopyIS7_fEEEEEvT_T0_DpT1_
	.p2align	8
	.type	_ZN2at6native12_GLOBAL__N_125multi_tensor_apply_kernelINS1_18TensorListMetadataILi2EEENS1_11CopyFunctorIN3c1011Float8_e5m2EfLi2ELi1ELi1EEEJNS0_4CopyIS7_fEEEEEvT_T0_DpT1_,@function
_ZN2at6native12_GLOBAL__N_125multi_tensor_apply_kernelINS1_18TensorListMetadataILi2EEENS1_11CopyFunctorIN3c1011Float8_e5m2EfLi2ELi1ELi1EEEJNS0_4CopyIS7_fEEEEEvT_T0_DpT1_: ; @_ZN2at6native12_GLOBAL__N_125multi_tensor_apply_kernelINS1_18TensorListMetadataILi2EEENS1_11CopyFunctorIN3c1011Float8_e5m2EfLi2ELi1ELi1EEEJNS0_4CopyIS7_fEEEEEvT_T0_DpT1_
; %bb.0:
	v_mov_b32_e32 v1, s15
	s_add_u32 s2, s0, s15
	s_mul_i32 s4, s15, 3
	s_addc_u32 s3, s1, 0
	s_mul_hi_u32 s5, s15, 3
	global_load_u8 v1, v1, s[0:1] offset:1536
	s_add_u32 s2, s2, s4
	s_addc_u32 s3, s3, s5
	s_mov_b32 s17, 0
	s_load_b32 s10, s[2:3], 0x740
	s_waitcnt lgkmcnt(0)
	s_ashr_i32 s11, s10, 31
	s_delay_alu instid0(SALU_CYCLE_1) | instskip(SKIP_2) | instid1(VALU_DEP_1)
	s_lshl_b64 s[8:9], s[10:11], 16
	s_waitcnt vmcnt(0)
	v_readfirstlane_b32 s4, v1
	s_lshl_b32 s4, s4, 3
	s_clause 0x2
	s_load_b64 s[6:7], s[0:1], s4 offset:0x200
	s_load_b64 s[2:3], s[0:1], s4 offset:0x400
	s_load_b64 s[12:13], s[0:1], s4 offset:0x0
	s_waitcnt lgkmcnt(0)
	s_add_u32 s14, s6, s8
	s_addc_u32 s15, s7, s9
	s_delay_alu instid0(SALU_CYCLE_1) | instskip(SKIP_2) | instid1(SALU_CYCLE_1)
	s_or_b64 s[4:5], s[2:3], s[14:15]
	s_and_b32 s5, s12, 15
	s_and_b32 s4, s4, 3
	s_or_b32 s16, s4, s5
	s_sub_u32 s4, s2, s8
	s_subb_u32 s5, s3, s9
	s_cmp_eq_u64 s[16:17], 0
	s_mov_b32 s2, -1
	s_cbranch_scc0 .LBB386_37
; %bb.1:
	v_dual_mov_b32 v6, 0 :: v_dual_lshlrev_b32 v5, 2, v0
	s_mov_b32 s3, exec_lo
	s_delay_alu instid0(VALU_DEP_1)
	v_cmpx_gt_i64_e64 s[4:5], v[5:6]
	s_cbranch_execz .LBB386_36
; %bb.2:
	s_load_b32 s2, s[0:1], 0xc5c
	v_lshlrev_b32_e32 v1, 4, v0
	s_lshl_b64 s[18:19], s[10:11], 18
	v_mov_b32_e32 v9, 0x7f
	s_waitcnt lgkmcnt(0)
	s_and_b32 s2, s2, 0xffff
	s_delay_alu instid0(SALU_CYCLE_1) | instskip(SKIP_3) | instid1(VALU_DEP_1)
	s_lshl_b32 s16, s2, 2
	s_add_u32 s17, s12, s18
	s_addc_u32 s18, s13, s19
	v_add_co_u32 v7, s17, s17, v1
	v_add_co_ci_u32_e64 v8, null, s18, 0, s17
	s_mov_b32 s17, 0
	s_lshl_b32 s18, s2, 4
	s_branch .LBB386_4
.LBB386_3:                              ;   in Loop: Header=BB386_4 Depth=1
	s_or_b32 exec_lo, exec_lo, s2
	v_lshrrev_b32_e32 v3, 24, v3
	v_lshrrev_b32_e32 v2, 24, v2
	v_lshrrev_b32_e32 v14, 24, v1
	v_add_co_u32 v1, vcc_lo, s14, v5
	s_delay_alu instid0(VALU_DEP_4) | instskip(NEXT) | instid1(VALU_DEP_4)
	v_and_b32_e32 v3, 0x80, v3
	v_and_b32_e32 v15, 0x80, v2
	v_add_co_ci_u32_e32 v2, vcc_lo, s15, v6, vcc_lo
	v_add_co_u32 v5, vcc_lo, s16, v5
	s_delay_alu instid0(VALU_DEP_4)
	v_and_or_b32 v3, 0xff, v12, v3
	v_add_co_ci_u32_e32 v6, vcc_lo, 0, v6, vcc_lo
	v_lshlrev_b32_e32 v13, 24, v13
	v_and_or_b32 v11, 0xff, v11, v15
	v_and_b32_e32 v4, 0x80000000, v4
	v_and_b32_e32 v10, 0xff, v10
	v_lshlrev_b32_e32 v3, 16, v3
	v_cmp_le_i64_e32 vcc_lo, s[4:5], v[5:6]
	v_cmp_lt_u64_e64 s2, 0xffff, v[5:6]
	v_lshlrev_b32_e32 v11, 8, v11
	v_and_or_b32 v10, 0x80, v14, v10
	v_or3_b32 v3, v4, v13, v3
	s_delay_alu instid0(VALU_DEP_4) | instskip(SKIP_1) | instid1(VALU_DEP_2)
	s_or_b32 s2, vcc_lo, s2
	v_add_co_u32 v7, vcc_lo, v7, s18
	v_or3_b32 v3, v3, v11, v10
	v_add_co_ci_u32_e32 v8, vcc_lo, 0, v8, vcc_lo
	s_and_b32 s2, exec_lo, s2
	s_delay_alu instid0(SALU_CYCLE_1)
	s_or_b32 s17, s2, s17
	global_store_b32 v[1:2], v3, off
	s_and_not1_b32 exec_lo, exec_lo, s17
	s_cbranch_execz .LBB386_36
.LBB386_4:                              ; =>This Inner Loop Header: Depth=1
	global_load_b128 v[1:4], v[7:8], off
	s_mov_b32 s2, exec_lo
                                        ; implicit-def: $vgpr10
	s_waitcnt vmcnt(0)
	v_and_b32_e32 v11, 0x7fffffff, v1
	s_delay_alu instid0(VALU_DEP_1)
	v_cmpx_gt_u32_e32 0x47800000, v11
	s_xor_b32 s2, exec_lo, s2
	s_cbranch_execz .LBB386_10
; %bb.5:                                ;   in Loop: Header=BB386_4 Depth=1
	s_mov_b32 s19, exec_lo
                                        ; implicit-def: $vgpr10
	v_cmpx_lt_u32_e32 0x387fffff, v11
	s_xor_b32 s19, exec_lo, s19
; %bb.6:                                ;   in Loop: Header=BB386_4 Depth=1
	v_bfe_u32 v10, v1, 21, 1
	s_delay_alu instid0(VALU_DEP_1) | instskip(NEXT) | instid1(VALU_DEP_1)
	v_add3_u32 v10, v1, v10, 0x80fffff
	v_lshrrev_b32_e32 v10, 21, v10
; %bb.7:                                ;   in Loop: Header=BB386_4 Depth=1
	s_and_not1_saveexec_b32 s19, s19
; %bb.8:                                ;   in Loop: Header=BB386_4 Depth=1
	v_add_f32_e64 v10, 0x43000000, |v1|
; %bb.9:                                ;   in Loop: Header=BB386_4 Depth=1
	s_or_b32 exec_lo, exec_lo, s19
                                        ; implicit-def: $vgpr11
.LBB386_10:                             ;   in Loop: Header=BB386_4 Depth=1
	s_and_not1_saveexec_b32 s2, s2
; %bb.11:                               ;   in Loop: Header=BB386_4 Depth=1
	v_cmp_lt_u32_e32 vcc_lo, 0x7f800000, v11
	v_cndmask_b32_e32 v10, 0x7c, v9, vcc_lo
; %bb.12:                               ;   in Loop: Header=BB386_4 Depth=1
	s_or_b32 exec_lo, exec_lo, s2
	v_and_b32_e32 v12, 0x7fffffff, v2
	s_mov_b32 s2, exec_lo
                                        ; implicit-def: $vgpr11
	s_delay_alu instid0(VALU_DEP_1)
	v_cmpx_gt_u32_e32 0x47800000, v12
	s_xor_b32 s2, exec_lo, s2
	s_cbranch_execz .LBB386_18
; %bb.13:                               ;   in Loop: Header=BB386_4 Depth=1
	s_mov_b32 s19, exec_lo
                                        ; implicit-def: $vgpr11
	v_cmpx_lt_u32_e32 0x387fffff, v12
	s_xor_b32 s19, exec_lo, s19
; %bb.14:                               ;   in Loop: Header=BB386_4 Depth=1
	v_bfe_u32 v11, v2, 21, 1
	s_delay_alu instid0(VALU_DEP_1) | instskip(NEXT) | instid1(VALU_DEP_1)
	v_add3_u32 v11, v2, v11, 0x80fffff
	v_lshrrev_b32_e32 v11, 21, v11
; %bb.15:                               ;   in Loop: Header=BB386_4 Depth=1
	s_and_not1_saveexec_b32 s19, s19
; %bb.16:                               ;   in Loop: Header=BB386_4 Depth=1
	v_add_f32_e64 v11, 0x43000000, |v2|
; %bb.17:                               ;   in Loop: Header=BB386_4 Depth=1
	s_or_b32 exec_lo, exec_lo, s19
                                        ; implicit-def: $vgpr12
.LBB386_18:                             ;   in Loop: Header=BB386_4 Depth=1
	s_and_not1_saveexec_b32 s2, s2
; %bb.19:                               ;   in Loop: Header=BB386_4 Depth=1
	v_cmp_lt_u32_e32 vcc_lo, 0x7f800000, v12
	v_cndmask_b32_e32 v11, 0x7c, v9, vcc_lo
; %bb.20:                               ;   in Loop: Header=BB386_4 Depth=1
	s_or_b32 exec_lo, exec_lo, s2
	v_and_b32_e32 v13, 0x7fffffff, v3
	s_mov_b32 s2, exec_lo
                                        ; implicit-def: $vgpr12
	s_delay_alu instid0(VALU_DEP_1)
	v_cmpx_gt_u32_e32 0x47800000, v13
	s_xor_b32 s2, exec_lo, s2
	s_cbranch_execz .LBB386_26
; %bb.21:                               ;   in Loop: Header=BB386_4 Depth=1
	s_mov_b32 s19, exec_lo
                                        ; implicit-def: $vgpr12
	v_cmpx_lt_u32_e32 0x387fffff, v13
	s_xor_b32 s19, exec_lo, s19
; %bb.22:                               ;   in Loop: Header=BB386_4 Depth=1
	v_bfe_u32 v12, v3, 21, 1
	s_delay_alu instid0(VALU_DEP_1) | instskip(NEXT) | instid1(VALU_DEP_1)
	v_add3_u32 v12, v3, v12, 0x80fffff
	v_lshrrev_b32_e32 v12, 21, v12
; %bb.23:                               ;   in Loop: Header=BB386_4 Depth=1
	s_and_not1_saveexec_b32 s19, s19
; %bb.24:                               ;   in Loop: Header=BB386_4 Depth=1
	v_add_f32_e64 v12, 0x43000000, |v3|
; %bb.25:                               ;   in Loop: Header=BB386_4 Depth=1
	s_or_b32 exec_lo, exec_lo, s19
                                        ; implicit-def: $vgpr13
.LBB386_26:                             ;   in Loop: Header=BB386_4 Depth=1
	s_and_not1_saveexec_b32 s2, s2
; %bb.27:                               ;   in Loop: Header=BB386_4 Depth=1
	v_cmp_lt_u32_e32 vcc_lo, 0x7f800000, v13
	v_cndmask_b32_e32 v12, 0x7c, v9, vcc_lo
; %bb.28:                               ;   in Loop: Header=BB386_4 Depth=1
	s_or_b32 exec_lo, exec_lo, s2
	v_and_b32_e32 v14, 0x7fffffff, v4
	s_mov_b32 s2, exec_lo
                                        ; implicit-def: $vgpr13
	s_delay_alu instid0(VALU_DEP_1)
	v_cmpx_gt_u32_e32 0x47800000, v14
	s_xor_b32 s2, exec_lo, s2
	s_cbranch_execz .LBB386_34
; %bb.29:                               ;   in Loop: Header=BB386_4 Depth=1
	s_mov_b32 s19, exec_lo
                                        ; implicit-def: $vgpr13
	v_cmpx_lt_u32_e32 0x387fffff, v14
	s_xor_b32 s19, exec_lo, s19
; %bb.30:                               ;   in Loop: Header=BB386_4 Depth=1
	v_bfe_u32 v13, v4, 21, 1
	s_delay_alu instid0(VALU_DEP_1) | instskip(NEXT) | instid1(VALU_DEP_1)
	v_add3_u32 v13, v4, v13, 0x80fffff
	v_lshrrev_b32_e32 v13, 21, v13
; %bb.31:                               ;   in Loop: Header=BB386_4 Depth=1
	s_and_not1_saveexec_b32 s19, s19
; %bb.32:                               ;   in Loop: Header=BB386_4 Depth=1
	v_add_f32_e64 v13, 0x43000000, |v4|
; %bb.33:                               ;   in Loop: Header=BB386_4 Depth=1
	s_or_b32 exec_lo, exec_lo, s19
                                        ; implicit-def: $vgpr14
.LBB386_34:                             ;   in Loop: Header=BB386_4 Depth=1
	s_and_not1_saveexec_b32 s2, s2
	s_cbranch_execz .LBB386_3
; %bb.35:                               ;   in Loop: Header=BB386_4 Depth=1
	v_cmp_lt_u32_e32 vcc_lo, 0x7f800000, v14
	v_cndmask_b32_e32 v13, 0x7c, v9, vcc_lo
	s_branch .LBB386_3
.LBB386_36:
	s_or_b32 exec_lo, exec_lo, s3
	s_mov_b32 s2, 0
.LBB386_37:
	s_delay_alu instid0(SALU_CYCLE_1)
	s_and_not1_b32 vcc_lo, exec_lo, s2
	s_cbranch_vccnz .LBB386_89
; %bb.38:
	v_cmp_lt_i64_e64 s2, s[4:5], 1
	s_delay_alu instid0(VALU_DEP_1)
	s_and_b32 vcc_lo, exec_lo, s2
	s_cbranch_vccnz .LBB386_89
; %bb.39:
	s_load_b32 s0, s[0:1], 0xc5c
	v_cmp_gt_u64_e64 s1, 0x10000, s[4:5]
	v_add_co_u32 v5, s2, s8, v0
	v_lshlrev_b32_e32 v1, 2, v0
	v_add_co_ci_u32_e64 v6, null, s9, 0, s2
	s_delay_alu instid0(VALU_DEP_3) | instskip(SKIP_1) | instid1(VALU_DEP_3)
	v_add_co_u32 v13, vcc_lo, s6, v5
	v_mov_b32_e32 v27, 0x7f
	v_add_co_ci_u32_e32 v14, vcc_lo, s7, v6, vcc_lo
                                        ; implicit-def: $vgpr30
                                        ; implicit-def: $vgpr31
                                        ; implicit-def: $vgpr28
                                        ; implicit-def: $vgpr29
	s_waitcnt lgkmcnt(0)
	s_and_b32 s0, s0, 0xffff
	s_and_b32 s1, s1, exec_lo
	s_cselect_b32 s3, s5, 0
	s_cselect_b32 s2, s4, 0x10000
	s_lshl_b64 s[10:11], s[10:11], 18
	s_lshl_b32 s14, s0, 1
	s_lshl_b32 s1, s0, 2
	s_add_u32 s12, s12, s10
	s_mul_i32 s15, s0, 3
	s_addc_u32 s13, s13, s11
	s_lshl_b32 s10, s0, 4
	v_add_co_u32 v1, s16, s12, v1
	s_add_u32 s11, s8, s15
	v_add_co_ci_u32_e64 v2, null, s13, 0, s16
	s_addc_u32 s16, s9, 0
	s_add_u32 s11, s6, s11
	s_addc_u32 s16, s7, s16
	v_add_co_u32 v15, s11, s11, v0
	s_delay_alu instid0(VALU_DEP_1)
	v_add_co_ci_u32_e64 v16, null, s16, 0, s11
	v_add_co_u32 v17, s11, s15, v0
	v_add_co_u32 v19, s15, v0, s0
	v_add_co_ci_u32_e64 v18, null, 0, 0, s11
	s_lshl_b32 s11, s0, 3
	s_add_u32 s8, s8, s14
	s_addc_u32 s9, s9, 0
	s_add_u32 s8, s6, s8
	v_lshlrev_b32_e32 v3, 2, v19
	s_addc_u32 s9, s7, s9
	v_add_co_u32 v20, s8, s8, v0
	s_delay_alu instid0(VALU_DEP_1)
	v_add_co_ci_u32_e64 v21, null, s9, 0, s8
	v_add_co_u32 v23, s8, s14, v0
	s_add_u32 s6, s6, s0
	v_add_co_ci_u32_e64 v24, null, 0, 0, s8
	v_add_co_u32 v3, s8, s12, v3
	s_addc_u32 s7, s7, 0
	v_add_co_u32 v25, vcc_lo, s6, v5
	v_add_co_ci_u32_e64 v22, null, 0, 0, s15
	v_add_co_ci_u32_e64 v4, null, s13, 0, s8
	v_add_co_ci_u32_e32 v26, vcc_lo, s7, v6, vcc_lo
	s_mul_i32 s8, s0, 12
	s_mov_b64 s[6:7], 0
	s_branch .LBB386_41
.LBB386_40:                             ;   in Loop: Header=BB386_41 Depth=1
	s_or_b32 exec_lo, exec_lo, s0
	s_add_u32 s6, s6, s1
	s_addc_u32 s7, s7, 0
	v_add_co_u32 v1, vcc_lo, v1, s10
	v_cmp_ge_i64_e64 s0, s[6:7], s[4:5]
	v_cmp_lt_u64_e64 s9, 0xffff, s[6:7]
	v_add_co_ci_u32_e32 v2, vcc_lo, 0, v2, vcc_lo
	v_add_co_u32 v3, vcc_lo, v3, s10
	v_add_co_ci_u32_e32 v4, vcc_lo, 0, v4, vcc_lo
	s_delay_alu instid0(VALU_DEP_4) | instskip(NEXT) | instid1(SALU_CYCLE_1)
	s_or_b32 s0, s0, s9
	s_and_b32 vcc_lo, exec_lo, s0
	s_cbranch_vccnz .LBB386_89
.LBB386_41:                             ; =>This Inner Loop Header: Depth=1
	v_add_co_u32 v5, s0, v0, s6
	s_delay_alu instid0(VALU_DEP_1) | instskip(NEXT) | instid1(VALU_DEP_1)
	v_add_co_ci_u32_e64 v6, null, 0, s7, s0
	v_cmp_gt_i64_e32 vcc_lo, s[4:5], v[5:6]
	v_cmp_gt_u64_e64 s0, 0x10000, v[5:6]
	s_delay_alu instid0(VALU_DEP_1) | instskip(NEXT) | instid1(SALU_CYCLE_1)
	s_and_b32 s9, vcc_lo, s0
	s_and_saveexec_b32 s0, s9
	s_cbranch_execz .LBB386_43
; %bb.42:                               ;   in Loop: Header=BB386_41 Depth=1
	global_load_b32 v29, v[1:2], off
.LBB386_43:                             ;   in Loop: Header=BB386_41 Depth=1
	s_or_b32 exec_lo, exec_lo, s0
	v_add_co_u32 v7, vcc_lo, v19, s6
	v_add_co_ci_u32_e32 v8, vcc_lo, s7, v22, vcc_lo
	s_delay_alu instid0(VALU_DEP_1) | instskip(SKIP_1) | instid1(VALU_DEP_1)
	v_cmp_gt_i64_e32 vcc_lo, s[4:5], v[7:8]
	v_cmp_gt_u64_e64 s0, 0x10000, v[7:8]
	s_and_b32 s9, vcc_lo, s0
	s_delay_alu instid0(SALU_CYCLE_1)
	s_and_saveexec_b32 s0, s9
	s_cbranch_execz .LBB386_45
; %bb.44:                               ;   in Loop: Header=BB386_41 Depth=1
	global_load_b32 v28, v[3:4], off
.LBB386_45:                             ;   in Loop: Header=BB386_41 Depth=1
	s_or_b32 exec_lo, exec_lo, s0
	v_add_co_u32 v9, vcc_lo, v23, s6
	v_add_co_ci_u32_e32 v10, vcc_lo, s7, v24, vcc_lo
	s_delay_alu instid0(VALU_DEP_1) | instskip(SKIP_1) | instid1(VALU_DEP_1)
	v_cmp_gt_i64_e32 vcc_lo, s[4:5], v[9:10]
	v_cmp_gt_u64_e64 s0, 0x10000, v[9:10]
	s_and_b32 s9, vcc_lo, s0
	s_delay_alu instid0(SALU_CYCLE_1)
	s_and_saveexec_b32 s0, s9
	s_cbranch_execz .LBB386_47
; %bb.46:                               ;   in Loop: Header=BB386_41 Depth=1
	v_add_co_u32 v11, vcc_lo, v1, s11
	v_add_co_ci_u32_e32 v12, vcc_lo, 0, v2, vcc_lo
	global_load_b32 v31, v[11:12], off
.LBB386_47:                             ;   in Loop: Header=BB386_41 Depth=1
	s_or_b32 exec_lo, exec_lo, s0
	v_add_co_u32 v11, vcc_lo, v17, s6
	v_add_co_ci_u32_e32 v12, vcc_lo, s7, v18, vcc_lo
	s_delay_alu instid0(VALU_DEP_1) | instskip(SKIP_1) | instid1(VALU_DEP_1)
	v_cmp_gt_i64_e32 vcc_lo, s[4:5], v[11:12]
	v_cmp_gt_u64_e64 s0, 0x10000, v[11:12]
	s_and_b32 s9, vcc_lo, s0
	s_delay_alu instid0(SALU_CYCLE_1)
	s_and_saveexec_b32 s0, s9
	s_cbranch_execz .LBB386_49
; %bb.48:                               ;   in Loop: Header=BB386_41 Depth=1
	v_add_co_u32 v32, vcc_lo, v1, s8
	v_add_co_ci_u32_e32 v33, vcc_lo, 0, v2, vcc_lo
	global_load_b32 v30, v[32:33], off
.LBB386_49:                             ;   in Loop: Header=BB386_41 Depth=1
	s_or_b32 exec_lo, exec_lo, s0
	s_waitcnt vmcnt(0)
	v_and_b32_e32 v33, 0x7fffffff, v29
	s_mov_b32 s0, exec_lo
                                        ; implicit-def: $vgpr32
	s_delay_alu instid0(VALU_DEP_1)
	v_cmpx_gt_u32_e32 0x47800000, v33
	s_xor_b32 s0, exec_lo, s0
	s_cbranch_execz .LBB386_55
; %bb.50:                               ;   in Loop: Header=BB386_41 Depth=1
	s_mov_b32 s9, exec_lo
                                        ; implicit-def: $vgpr32
	v_cmpx_lt_u32_e32 0x387fffff, v33
	s_xor_b32 s9, exec_lo, s9
; %bb.51:                               ;   in Loop: Header=BB386_41 Depth=1
	v_bfe_u32 v32, v29, 21, 1
	s_delay_alu instid0(VALU_DEP_1) | instskip(NEXT) | instid1(VALU_DEP_1)
	v_add3_u32 v32, v29, v32, 0x80fffff
	v_lshrrev_b32_e32 v32, 21, v32
; %bb.52:                               ;   in Loop: Header=BB386_41 Depth=1
	s_and_not1_saveexec_b32 s9, s9
; %bb.53:                               ;   in Loop: Header=BB386_41 Depth=1
	v_add_f32_e64 v32, 0x43000000, |v29|
; %bb.54:                               ;   in Loop: Header=BB386_41 Depth=1
	s_or_b32 exec_lo, exec_lo, s9
                                        ; implicit-def: $vgpr33
.LBB386_55:                             ;   in Loop: Header=BB386_41 Depth=1
	s_and_not1_saveexec_b32 s0, s0
; %bb.56:                               ;   in Loop: Header=BB386_41 Depth=1
	v_cmp_lt_u32_e32 vcc_lo, 0x7f800000, v33
	v_cndmask_b32_e32 v32, 0x7c, v27, vcc_lo
; %bb.57:                               ;   in Loop: Header=BB386_41 Depth=1
	s_or_b32 exec_lo, exec_lo, s0
	v_and_b32_e32 v34, 0x7fffffff, v28
	s_mov_b32 s0, exec_lo
                                        ; implicit-def: $vgpr33
	s_delay_alu instid0(VALU_DEP_1)
	v_cmpx_gt_u32_e32 0x47800000, v34
	s_xor_b32 s0, exec_lo, s0
	s_cbranch_execz .LBB386_63
; %bb.58:                               ;   in Loop: Header=BB386_41 Depth=1
	s_mov_b32 s9, exec_lo
                                        ; implicit-def: $vgpr33
	v_cmpx_lt_u32_e32 0x387fffff, v34
	s_xor_b32 s9, exec_lo, s9
; %bb.59:                               ;   in Loop: Header=BB386_41 Depth=1
	v_bfe_u32 v33, v28, 21, 1
	s_delay_alu instid0(VALU_DEP_1) | instskip(NEXT) | instid1(VALU_DEP_1)
	v_add3_u32 v33, v28, v33, 0x80fffff
	v_lshrrev_b32_e32 v33, 21, v33
; %bb.60:                               ;   in Loop: Header=BB386_41 Depth=1
	s_and_not1_saveexec_b32 s9, s9
; %bb.61:                               ;   in Loop: Header=BB386_41 Depth=1
	v_add_f32_e64 v33, 0x43000000, |v28|
; %bb.62:                               ;   in Loop: Header=BB386_41 Depth=1
	s_or_b32 exec_lo, exec_lo, s9
                                        ; implicit-def: $vgpr34
.LBB386_63:                             ;   in Loop: Header=BB386_41 Depth=1
	s_and_not1_saveexec_b32 s0, s0
; %bb.64:                               ;   in Loop: Header=BB386_41 Depth=1
	v_cmp_lt_u32_e32 vcc_lo, 0x7f800000, v34
	v_cndmask_b32_e32 v33, 0x7c, v27, vcc_lo
; %bb.65:                               ;   in Loop: Header=BB386_41 Depth=1
	s_or_b32 exec_lo, exec_lo, s0
	v_and_b32_e32 v35, 0x7fffffff, v31
	s_mov_b32 s0, exec_lo
                                        ; implicit-def: $vgpr34
	s_delay_alu instid0(VALU_DEP_1)
	v_cmpx_gt_u32_e32 0x47800000, v35
	s_xor_b32 s0, exec_lo, s0
	s_cbranch_execz .LBB386_71
; %bb.66:                               ;   in Loop: Header=BB386_41 Depth=1
	s_mov_b32 s9, exec_lo
                                        ; implicit-def: $vgpr34
	v_cmpx_lt_u32_e32 0x387fffff, v35
	s_xor_b32 s9, exec_lo, s9
; %bb.67:                               ;   in Loop: Header=BB386_41 Depth=1
	v_bfe_u32 v34, v31, 21, 1
	s_delay_alu instid0(VALU_DEP_1) | instskip(NEXT) | instid1(VALU_DEP_1)
	v_add3_u32 v34, v31, v34, 0x80fffff
	v_lshrrev_b32_e32 v34, 21, v34
; %bb.68:                               ;   in Loop: Header=BB386_41 Depth=1
	s_and_not1_saveexec_b32 s9, s9
; %bb.69:                               ;   in Loop: Header=BB386_41 Depth=1
	v_add_f32_e64 v34, 0x43000000, |v31|
; %bb.70:                               ;   in Loop: Header=BB386_41 Depth=1
	s_or_b32 exec_lo, exec_lo, s9
                                        ; implicit-def: $vgpr35
.LBB386_71:                             ;   in Loop: Header=BB386_41 Depth=1
	s_and_not1_saveexec_b32 s0, s0
; %bb.72:                               ;   in Loop: Header=BB386_41 Depth=1
	v_cmp_lt_u32_e32 vcc_lo, 0x7f800000, v35
	v_cndmask_b32_e32 v34, 0x7c, v27, vcc_lo
; %bb.73:                               ;   in Loop: Header=BB386_41 Depth=1
	s_or_b32 exec_lo, exec_lo, s0
	v_and_b32_e32 v36, 0x7fffffff, v30
	s_mov_b32 s0, exec_lo
                                        ; implicit-def: $vgpr35
	s_delay_alu instid0(VALU_DEP_1)
	v_cmpx_gt_u32_e32 0x47800000, v36
	s_xor_b32 s0, exec_lo, s0
	s_cbranch_execz .LBB386_79
; %bb.74:                               ;   in Loop: Header=BB386_41 Depth=1
	s_mov_b32 s9, exec_lo
                                        ; implicit-def: $vgpr35
	v_cmpx_lt_u32_e32 0x387fffff, v36
	s_xor_b32 s9, exec_lo, s9
; %bb.75:                               ;   in Loop: Header=BB386_41 Depth=1
	v_bfe_u32 v35, v30, 21, 1
	s_delay_alu instid0(VALU_DEP_1) | instskip(NEXT) | instid1(VALU_DEP_1)
	v_add3_u32 v35, v30, v35, 0x80fffff
	v_lshrrev_b32_e32 v35, 21, v35
; %bb.76:                               ;   in Loop: Header=BB386_41 Depth=1
	s_and_not1_saveexec_b32 s9, s9
; %bb.77:                               ;   in Loop: Header=BB386_41 Depth=1
	v_add_f32_e64 v35, 0x43000000, |v30|
; %bb.78:                               ;   in Loop: Header=BB386_41 Depth=1
	s_or_b32 exec_lo, exec_lo, s9
                                        ; implicit-def: $vgpr36
.LBB386_79:                             ;   in Loop: Header=BB386_41 Depth=1
	s_and_not1_saveexec_b32 s0, s0
; %bb.80:                               ;   in Loop: Header=BB386_41 Depth=1
	v_cmp_lt_u32_e32 vcc_lo, 0x7f800000, v36
	v_cndmask_b32_e32 v35, 0x7c, v27, vcc_lo
; %bb.81:                               ;   in Loop: Header=BB386_41 Depth=1
	s_or_b32 exec_lo, exec_lo, s0
	s_delay_alu instid0(SALU_CYCLE_1)
	s_mov_b32 s0, exec_lo
	v_cmpx_gt_u64_e64 s[2:3], v[5:6]
	s_xor_b32 s0, exec_lo, s0
	s_cbranch_execnz .LBB386_85
; %bb.82:                               ;   in Loop: Header=BB386_41 Depth=1
	s_or_b32 exec_lo, exec_lo, s0
	s_delay_alu instid0(SALU_CYCLE_1)
	s_mov_b32 s0, exec_lo
	v_cmpx_gt_u64_e64 s[2:3], v[7:8]
	s_cbranch_execnz .LBB386_86
.LBB386_83:                             ;   in Loop: Header=BB386_41 Depth=1
	s_or_b32 exec_lo, exec_lo, s0
	s_delay_alu instid0(SALU_CYCLE_1)
	s_mov_b32 s0, exec_lo
	v_cmpx_gt_u64_e64 s[2:3], v[9:10]
	s_cbranch_execnz .LBB386_87
.LBB386_84:                             ;   in Loop: Header=BB386_41 Depth=1
	s_or_b32 exec_lo, exec_lo, s0
	s_delay_alu instid0(SALU_CYCLE_1)
	s_mov_b32 s0, exec_lo
	v_cmpx_gt_u64_e64 s[2:3], v[11:12]
	s_cbranch_execz .LBB386_40
	s_branch .LBB386_88
.LBB386_85:                             ;   in Loop: Header=BB386_41 Depth=1
	v_lshrrev_b32_e32 v5, 24, v29
	s_delay_alu instid0(VALU_DEP_1) | instskip(SKIP_4) | instid1(SALU_CYCLE_1)
	v_and_or_b32 v32, 0x80, v5, v32
	v_add_co_u32 v5, vcc_lo, v13, s6
	v_add_co_ci_u32_e32 v6, vcc_lo, s7, v14, vcc_lo
	global_store_b8 v[5:6], v32, off
	s_or_b32 exec_lo, exec_lo, s0
	s_mov_b32 s0, exec_lo
	v_cmpx_gt_u64_e64 s[2:3], v[7:8]
	s_cbranch_execz .LBB386_83
.LBB386_86:                             ;   in Loop: Header=BB386_41 Depth=1
	v_lshrrev_b32_e32 v5, 24, v28
	s_delay_alu instid0(VALU_DEP_1) | instskip(SKIP_4) | instid1(SALU_CYCLE_1)
	v_and_or_b32 v7, 0x80, v5, v33
	v_add_co_u32 v5, vcc_lo, v25, s6
	v_add_co_ci_u32_e32 v6, vcc_lo, s7, v26, vcc_lo
	global_store_b8 v[5:6], v7, off
	s_or_b32 exec_lo, exec_lo, s0
	s_mov_b32 s0, exec_lo
	v_cmpx_gt_u64_e64 s[2:3], v[9:10]
	s_cbranch_execz .LBB386_84
.LBB386_87:                             ;   in Loop: Header=BB386_41 Depth=1
	v_lshrrev_b32_e32 v5, 24, v31
	s_delay_alu instid0(VALU_DEP_1) | instskip(SKIP_4) | instid1(SALU_CYCLE_1)
	v_and_or_b32 v7, 0x80, v5, v34
	v_add_co_u32 v5, vcc_lo, v20, s6
	v_add_co_ci_u32_e32 v6, vcc_lo, s7, v21, vcc_lo
	global_store_b8 v[5:6], v7, off
	s_or_b32 exec_lo, exec_lo, s0
	s_mov_b32 s0, exec_lo
	v_cmpx_gt_u64_e64 s[2:3], v[11:12]
	s_cbranch_execz .LBB386_40
.LBB386_88:                             ;   in Loop: Header=BB386_41 Depth=1
	v_lshrrev_b32_e32 v5, 24, v30
	s_delay_alu instid0(VALU_DEP_1)
	v_and_or_b32 v7, 0x80, v5, v35
	v_add_co_u32 v5, vcc_lo, v15, s6
	v_add_co_ci_u32_e32 v6, vcc_lo, s7, v16, vcc_lo
	global_store_b8 v[5:6], v7, off
	s_branch .LBB386_40
.LBB386_89:
	s_nop 0
	s_sendmsg sendmsg(MSG_DEALLOC_VGPRS)
	s_endpgm
	.section	.rodata,"a",@progbits
	.p2align	6, 0x0
	.amdhsa_kernel _ZN2at6native12_GLOBAL__N_125multi_tensor_apply_kernelINS1_18TensorListMetadataILi2EEENS1_11CopyFunctorIN3c1011Float8_e5m2EfLi2ELi1ELi1EEEJNS0_4CopyIS7_fEEEEEvT_T0_DpT1_
		.amdhsa_group_segment_fixed_size 0
		.amdhsa_private_segment_fixed_size 0
		.amdhsa_kernarg_size 3408
		.amdhsa_user_sgpr_count 15
		.amdhsa_user_sgpr_dispatch_ptr 0
		.amdhsa_user_sgpr_queue_ptr 0
		.amdhsa_user_sgpr_kernarg_segment_ptr 1
		.amdhsa_user_sgpr_dispatch_id 0
		.amdhsa_user_sgpr_private_segment_size 0
		.amdhsa_wavefront_size32 1
		.amdhsa_uses_dynamic_stack 0
		.amdhsa_enable_private_segment 0
		.amdhsa_system_sgpr_workgroup_id_x 1
		.amdhsa_system_sgpr_workgroup_id_y 0
		.amdhsa_system_sgpr_workgroup_id_z 0
		.amdhsa_system_sgpr_workgroup_info 0
		.amdhsa_system_vgpr_workitem_id 0
		.amdhsa_next_free_vgpr 37
		.amdhsa_next_free_sgpr 20
		.amdhsa_reserve_vcc 1
		.amdhsa_float_round_mode_32 0
		.amdhsa_float_round_mode_16_64 0
		.amdhsa_float_denorm_mode_32 3
		.amdhsa_float_denorm_mode_16_64 3
		.amdhsa_dx10_clamp 1
		.amdhsa_ieee_mode 1
		.amdhsa_fp16_overflow 0
		.amdhsa_workgroup_processor_mode 1
		.amdhsa_memory_ordered 1
		.amdhsa_forward_progress 0
		.amdhsa_shared_vgpr_count 0
		.amdhsa_exception_fp_ieee_invalid_op 0
		.amdhsa_exception_fp_denorm_src 0
		.amdhsa_exception_fp_ieee_div_zero 0
		.amdhsa_exception_fp_ieee_overflow 0
		.amdhsa_exception_fp_ieee_underflow 0
		.amdhsa_exception_fp_ieee_inexact 0
		.amdhsa_exception_int_div_zero 0
	.end_amdhsa_kernel
	.section	.text._ZN2at6native12_GLOBAL__N_125multi_tensor_apply_kernelINS1_18TensorListMetadataILi2EEENS1_11CopyFunctorIN3c1011Float8_e5m2EfLi2ELi1ELi1EEEJNS0_4CopyIS7_fEEEEEvT_T0_DpT1_,"axG",@progbits,_ZN2at6native12_GLOBAL__N_125multi_tensor_apply_kernelINS1_18TensorListMetadataILi2EEENS1_11CopyFunctorIN3c1011Float8_e5m2EfLi2ELi1ELi1EEEJNS0_4CopyIS7_fEEEEEvT_T0_DpT1_,comdat
.Lfunc_end386:
	.size	_ZN2at6native12_GLOBAL__N_125multi_tensor_apply_kernelINS1_18TensorListMetadataILi2EEENS1_11CopyFunctorIN3c1011Float8_e5m2EfLi2ELi1ELi1EEEJNS0_4CopyIS7_fEEEEEvT_T0_DpT1_, .Lfunc_end386-_ZN2at6native12_GLOBAL__N_125multi_tensor_apply_kernelINS1_18TensorListMetadataILi2EEENS1_11CopyFunctorIN3c1011Float8_e5m2EfLi2ELi1ELi1EEEJNS0_4CopyIS7_fEEEEEvT_T0_DpT1_
                                        ; -- End function
	.section	.AMDGPU.csdata,"",@progbits
; Kernel info:
; codeLenInByte = 2480
; NumSgprs: 22
; NumVgprs: 37
; ScratchSize: 0
; MemoryBound: 0
; FloatMode: 240
; IeeeMode: 1
; LDSByteSize: 0 bytes/workgroup (compile time only)
; SGPRBlocks: 2
; VGPRBlocks: 4
; NumSGPRsForWavesPerEU: 22
; NumVGPRsForWavesPerEU: 37
; Occupancy: 16
; WaveLimiterHint : 0
; COMPUTE_PGM_RSRC2:SCRATCH_EN: 0
; COMPUTE_PGM_RSRC2:USER_SGPR: 15
; COMPUTE_PGM_RSRC2:TRAP_HANDLER: 0
; COMPUTE_PGM_RSRC2:TGID_X_EN: 1
; COMPUTE_PGM_RSRC2:TGID_Y_EN: 0
; COMPUTE_PGM_RSRC2:TGID_Z_EN: 0
; COMPUTE_PGM_RSRC2:TIDIG_COMP_CNT: 0
	.section	.text._ZN2at6native12_GLOBAL__N_125multi_tensor_apply_kernelINS1_18TensorListMetadataILi2EEENS1_11CopyFunctorIN3c1011Float8_e5m2ENS6_7complexIdEELi2ELi1ELi1EEEJNS0_4CopyIS7_S9_EEEEEvT_T0_DpT1_,"axG",@progbits,_ZN2at6native12_GLOBAL__N_125multi_tensor_apply_kernelINS1_18TensorListMetadataILi2EEENS1_11CopyFunctorIN3c1011Float8_e5m2ENS6_7complexIdEELi2ELi1ELi1EEEJNS0_4CopyIS7_S9_EEEEEvT_T0_DpT1_,comdat
	.globl	_ZN2at6native12_GLOBAL__N_125multi_tensor_apply_kernelINS1_18TensorListMetadataILi2EEENS1_11CopyFunctorIN3c1011Float8_e5m2ENS6_7complexIdEELi2ELi1ELi1EEEJNS0_4CopyIS7_S9_EEEEEvT_T0_DpT1_ ; -- Begin function _ZN2at6native12_GLOBAL__N_125multi_tensor_apply_kernelINS1_18TensorListMetadataILi2EEENS1_11CopyFunctorIN3c1011Float8_e5m2ENS6_7complexIdEELi2ELi1ELi1EEEJNS0_4CopyIS7_S9_EEEEEvT_T0_DpT1_
	.p2align	8
	.type	_ZN2at6native12_GLOBAL__N_125multi_tensor_apply_kernelINS1_18TensorListMetadataILi2EEENS1_11CopyFunctorIN3c1011Float8_e5m2ENS6_7complexIdEELi2ELi1ELi1EEEJNS0_4CopyIS7_S9_EEEEEvT_T0_DpT1_,@function
_ZN2at6native12_GLOBAL__N_125multi_tensor_apply_kernelINS1_18TensorListMetadataILi2EEENS1_11CopyFunctorIN3c1011Float8_e5m2ENS6_7complexIdEELi2ELi1ELi1EEEJNS0_4CopyIS7_S9_EEEEEvT_T0_DpT1_: ; @_ZN2at6native12_GLOBAL__N_125multi_tensor_apply_kernelINS1_18TensorListMetadataILi2EEENS1_11CopyFunctorIN3c1011Float8_e5m2ENS6_7complexIdEELi2ELi1ELi1EEEJNS0_4CopyIS7_S9_EEEEEvT_T0_DpT1_
; %bb.0:
	v_mov_b32_e32 v1, s15
	s_add_u32 s2, s0, s15
	s_mul_i32 s4, s15, 3
	s_addc_u32 s3, s1, 0
	s_mul_hi_u32 s5, s15, 3
	global_load_u8 v1, v1, s[0:1] offset:1536
	s_add_u32 s2, s2, s4
	s_addc_u32 s3, s3, s5
	s_mov_b32 s17, 0
	s_load_b32 s10, s[2:3], 0x740
	s_waitcnt lgkmcnt(0)
	s_ashr_i32 s11, s10, 31
	s_delay_alu instid0(SALU_CYCLE_1) | instskip(SKIP_2) | instid1(VALU_DEP_1)
	s_lshl_b64 s[8:9], s[10:11], 16
	s_waitcnt vmcnt(0)
	v_readfirstlane_b32 s4, v1
	s_lshl_b32 s4, s4, 3
	s_clause 0x2
	s_load_b64 s[6:7], s[0:1], s4 offset:0x200
	s_load_b64 s[2:3], s[0:1], s4 offset:0x400
	;; [unrolled: 1-line block ×3, first 2 shown]
	s_waitcnt lgkmcnt(0)
	s_add_u32 s14, s6, s8
	s_addc_u32 s15, s7, s9
	s_delay_alu instid0(SALU_CYCLE_1) | instskip(SKIP_2) | instid1(SALU_CYCLE_1)
	s_or_b64 s[4:5], s[2:3], s[14:15]
	s_and_b32 s5, s12, 63
	s_and_b32 s4, s4, 3
	s_or_b32 s16, s4, s5
	s_sub_u32 s4, s2, s8
	s_subb_u32 s5, s3, s9
	s_cmp_eq_u64 s[16:17], 0
	s_mov_b32 s2, -1
	s_cbranch_scc0 .LBB387_37
; %bb.1:
	v_dual_mov_b32 v2, 0 :: v_dual_lshlrev_b32 v1, 2, v0
	s_mov_b32 s3, exec_lo
	s_delay_alu instid0(VALU_DEP_1)
	v_cmpx_gt_i64_e64 s[4:5], v[1:2]
	s_cbranch_execz .LBB387_36
; %bb.2:
	s_load_b32 s2, s[0:1], 0xc5c
	v_lshlrev_b32_e32 v3, 6, v0
	s_lshl_b64 s[18:19], s[10:11], 20
	v_mov_b32_e32 v11, 0x7f
	s_waitcnt lgkmcnt(0)
	s_and_b32 s2, s2, 0xffff
	s_delay_alu instid0(SALU_CYCLE_1) | instskip(SKIP_3) | instid1(VALU_DEP_1)
	s_lshl_b32 s16, s2, 2
	s_add_u32 s17, s12, s18
	s_addc_u32 s18, s13, s19
	v_add_co_u32 v3, s17, s17, v3
	v_add_co_ci_u32_e64 v4, null, s18, 0, s17
	s_mov_b32 s17, 0
	s_lshl_b32 s18, s2, 6
	s_branch .LBB387_4
.LBB387_3:                              ;   in Loop: Header=BB387_4 Depth=1
	s_or_b32 exec_lo, exec_lo, s2
	v_lshrrev_b32_e32 v8, 24, v8
	v_lshrrev_b32_e32 v10, 24, v10
	;; [unrolled: 1-line block ×3, first 2 shown]
	v_add_co_u32 v13, vcc_lo, s14, v1
	s_delay_alu instid0(VALU_DEP_4) | instskip(SKIP_3) | instid1(VALU_DEP_4)
	v_and_b32_e32 v8, 0x80, v8
	v_add_co_ci_u32_e32 v14, vcc_lo, s15, v2, vcc_lo
	v_and_b32_e32 v10, 0x80, v10
	v_add_co_u32 v1, vcc_lo, s16, v1
	v_and_or_b32 v7, 0xff, v7, v8
	v_add_co_ci_u32_e32 v2, vcc_lo, 0, v2, vcc_lo
	v_lshlrev_b32_e32 v6, 24, v6
	v_and_or_b32 v8, 0xff, v9, v10
	v_and_b32_e32 v5, 0x80000000, v5
	v_and_b32_e32 v9, 0xff, v12
	v_lshlrev_b32_e32 v7, 16, v7
	v_cmp_le_i64_e32 vcc_lo, s[4:5], v[1:2]
	v_cmp_lt_u64_e64 s2, 0xffff, v[1:2]
	v_lshlrev_b32_e32 v8, 8, v8
	v_and_or_b32 v9, 0x80, v15, v9
	v_or3_b32 v5, v5, v6, v7
	s_delay_alu instid0(VALU_DEP_4) | instskip(SKIP_1) | instid1(VALU_DEP_2)
	s_or_b32 s2, vcc_lo, s2
	v_add_co_u32 v3, vcc_lo, v3, s18
	v_or3_b32 v5, v5, v8, v9
	v_add_co_ci_u32_e32 v4, vcc_lo, 0, v4, vcc_lo
	s_and_b32 s2, exec_lo, s2
	s_delay_alu instid0(SALU_CYCLE_1)
	s_or_b32 s17, s2, s17
	global_store_b32 v[13:14], v5, off
	s_and_not1_b32 exec_lo, exec_lo, s17
	s_cbranch_execz .LBB387_36
.LBB387_4:                              ; =>This Inner Loop Header: Depth=1
	s_clause 0x3
	global_load_b64 v[12:13], v[3:4], off
	global_load_b64 v[9:10], v[3:4], off offset:16
	global_load_b64 v[7:8], v[3:4], off offset:32
	;; [unrolled: 1-line block ×3, first 2 shown]
	s_mov_b32 s2, exec_lo
	s_waitcnt vmcnt(3)
	v_cvt_f32_f64_e32 v13, v[12:13]
                                        ; implicit-def: $vgpr12
	s_delay_alu instid0(VALU_DEP_1) | instskip(NEXT) | instid1(VALU_DEP_1)
	v_and_b32_e32 v14, 0x7fffffff, v13
	v_cmpx_gt_u32_e32 0x47800000, v14
	s_xor_b32 s2, exec_lo, s2
	s_cbranch_execz .LBB387_10
; %bb.5:                                ;   in Loop: Header=BB387_4 Depth=1
	s_mov_b32 s19, exec_lo
                                        ; implicit-def: $vgpr12
	v_cmpx_lt_u32_e32 0x387fffff, v14
	s_xor_b32 s19, exec_lo, s19
; %bb.6:                                ;   in Loop: Header=BB387_4 Depth=1
	v_bfe_u32 v12, v13, 21, 1
	s_delay_alu instid0(VALU_DEP_1) | instskip(NEXT) | instid1(VALU_DEP_1)
	v_add3_u32 v12, v13, v12, 0x80fffff
	v_lshrrev_b32_e32 v12, 21, v12
; %bb.7:                                ;   in Loop: Header=BB387_4 Depth=1
	s_and_not1_saveexec_b32 s19, s19
; %bb.8:                                ;   in Loop: Header=BB387_4 Depth=1
	v_add_f32_e64 v12, 0x43000000, |v13|
; %bb.9:                                ;   in Loop: Header=BB387_4 Depth=1
	s_or_b32 exec_lo, exec_lo, s19
                                        ; implicit-def: $vgpr14
.LBB387_10:                             ;   in Loop: Header=BB387_4 Depth=1
	s_and_not1_saveexec_b32 s2, s2
; %bb.11:                               ;   in Loop: Header=BB387_4 Depth=1
	v_cmp_lt_u32_e32 vcc_lo, 0x7f800000, v14
	v_cndmask_b32_e32 v12, 0x7c, v11, vcc_lo
; %bb.12:                               ;   in Loop: Header=BB387_4 Depth=1
	s_or_b32 exec_lo, exec_lo, s2
	s_waitcnt vmcnt(2)
	v_cvt_f32_f64_e32 v10, v[9:10]
	s_mov_b32 s2, exec_lo
                                        ; implicit-def: $vgpr9
	s_delay_alu instid0(VALU_DEP_1) | instskip(NEXT) | instid1(VALU_DEP_1)
	v_and_b32_e32 v14, 0x7fffffff, v10
	v_cmpx_gt_u32_e32 0x47800000, v14
	s_xor_b32 s2, exec_lo, s2
	s_cbranch_execz .LBB387_18
; %bb.13:                               ;   in Loop: Header=BB387_4 Depth=1
	s_mov_b32 s19, exec_lo
                                        ; implicit-def: $vgpr9
	v_cmpx_lt_u32_e32 0x387fffff, v14
	s_xor_b32 s19, exec_lo, s19
; %bb.14:                               ;   in Loop: Header=BB387_4 Depth=1
	v_bfe_u32 v9, v10, 21, 1
	s_delay_alu instid0(VALU_DEP_1) | instskip(NEXT) | instid1(VALU_DEP_1)
	v_add3_u32 v9, v10, v9, 0x80fffff
	v_lshrrev_b32_e32 v9, 21, v9
; %bb.15:                               ;   in Loop: Header=BB387_4 Depth=1
	s_and_not1_saveexec_b32 s19, s19
; %bb.16:                               ;   in Loop: Header=BB387_4 Depth=1
	v_add_f32_e64 v9, 0x43000000, |v10|
; %bb.17:                               ;   in Loop: Header=BB387_4 Depth=1
	s_or_b32 exec_lo, exec_lo, s19
                                        ; implicit-def: $vgpr14
.LBB387_18:                             ;   in Loop: Header=BB387_4 Depth=1
	s_and_not1_saveexec_b32 s2, s2
; %bb.19:                               ;   in Loop: Header=BB387_4 Depth=1
	v_cmp_lt_u32_e32 vcc_lo, 0x7f800000, v14
	v_cndmask_b32_e32 v9, 0x7c, v11, vcc_lo
; %bb.20:                               ;   in Loop: Header=BB387_4 Depth=1
	s_or_b32 exec_lo, exec_lo, s2
	s_waitcnt vmcnt(1)
	v_cvt_f32_f64_e32 v8, v[7:8]
	s_mov_b32 s2, exec_lo
                                        ; implicit-def: $vgpr7
	s_delay_alu instid0(VALU_DEP_1) | instskip(NEXT) | instid1(VALU_DEP_1)
	v_and_b32_e32 v14, 0x7fffffff, v8
	v_cmpx_gt_u32_e32 0x47800000, v14
	s_xor_b32 s2, exec_lo, s2
	s_cbranch_execz .LBB387_26
; %bb.21:                               ;   in Loop: Header=BB387_4 Depth=1
	s_mov_b32 s19, exec_lo
                                        ; implicit-def: $vgpr7
	v_cmpx_lt_u32_e32 0x387fffff, v14
	s_xor_b32 s19, exec_lo, s19
; %bb.22:                               ;   in Loop: Header=BB387_4 Depth=1
	v_bfe_u32 v7, v8, 21, 1
	s_delay_alu instid0(VALU_DEP_1) | instskip(NEXT) | instid1(VALU_DEP_1)
	v_add3_u32 v7, v8, v7, 0x80fffff
	v_lshrrev_b32_e32 v7, 21, v7
; %bb.23:                               ;   in Loop: Header=BB387_4 Depth=1
	s_and_not1_saveexec_b32 s19, s19
; %bb.24:                               ;   in Loop: Header=BB387_4 Depth=1
	v_add_f32_e64 v7, 0x43000000, |v8|
; %bb.25:                               ;   in Loop: Header=BB387_4 Depth=1
	s_or_b32 exec_lo, exec_lo, s19
                                        ; implicit-def: $vgpr14
.LBB387_26:                             ;   in Loop: Header=BB387_4 Depth=1
	s_and_not1_saveexec_b32 s2, s2
; %bb.27:                               ;   in Loop: Header=BB387_4 Depth=1
	v_cmp_lt_u32_e32 vcc_lo, 0x7f800000, v14
	v_cndmask_b32_e32 v7, 0x7c, v11, vcc_lo
; %bb.28:                               ;   in Loop: Header=BB387_4 Depth=1
	s_or_b32 exec_lo, exec_lo, s2
	s_waitcnt vmcnt(0)
	v_cvt_f32_f64_e32 v5, v[5:6]
	s_mov_b32 s2, exec_lo
                                        ; implicit-def: $vgpr6
	s_delay_alu instid0(VALU_DEP_1) | instskip(NEXT) | instid1(VALU_DEP_1)
	v_and_b32_e32 v14, 0x7fffffff, v5
	v_cmpx_gt_u32_e32 0x47800000, v14
	s_xor_b32 s2, exec_lo, s2
	s_cbranch_execz .LBB387_34
; %bb.29:                               ;   in Loop: Header=BB387_4 Depth=1
	s_mov_b32 s19, exec_lo
                                        ; implicit-def: $vgpr6
	v_cmpx_lt_u32_e32 0x387fffff, v14
	s_xor_b32 s19, exec_lo, s19
; %bb.30:                               ;   in Loop: Header=BB387_4 Depth=1
	v_bfe_u32 v6, v5, 21, 1
	s_delay_alu instid0(VALU_DEP_1) | instskip(NEXT) | instid1(VALU_DEP_1)
	v_add3_u32 v6, v5, v6, 0x80fffff
	v_lshrrev_b32_e32 v6, 21, v6
; %bb.31:                               ;   in Loop: Header=BB387_4 Depth=1
	s_and_not1_saveexec_b32 s19, s19
; %bb.32:                               ;   in Loop: Header=BB387_4 Depth=1
	v_add_f32_e64 v6, 0x43000000, |v5|
; %bb.33:                               ;   in Loop: Header=BB387_4 Depth=1
	s_or_b32 exec_lo, exec_lo, s19
                                        ; implicit-def: $vgpr14
.LBB387_34:                             ;   in Loop: Header=BB387_4 Depth=1
	s_and_not1_saveexec_b32 s2, s2
	s_cbranch_execz .LBB387_3
; %bb.35:                               ;   in Loop: Header=BB387_4 Depth=1
	v_cmp_lt_u32_e32 vcc_lo, 0x7f800000, v14
	v_cndmask_b32_e32 v6, 0x7c, v11, vcc_lo
	s_branch .LBB387_3
.LBB387_36:
	s_or_b32 exec_lo, exec_lo, s3
	s_mov_b32 s2, 0
.LBB387_37:
	s_delay_alu instid0(SALU_CYCLE_1)
	s_and_not1_b32 vcc_lo, exec_lo, s2
	s_cbranch_vccnz .LBB387_89
; %bb.38:
	v_cmp_lt_i64_e64 s2, s[4:5], 1
	s_delay_alu instid0(VALU_DEP_1)
	s_and_b32 vcc_lo, exec_lo, s2
	s_cbranch_vccnz .LBB387_89
; %bb.39:
	s_load_b32 s0, s[0:1], 0xc5c
	v_cmp_gt_u64_e64 s1, 0x10000, s[4:5]
	v_add_co_u32 v7, s2, s8, v0
	v_lshlrev_b32_e32 v1, 4, v0
	v_add_co_ci_u32_e64 v8, null, s9, 0, s2
	v_mov_b32_e32 v5, 0
	v_mov_b32_e32 v6, 0
	v_add_co_u32 v21, vcc_lo, s6, v7
	s_delay_alu instid0(VALU_DEP_4) | instskip(NEXT) | instid1(VALU_DEP_3)
	v_add_co_ci_u32_e32 v22, vcc_lo, s7, v8, vcc_lo
	v_dual_mov_b32 v35, 0x7f :: v_dual_mov_b32 v12, v6
	v_dual_mov_b32 v11, v5 :: v_dual_mov_b32 v10, v6
	v_mov_b32_e32 v9, v5
	s_waitcnt lgkmcnt(0)
	s_and_b32 s0, s0, 0xffff
	s_and_b32 s1, s1, exec_lo
	s_cselect_b32 s3, s5, 0
	s_cselect_b32 s2, s4, 0x10000
	s_lshl_b64 s[10:11], s[10:11], 20
	s_lshl_b32 s14, s0, 1
	s_lshl_b32 s1, s0, 2
	s_add_u32 s12, s12, s10
	s_mul_i32 s15, s0, 3
	s_addc_u32 s13, s13, s11
	s_lshl_b32 s10, s0, 6
	v_add_co_u32 v1, s16, s12, v1
	s_add_u32 s11, s8, s15
	v_add_co_ci_u32_e64 v2, null, s13, 0, s16
	s_addc_u32 s16, s9, 0
	s_add_u32 s11, s6, s11
	s_addc_u32 s16, s7, s16
	v_add_co_u32 v23, s11, s11, v0
	s_delay_alu instid0(VALU_DEP_1)
	v_add_co_ci_u32_e64 v24, null, s16, 0, s11
	v_add_co_u32 v25, s11, s15, v0
	v_add_co_u32 v27, s15, v0, s0
	v_add_co_ci_u32_e64 v26, null, 0, 0, s11
	s_lshl_b32 s11, s0, 5
	s_add_u32 s8, s8, s14
	s_addc_u32 s9, s9, 0
	s_add_u32 s8, s6, s8
	v_lshlrev_b32_e32 v3, 4, v27
	s_addc_u32 s9, s7, s9
	v_add_co_u32 v28, s8, s8, v0
	s_add_u32 s6, s6, s0
	v_add_co_ci_u32_e64 v29, null, s9, 0, s8
	v_add_co_u32 v31, s8, s14, v0
	s_addc_u32 s7, s7, 0
	v_add_co_u32 v33, vcc_lo, s6, v7
	v_add_co_ci_u32_e64 v32, null, 0, 0, s8
	v_add_co_u32 v3, s8, s12, v3
	v_add_co_ci_u32_e32 v34, vcc_lo, s7, v8, vcc_lo
	v_mov_b32_e32 v8, v6
	v_add_co_ci_u32_e64 v30, null, 0, 0, s15
	v_add_co_ci_u32_e64 v4, null, s13, 0, s8
	v_mov_b32_e32 v7, v5
	s_mul_i32 s8, s0, 48
	s_mov_b64 s[6:7], 0
	s_branch .LBB387_41
.LBB387_40:                             ;   in Loop: Header=BB387_41 Depth=1
	s_or_b32 exec_lo, exec_lo, s0
	s_add_u32 s6, s6, s1
	s_addc_u32 s7, s7, 0
	v_add_co_u32 v1, vcc_lo, v1, s10
	v_cmp_ge_i64_e64 s0, s[6:7], s[4:5]
	v_cmp_lt_u64_e64 s9, 0xffff, s[6:7]
	v_add_co_ci_u32_e32 v2, vcc_lo, 0, v2, vcc_lo
	v_add_co_u32 v3, vcc_lo, v3, s10
	v_add_co_ci_u32_e32 v4, vcc_lo, 0, v4, vcc_lo
	s_delay_alu instid0(VALU_DEP_4) | instskip(NEXT) | instid1(SALU_CYCLE_1)
	s_or_b32 s0, s0, s9
	s_and_b32 vcc_lo, exec_lo, s0
	s_cbranch_vccnz .LBB387_89
.LBB387_41:                             ; =>This Inner Loop Header: Depth=1
	v_add_co_u32 v13, s0, v0, s6
	s_delay_alu instid0(VALU_DEP_1) | instskip(NEXT) | instid1(VALU_DEP_1)
	v_add_co_ci_u32_e64 v14, null, 0, s7, s0
	v_cmp_gt_i64_e32 vcc_lo, s[4:5], v[13:14]
	v_cmp_gt_u64_e64 s0, 0x10000, v[13:14]
	s_delay_alu instid0(VALU_DEP_1) | instskip(NEXT) | instid1(SALU_CYCLE_1)
	s_and_b32 s9, vcc_lo, s0
	s_and_saveexec_b32 s0, s9
	s_cbranch_execz .LBB387_43
; %bb.42:                               ;   in Loop: Header=BB387_41 Depth=1
	global_load_b64 v[9:10], v[1:2], off
.LBB387_43:                             ;   in Loop: Header=BB387_41 Depth=1
	s_or_b32 exec_lo, exec_lo, s0
	v_add_co_u32 v15, vcc_lo, v27, s6
	v_add_co_ci_u32_e32 v16, vcc_lo, s7, v30, vcc_lo
	s_delay_alu instid0(VALU_DEP_1) | instskip(SKIP_1) | instid1(VALU_DEP_1)
	v_cmp_gt_i64_e32 vcc_lo, s[4:5], v[15:16]
	v_cmp_gt_u64_e64 s0, 0x10000, v[15:16]
	s_and_b32 s9, vcc_lo, s0
	s_delay_alu instid0(SALU_CYCLE_1)
	s_and_saveexec_b32 s0, s9
	s_cbranch_execz .LBB387_45
; %bb.44:                               ;   in Loop: Header=BB387_41 Depth=1
	global_load_b64 v[7:8], v[3:4], off
.LBB387_45:                             ;   in Loop: Header=BB387_41 Depth=1
	s_or_b32 exec_lo, exec_lo, s0
	v_add_co_u32 v17, vcc_lo, v31, s6
	v_add_co_ci_u32_e32 v18, vcc_lo, s7, v32, vcc_lo
	s_delay_alu instid0(VALU_DEP_1) | instskip(SKIP_1) | instid1(VALU_DEP_1)
	v_cmp_gt_i64_e32 vcc_lo, s[4:5], v[17:18]
	v_cmp_gt_u64_e64 s0, 0x10000, v[17:18]
	s_and_b32 s9, vcc_lo, s0
	s_delay_alu instid0(SALU_CYCLE_1)
	s_and_saveexec_b32 s0, s9
	s_cbranch_execz .LBB387_47
; %bb.46:                               ;   in Loop: Header=BB387_41 Depth=1
	v_add_co_u32 v11, vcc_lo, v1, s11
	v_add_co_ci_u32_e32 v12, vcc_lo, 0, v2, vcc_lo
	global_load_b64 v[11:12], v[11:12], off
.LBB387_47:                             ;   in Loop: Header=BB387_41 Depth=1
	s_or_b32 exec_lo, exec_lo, s0
	v_add_co_u32 v19, vcc_lo, v25, s6
	v_add_co_ci_u32_e32 v20, vcc_lo, s7, v26, vcc_lo
	s_delay_alu instid0(VALU_DEP_1) | instskip(SKIP_1) | instid1(VALU_DEP_1)
	v_cmp_gt_i64_e32 vcc_lo, s[4:5], v[19:20]
	v_cmp_gt_u64_e64 s0, 0x10000, v[19:20]
	s_and_b32 s9, vcc_lo, s0
	s_delay_alu instid0(SALU_CYCLE_1)
	s_and_saveexec_b32 s0, s9
	s_cbranch_execz .LBB387_49
; %bb.48:                               ;   in Loop: Header=BB387_41 Depth=1
	v_add_co_u32 v5, vcc_lo, v1, s8
	v_add_co_ci_u32_e32 v6, vcc_lo, 0, v2, vcc_lo
	global_load_b64 v[5:6], v[5:6], off
.LBB387_49:                             ;   in Loop: Header=BB387_41 Depth=1
	s_or_b32 exec_lo, exec_lo, s0
	s_waitcnt vmcnt(0)
	v_cvt_f32_f64_e32 v36, v[9:10]
	s_mov_b32 s0, exec_lo
                                        ; implicit-def: $vgpr37
	s_delay_alu instid0(VALU_DEP_1) | instskip(NEXT) | instid1(VALU_DEP_1)
	v_and_b32_e32 v38, 0x7fffffff, v36
	v_cmpx_gt_u32_e32 0x47800000, v38
	s_xor_b32 s0, exec_lo, s0
	s_cbranch_execz .LBB387_55
; %bb.50:                               ;   in Loop: Header=BB387_41 Depth=1
	s_mov_b32 s9, exec_lo
                                        ; implicit-def: $vgpr37
	v_cmpx_lt_u32_e32 0x387fffff, v38
	s_xor_b32 s9, exec_lo, s9
; %bb.51:                               ;   in Loop: Header=BB387_41 Depth=1
	v_bfe_u32 v37, v36, 21, 1
	s_delay_alu instid0(VALU_DEP_1) | instskip(NEXT) | instid1(VALU_DEP_1)
	v_add3_u32 v37, v36, v37, 0x80fffff
	v_lshrrev_b32_e32 v37, 21, v37
; %bb.52:                               ;   in Loop: Header=BB387_41 Depth=1
	s_and_not1_saveexec_b32 s9, s9
; %bb.53:                               ;   in Loop: Header=BB387_41 Depth=1
	v_add_f32_e64 v37, 0x43000000, |v36|
; %bb.54:                               ;   in Loop: Header=BB387_41 Depth=1
	s_or_b32 exec_lo, exec_lo, s9
                                        ; implicit-def: $vgpr38
.LBB387_55:                             ;   in Loop: Header=BB387_41 Depth=1
	s_and_not1_saveexec_b32 s0, s0
; %bb.56:                               ;   in Loop: Header=BB387_41 Depth=1
	v_cmp_lt_u32_e32 vcc_lo, 0x7f800000, v38
	v_cndmask_b32_e32 v37, 0x7c, v35, vcc_lo
; %bb.57:                               ;   in Loop: Header=BB387_41 Depth=1
	s_or_b32 exec_lo, exec_lo, s0
	v_cvt_f32_f64_e32 v38, v[7:8]
	s_mov_b32 s0, exec_lo
                                        ; implicit-def: $vgpr39
	s_delay_alu instid0(VALU_DEP_1) | instskip(NEXT) | instid1(VALU_DEP_1)
	v_and_b32_e32 v40, 0x7fffffff, v38
	v_cmpx_gt_u32_e32 0x47800000, v40
	s_xor_b32 s0, exec_lo, s0
	s_cbranch_execz .LBB387_63
; %bb.58:                               ;   in Loop: Header=BB387_41 Depth=1
	s_mov_b32 s9, exec_lo
                                        ; implicit-def: $vgpr39
	v_cmpx_lt_u32_e32 0x387fffff, v40
	s_xor_b32 s9, exec_lo, s9
; %bb.59:                               ;   in Loop: Header=BB387_41 Depth=1
	v_bfe_u32 v39, v38, 21, 1
	s_delay_alu instid0(VALU_DEP_1) | instskip(NEXT) | instid1(VALU_DEP_1)
	v_add3_u32 v39, v38, v39, 0x80fffff
	v_lshrrev_b32_e32 v39, 21, v39
; %bb.60:                               ;   in Loop: Header=BB387_41 Depth=1
	s_and_not1_saveexec_b32 s9, s9
; %bb.61:                               ;   in Loop: Header=BB387_41 Depth=1
	v_add_f32_e64 v39, 0x43000000, |v38|
; %bb.62:                               ;   in Loop: Header=BB387_41 Depth=1
	s_or_b32 exec_lo, exec_lo, s9
                                        ; implicit-def: $vgpr40
.LBB387_63:                             ;   in Loop: Header=BB387_41 Depth=1
	s_and_not1_saveexec_b32 s0, s0
; %bb.64:                               ;   in Loop: Header=BB387_41 Depth=1
	v_cmp_lt_u32_e32 vcc_lo, 0x7f800000, v40
	v_cndmask_b32_e32 v39, 0x7c, v35, vcc_lo
; %bb.65:                               ;   in Loop: Header=BB387_41 Depth=1
	s_or_b32 exec_lo, exec_lo, s0
	v_cvt_f32_f64_e32 v40, v[11:12]
	s_mov_b32 s0, exec_lo
                                        ; implicit-def: $vgpr41
	s_delay_alu instid0(VALU_DEP_1) | instskip(NEXT) | instid1(VALU_DEP_1)
	v_and_b32_e32 v42, 0x7fffffff, v40
	v_cmpx_gt_u32_e32 0x47800000, v42
	s_xor_b32 s0, exec_lo, s0
	s_cbranch_execz .LBB387_71
; %bb.66:                               ;   in Loop: Header=BB387_41 Depth=1
	s_mov_b32 s9, exec_lo
                                        ; implicit-def: $vgpr41
	v_cmpx_lt_u32_e32 0x387fffff, v42
	s_xor_b32 s9, exec_lo, s9
; %bb.67:                               ;   in Loop: Header=BB387_41 Depth=1
	v_bfe_u32 v41, v40, 21, 1
	s_delay_alu instid0(VALU_DEP_1) | instskip(NEXT) | instid1(VALU_DEP_1)
	v_add3_u32 v41, v40, v41, 0x80fffff
	v_lshrrev_b32_e32 v41, 21, v41
; %bb.68:                               ;   in Loop: Header=BB387_41 Depth=1
	s_and_not1_saveexec_b32 s9, s9
; %bb.69:                               ;   in Loop: Header=BB387_41 Depth=1
	v_add_f32_e64 v41, 0x43000000, |v40|
; %bb.70:                               ;   in Loop: Header=BB387_41 Depth=1
	s_or_b32 exec_lo, exec_lo, s9
                                        ; implicit-def: $vgpr42
.LBB387_71:                             ;   in Loop: Header=BB387_41 Depth=1
	s_and_not1_saveexec_b32 s0, s0
; %bb.72:                               ;   in Loop: Header=BB387_41 Depth=1
	v_cmp_lt_u32_e32 vcc_lo, 0x7f800000, v42
	v_cndmask_b32_e32 v41, 0x7c, v35, vcc_lo
; %bb.73:                               ;   in Loop: Header=BB387_41 Depth=1
	s_or_b32 exec_lo, exec_lo, s0
	v_cvt_f32_f64_e32 v42, v[5:6]
	s_mov_b32 s0, exec_lo
                                        ; implicit-def: $vgpr43
	s_delay_alu instid0(VALU_DEP_1) | instskip(NEXT) | instid1(VALU_DEP_1)
	v_and_b32_e32 v44, 0x7fffffff, v42
	v_cmpx_gt_u32_e32 0x47800000, v44
	s_xor_b32 s0, exec_lo, s0
	s_cbranch_execz .LBB387_79
; %bb.74:                               ;   in Loop: Header=BB387_41 Depth=1
	s_mov_b32 s9, exec_lo
                                        ; implicit-def: $vgpr43
	v_cmpx_lt_u32_e32 0x387fffff, v44
	s_xor_b32 s9, exec_lo, s9
; %bb.75:                               ;   in Loop: Header=BB387_41 Depth=1
	v_bfe_u32 v43, v42, 21, 1
	s_delay_alu instid0(VALU_DEP_1) | instskip(NEXT) | instid1(VALU_DEP_1)
	v_add3_u32 v43, v42, v43, 0x80fffff
	v_lshrrev_b32_e32 v43, 21, v43
; %bb.76:                               ;   in Loop: Header=BB387_41 Depth=1
	s_and_not1_saveexec_b32 s9, s9
; %bb.77:                               ;   in Loop: Header=BB387_41 Depth=1
	v_add_f32_e64 v43, 0x43000000, |v42|
; %bb.78:                               ;   in Loop: Header=BB387_41 Depth=1
	s_or_b32 exec_lo, exec_lo, s9
                                        ; implicit-def: $vgpr44
.LBB387_79:                             ;   in Loop: Header=BB387_41 Depth=1
	s_and_not1_saveexec_b32 s0, s0
; %bb.80:                               ;   in Loop: Header=BB387_41 Depth=1
	v_cmp_lt_u32_e32 vcc_lo, 0x7f800000, v44
	v_cndmask_b32_e32 v43, 0x7c, v35, vcc_lo
; %bb.81:                               ;   in Loop: Header=BB387_41 Depth=1
	s_or_b32 exec_lo, exec_lo, s0
	s_delay_alu instid0(SALU_CYCLE_1)
	s_mov_b32 s0, exec_lo
	v_cmpx_gt_u64_e64 s[2:3], v[13:14]
	s_xor_b32 s0, exec_lo, s0
	s_cbranch_execnz .LBB387_85
; %bb.82:                               ;   in Loop: Header=BB387_41 Depth=1
	s_or_b32 exec_lo, exec_lo, s0
	s_delay_alu instid0(SALU_CYCLE_1)
	s_mov_b32 s0, exec_lo
	v_cmpx_gt_u64_e64 s[2:3], v[15:16]
	s_cbranch_execnz .LBB387_86
.LBB387_83:                             ;   in Loop: Header=BB387_41 Depth=1
	s_or_b32 exec_lo, exec_lo, s0
	s_delay_alu instid0(SALU_CYCLE_1)
	s_mov_b32 s0, exec_lo
	v_cmpx_gt_u64_e64 s[2:3], v[17:18]
	s_cbranch_execnz .LBB387_87
.LBB387_84:                             ;   in Loop: Header=BB387_41 Depth=1
	s_or_b32 exec_lo, exec_lo, s0
	s_delay_alu instid0(SALU_CYCLE_1)
	s_mov_b32 s0, exec_lo
	v_cmpx_gt_u64_e64 s[2:3], v[19:20]
	s_cbranch_execz .LBB387_40
	s_branch .LBB387_88
.LBB387_85:                             ;   in Loop: Header=BB387_41 Depth=1
	v_lshrrev_b32_e32 v13, 24, v36
	s_delay_alu instid0(VALU_DEP_1) | instskip(SKIP_4) | instid1(SALU_CYCLE_1)
	v_and_or_b32 v36, 0x80, v13, v37
	v_add_co_u32 v13, vcc_lo, v21, s6
	v_add_co_ci_u32_e32 v14, vcc_lo, s7, v22, vcc_lo
	global_store_b8 v[13:14], v36, off
	s_or_b32 exec_lo, exec_lo, s0
	s_mov_b32 s0, exec_lo
	v_cmpx_gt_u64_e64 s[2:3], v[15:16]
	s_cbranch_execz .LBB387_83
.LBB387_86:                             ;   in Loop: Header=BB387_41 Depth=1
	v_lshrrev_b32_e32 v13, 24, v38
	s_delay_alu instid0(VALU_DEP_1) | instskip(SKIP_4) | instid1(SALU_CYCLE_1)
	v_and_or_b32 v15, 0x80, v13, v39
	v_add_co_u32 v13, vcc_lo, v33, s6
	v_add_co_ci_u32_e32 v14, vcc_lo, s7, v34, vcc_lo
	global_store_b8 v[13:14], v15, off
	s_or_b32 exec_lo, exec_lo, s0
	s_mov_b32 s0, exec_lo
	v_cmpx_gt_u64_e64 s[2:3], v[17:18]
	s_cbranch_execz .LBB387_84
.LBB387_87:                             ;   in Loop: Header=BB387_41 Depth=1
	v_lshrrev_b32_e32 v13, 24, v40
	s_delay_alu instid0(VALU_DEP_1) | instskip(SKIP_4) | instid1(SALU_CYCLE_1)
	v_and_or_b32 v15, 0x80, v13, v41
	v_add_co_u32 v13, vcc_lo, v28, s6
	v_add_co_ci_u32_e32 v14, vcc_lo, s7, v29, vcc_lo
	global_store_b8 v[13:14], v15, off
	s_or_b32 exec_lo, exec_lo, s0
	s_mov_b32 s0, exec_lo
	v_cmpx_gt_u64_e64 s[2:3], v[19:20]
	s_cbranch_execz .LBB387_40
.LBB387_88:                             ;   in Loop: Header=BB387_41 Depth=1
	v_lshrrev_b32_e32 v13, 24, v42
	s_delay_alu instid0(VALU_DEP_1)
	v_and_or_b32 v15, 0x80, v13, v43
	v_add_co_u32 v13, vcc_lo, v23, s6
	v_add_co_ci_u32_e32 v14, vcc_lo, s7, v24, vcc_lo
	global_store_b8 v[13:14], v15, off
	s_branch .LBB387_40
.LBB387_89:
	s_nop 0
	s_sendmsg sendmsg(MSG_DEALLOC_VGPRS)
	s_endpgm
	.section	.rodata,"a",@progbits
	.p2align	6, 0x0
	.amdhsa_kernel _ZN2at6native12_GLOBAL__N_125multi_tensor_apply_kernelINS1_18TensorListMetadataILi2EEENS1_11CopyFunctorIN3c1011Float8_e5m2ENS6_7complexIdEELi2ELi1ELi1EEEJNS0_4CopyIS7_S9_EEEEEvT_T0_DpT1_
		.amdhsa_group_segment_fixed_size 0
		.amdhsa_private_segment_fixed_size 0
		.amdhsa_kernarg_size 3408
		.amdhsa_user_sgpr_count 15
		.amdhsa_user_sgpr_dispatch_ptr 0
		.amdhsa_user_sgpr_queue_ptr 0
		.amdhsa_user_sgpr_kernarg_segment_ptr 1
		.amdhsa_user_sgpr_dispatch_id 0
		.amdhsa_user_sgpr_private_segment_size 0
		.amdhsa_wavefront_size32 1
		.amdhsa_uses_dynamic_stack 0
		.amdhsa_enable_private_segment 0
		.amdhsa_system_sgpr_workgroup_id_x 1
		.amdhsa_system_sgpr_workgroup_id_y 0
		.amdhsa_system_sgpr_workgroup_id_z 0
		.amdhsa_system_sgpr_workgroup_info 0
		.amdhsa_system_vgpr_workitem_id 0
		.amdhsa_next_free_vgpr 45
		.amdhsa_next_free_sgpr 20
		.amdhsa_reserve_vcc 1
		.amdhsa_float_round_mode_32 0
		.amdhsa_float_round_mode_16_64 0
		.amdhsa_float_denorm_mode_32 3
		.amdhsa_float_denorm_mode_16_64 3
		.amdhsa_dx10_clamp 1
		.amdhsa_ieee_mode 1
		.amdhsa_fp16_overflow 0
		.amdhsa_workgroup_processor_mode 1
		.amdhsa_memory_ordered 1
		.amdhsa_forward_progress 0
		.amdhsa_shared_vgpr_count 0
		.amdhsa_exception_fp_ieee_invalid_op 0
		.amdhsa_exception_fp_denorm_src 0
		.amdhsa_exception_fp_ieee_div_zero 0
		.amdhsa_exception_fp_ieee_overflow 0
		.amdhsa_exception_fp_ieee_underflow 0
		.amdhsa_exception_fp_ieee_inexact 0
		.amdhsa_exception_int_div_zero 0
	.end_amdhsa_kernel
	.section	.text._ZN2at6native12_GLOBAL__N_125multi_tensor_apply_kernelINS1_18TensorListMetadataILi2EEENS1_11CopyFunctorIN3c1011Float8_e5m2ENS6_7complexIdEELi2ELi1ELi1EEEJNS0_4CopyIS7_S9_EEEEEvT_T0_DpT1_,"axG",@progbits,_ZN2at6native12_GLOBAL__N_125multi_tensor_apply_kernelINS1_18TensorListMetadataILi2EEENS1_11CopyFunctorIN3c1011Float8_e5m2ENS6_7complexIdEELi2ELi1ELi1EEEJNS0_4CopyIS7_S9_EEEEEvT_T0_DpT1_,comdat
.Lfunc_end387:
	.size	_ZN2at6native12_GLOBAL__N_125multi_tensor_apply_kernelINS1_18TensorListMetadataILi2EEENS1_11CopyFunctorIN3c1011Float8_e5m2ENS6_7complexIdEELi2ELi1ELi1EEEJNS0_4CopyIS7_S9_EEEEEvT_T0_DpT1_, .Lfunc_end387-_ZN2at6native12_GLOBAL__N_125multi_tensor_apply_kernelINS1_18TensorListMetadataILi2EEENS1_11CopyFunctorIN3c1011Float8_e5m2ENS6_7complexIdEELi2ELi1ELi1EEEJNS0_4CopyIS7_S9_EEEEEvT_T0_DpT1_
                                        ; -- End function
	.section	.AMDGPU.csdata,"",@progbits
; Kernel info:
; codeLenInByte = 2576
; NumSgprs: 22
; NumVgprs: 45
; ScratchSize: 0
; MemoryBound: 0
; FloatMode: 240
; IeeeMode: 1
; LDSByteSize: 0 bytes/workgroup (compile time only)
; SGPRBlocks: 2
; VGPRBlocks: 5
; NumSGPRsForWavesPerEU: 22
; NumVGPRsForWavesPerEU: 45
; Occupancy: 16
; WaveLimiterHint : 0
; COMPUTE_PGM_RSRC2:SCRATCH_EN: 0
; COMPUTE_PGM_RSRC2:USER_SGPR: 15
; COMPUTE_PGM_RSRC2:TRAP_HANDLER: 0
; COMPUTE_PGM_RSRC2:TGID_X_EN: 1
; COMPUTE_PGM_RSRC2:TGID_Y_EN: 0
; COMPUTE_PGM_RSRC2:TGID_Z_EN: 0
; COMPUTE_PGM_RSRC2:TIDIG_COMP_CNT: 0
	.section	.text._ZN2at6native12_GLOBAL__N_125multi_tensor_apply_kernelINS1_18TensorListMetadataILi2EEENS1_11CopyFunctorIN3c1011Float8_e5m2ENS6_7complexIfEELi2ELi1ELi1EEEJNS0_4CopyIS7_S9_EEEEEvT_T0_DpT1_,"axG",@progbits,_ZN2at6native12_GLOBAL__N_125multi_tensor_apply_kernelINS1_18TensorListMetadataILi2EEENS1_11CopyFunctorIN3c1011Float8_e5m2ENS6_7complexIfEELi2ELi1ELi1EEEJNS0_4CopyIS7_S9_EEEEEvT_T0_DpT1_,comdat
	.globl	_ZN2at6native12_GLOBAL__N_125multi_tensor_apply_kernelINS1_18TensorListMetadataILi2EEENS1_11CopyFunctorIN3c1011Float8_e5m2ENS6_7complexIfEELi2ELi1ELi1EEEJNS0_4CopyIS7_S9_EEEEEvT_T0_DpT1_ ; -- Begin function _ZN2at6native12_GLOBAL__N_125multi_tensor_apply_kernelINS1_18TensorListMetadataILi2EEENS1_11CopyFunctorIN3c1011Float8_e5m2ENS6_7complexIfEELi2ELi1ELi1EEEJNS0_4CopyIS7_S9_EEEEEvT_T0_DpT1_
	.p2align	8
	.type	_ZN2at6native12_GLOBAL__N_125multi_tensor_apply_kernelINS1_18TensorListMetadataILi2EEENS1_11CopyFunctorIN3c1011Float8_e5m2ENS6_7complexIfEELi2ELi1ELi1EEEJNS0_4CopyIS7_S9_EEEEEvT_T0_DpT1_,@function
_ZN2at6native12_GLOBAL__N_125multi_tensor_apply_kernelINS1_18TensorListMetadataILi2EEENS1_11CopyFunctorIN3c1011Float8_e5m2ENS6_7complexIfEELi2ELi1ELi1EEEJNS0_4CopyIS7_S9_EEEEEvT_T0_DpT1_: ; @_ZN2at6native12_GLOBAL__N_125multi_tensor_apply_kernelINS1_18TensorListMetadataILi2EEENS1_11CopyFunctorIN3c1011Float8_e5m2ENS6_7complexIfEELi2ELi1ELi1EEEJNS0_4CopyIS7_S9_EEEEEvT_T0_DpT1_
; %bb.0:
	v_mov_b32_e32 v1, s15
	s_add_u32 s2, s0, s15
	s_mul_i32 s4, s15, 3
	s_addc_u32 s3, s1, 0
	s_mul_hi_u32 s5, s15, 3
	global_load_u8 v1, v1, s[0:1] offset:1536
	s_add_u32 s2, s2, s4
	s_addc_u32 s3, s3, s5
	s_mov_b32 s17, 0
	s_load_b32 s10, s[2:3], 0x740
	s_waitcnt lgkmcnt(0)
	s_ashr_i32 s11, s10, 31
	s_delay_alu instid0(SALU_CYCLE_1) | instskip(SKIP_2) | instid1(VALU_DEP_1)
	s_lshl_b64 s[8:9], s[10:11], 16
	s_waitcnt vmcnt(0)
	v_readfirstlane_b32 s4, v1
	s_lshl_b32 s4, s4, 3
	s_clause 0x2
	s_load_b64 s[6:7], s[0:1], s4 offset:0x200
	s_load_b64 s[2:3], s[0:1], s4 offset:0x400
	s_load_b64 s[12:13], s[0:1], s4 offset:0x0
	s_waitcnt lgkmcnt(0)
	s_add_u32 s14, s6, s8
	s_addc_u32 s15, s7, s9
	s_delay_alu instid0(SALU_CYCLE_1) | instskip(SKIP_2) | instid1(SALU_CYCLE_1)
	s_or_b64 s[4:5], s[2:3], s[14:15]
	s_and_b32 s5, s12, 31
	s_and_b32 s4, s4, 3
	s_or_b32 s16, s4, s5
	s_sub_u32 s4, s2, s8
	s_subb_u32 s5, s3, s9
	s_cmp_eq_u64 s[16:17], 0
	s_mov_b32 s2, -1
	s_cbranch_scc0 .LBB388_37
; %bb.1:
	v_dual_mov_b32 v2, 0 :: v_dual_lshlrev_b32 v1, 2, v0
	s_mov_b32 s3, exec_lo
	s_delay_alu instid0(VALU_DEP_1)
	v_cmpx_gt_i64_e64 s[4:5], v[1:2]
	s_cbranch_execz .LBB388_36
; %bb.2:
	s_load_b32 s2, s[0:1], 0xc5c
	v_lshlrev_b32_e32 v3, 5, v0
	s_lshl_b64 s[18:19], s[10:11], 19
	v_mov_b32_e32 v5, 0x7f
	s_waitcnt lgkmcnt(0)
	s_and_b32 s2, s2, 0xffff
	s_delay_alu instid0(SALU_CYCLE_1) | instskip(SKIP_3) | instid1(VALU_DEP_1)
	s_lshl_b32 s16, s2, 2
	s_add_u32 s17, s12, s18
	s_addc_u32 s18, s13, s19
	v_add_co_u32 v3, s17, s17, v3
	v_add_co_ci_u32_e64 v4, null, s18, 0, s17
	s_mov_b32 s17, 0
	s_lshl_b32 s18, s2, 5
	s_branch .LBB388_4
.LBB388_3:                              ;   in Loop: Header=BB388_4 Depth=1
	s_or_b32 exec_lo, exec_lo, s2
	v_lshrrev_b32_e32 v10, 24, v10
	v_lshrrev_b32_e32 v9, 24, v9
	;; [unrolled: 1-line block ×3, first 2 shown]
	v_add_co_u32 v8, vcc_lo, s14, v1
	s_delay_alu instid0(VALU_DEP_4) | instskip(NEXT) | instid1(VALU_DEP_4)
	v_and_b32_e32 v10, 0x80, v10
	v_and_b32_e32 v15, 0x80, v9
	v_add_co_ci_u32_e32 v9, vcc_lo, s15, v2, vcc_lo
	v_add_co_u32 v1, vcc_lo, s16, v1
	s_delay_alu instid0(VALU_DEP_4)
	v_and_or_b32 v10, 0xff, v12, v10
	v_add_co_ci_u32_e32 v2, vcc_lo, 0, v2, vcc_lo
	v_lshlrev_b32_e32 v13, 24, v13
	v_and_or_b32 v11, 0xff, v11, v15
	v_and_b32_e32 v6, 0x80000000, v6
	v_and_b32_e32 v7, 0xff, v7
	v_lshlrev_b32_e32 v10, 16, v10
	v_cmp_le_i64_e32 vcc_lo, s[4:5], v[1:2]
	v_cmp_lt_u64_e64 s2, 0xffff, v[1:2]
	v_lshlrev_b32_e32 v11, 8, v11
	v_and_or_b32 v7, 0x80, v14, v7
	v_or3_b32 v6, v6, v13, v10
	s_delay_alu instid0(VALU_DEP_4) | instskip(SKIP_1) | instid1(VALU_DEP_2)
	s_or_b32 s2, vcc_lo, s2
	v_add_co_u32 v3, vcc_lo, v3, s18
	v_or3_b32 v6, v6, v11, v7
	v_add_co_ci_u32_e32 v4, vcc_lo, 0, v4, vcc_lo
	s_and_b32 s2, exec_lo, s2
	s_delay_alu instid0(SALU_CYCLE_1)
	s_or_b32 s17, s2, s17
	global_store_b32 v[8:9], v6, off
	s_and_not1_b32 exec_lo, exec_lo, s17
	s_cbranch_execz .LBB388_36
.LBB388_4:                              ; =>This Inner Loop Header: Depth=1
	s_clause 0x3
	global_load_b32 v8, v[3:4], off
	global_load_b32 v9, v[3:4], off offset:8
	global_load_b32 v10, v[3:4], off offset:16
	;; [unrolled: 1-line block ×3, first 2 shown]
	s_mov_b32 s2, exec_lo
                                        ; implicit-def: $vgpr7
	s_waitcnt vmcnt(3)
	v_and_b32_e32 v11, 0x7fffffff, v8
	s_delay_alu instid0(VALU_DEP_1)
	v_cmpx_gt_u32_e32 0x47800000, v11
	s_xor_b32 s2, exec_lo, s2
	s_cbranch_execz .LBB388_10
; %bb.5:                                ;   in Loop: Header=BB388_4 Depth=1
	s_mov_b32 s19, exec_lo
                                        ; implicit-def: $vgpr7
	v_cmpx_lt_u32_e32 0x387fffff, v11
	s_xor_b32 s19, exec_lo, s19
; %bb.6:                                ;   in Loop: Header=BB388_4 Depth=1
	v_bfe_u32 v7, v8, 21, 1
	s_delay_alu instid0(VALU_DEP_1) | instskip(NEXT) | instid1(VALU_DEP_1)
	v_add3_u32 v7, v8, v7, 0x80fffff
	v_lshrrev_b32_e32 v7, 21, v7
; %bb.7:                                ;   in Loop: Header=BB388_4 Depth=1
	s_and_not1_saveexec_b32 s19, s19
; %bb.8:                                ;   in Loop: Header=BB388_4 Depth=1
	v_add_f32_e64 v7, 0x43000000, |v8|
; %bb.9:                                ;   in Loop: Header=BB388_4 Depth=1
	s_or_b32 exec_lo, exec_lo, s19
                                        ; implicit-def: $vgpr11
.LBB388_10:                             ;   in Loop: Header=BB388_4 Depth=1
	s_and_not1_saveexec_b32 s2, s2
; %bb.11:                               ;   in Loop: Header=BB388_4 Depth=1
	v_cmp_lt_u32_e32 vcc_lo, 0x7f800000, v11
	v_cndmask_b32_e32 v7, 0x7c, v5, vcc_lo
; %bb.12:                               ;   in Loop: Header=BB388_4 Depth=1
	s_or_b32 exec_lo, exec_lo, s2
	s_waitcnt vmcnt(2)
	v_and_b32_e32 v12, 0x7fffffff, v9
	s_mov_b32 s2, exec_lo
                                        ; implicit-def: $vgpr11
	s_delay_alu instid0(VALU_DEP_1)
	v_cmpx_gt_u32_e32 0x47800000, v12
	s_xor_b32 s2, exec_lo, s2
	s_cbranch_execz .LBB388_18
; %bb.13:                               ;   in Loop: Header=BB388_4 Depth=1
	s_mov_b32 s19, exec_lo
                                        ; implicit-def: $vgpr11
	v_cmpx_lt_u32_e32 0x387fffff, v12
	s_xor_b32 s19, exec_lo, s19
; %bb.14:                               ;   in Loop: Header=BB388_4 Depth=1
	v_bfe_u32 v11, v9, 21, 1
	s_delay_alu instid0(VALU_DEP_1) | instskip(NEXT) | instid1(VALU_DEP_1)
	v_add3_u32 v11, v9, v11, 0x80fffff
	v_lshrrev_b32_e32 v11, 21, v11
; %bb.15:                               ;   in Loop: Header=BB388_4 Depth=1
	s_and_not1_saveexec_b32 s19, s19
; %bb.16:                               ;   in Loop: Header=BB388_4 Depth=1
	v_add_f32_e64 v11, 0x43000000, |v9|
; %bb.17:                               ;   in Loop: Header=BB388_4 Depth=1
	s_or_b32 exec_lo, exec_lo, s19
                                        ; implicit-def: $vgpr12
.LBB388_18:                             ;   in Loop: Header=BB388_4 Depth=1
	s_and_not1_saveexec_b32 s2, s2
; %bb.19:                               ;   in Loop: Header=BB388_4 Depth=1
	v_cmp_lt_u32_e32 vcc_lo, 0x7f800000, v12
	v_cndmask_b32_e32 v11, 0x7c, v5, vcc_lo
; %bb.20:                               ;   in Loop: Header=BB388_4 Depth=1
	s_or_b32 exec_lo, exec_lo, s2
	s_waitcnt vmcnt(1)
	v_and_b32_e32 v13, 0x7fffffff, v10
	s_mov_b32 s2, exec_lo
                                        ; implicit-def: $vgpr12
	s_delay_alu instid0(VALU_DEP_1)
	v_cmpx_gt_u32_e32 0x47800000, v13
	s_xor_b32 s2, exec_lo, s2
	s_cbranch_execz .LBB388_26
; %bb.21:                               ;   in Loop: Header=BB388_4 Depth=1
	s_mov_b32 s19, exec_lo
                                        ; implicit-def: $vgpr12
	v_cmpx_lt_u32_e32 0x387fffff, v13
	s_xor_b32 s19, exec_lo, s19
; %bb.22:                               ;   in Loop: Header=BB388_4 Depth=1
	v_bfe_u32 v12, v10, 21, 1
	s_delay_alu instid0(VALU_DEP_1) | instskip(NEXT) | instid1(VALU_DEP_1)
	v_add3_u32 v12, v10, v12, 0x80fffff
	v_lshrrev_b32_e32 v12, 21, v12
; %bb.23:                               ;   in Loop: Header=BB388_4 Depth=1
	s_and_not1_saveexec_b32 s19, s19
; %bb.24:                               ;   in Loop: Header=BB388_4 Depth=1
	v_add_f32_e64 v12, 0x43000000, |v10|
; %bb.25:                               ;   in Loop: Header=BB388_4 Depth=1
	s_or_b32 exec_lo, exec_lo, s19
                                        ; implicit-def: $vgpr13
.LBB388_26:                             ;   in Loop: Header=BB388_4 Depth=1
	s_and_not1_saveexec_b32 s2, s2
; %bb.27:                               ;   in Loop: Header=BB388_4 Depth=1
	v_cmp_lt_u32_e32 vcc_lo, 0x7f800000, v13
	v_cndmask_b32_e32 v12, 0x7c, v5, vcc_lo
; %bb.28:                               ;   in Loop: Header=BB388_4 Depth=1
	s_or_b32 exec_lo, exec_lo, s2
	s_waitcnt vmcnt(0)
	v_and_b32_e32 v14, 0x7fffffff, v6
	s_mov_b32 s2, exec_lo
                                        ; implicit-def: $vgpr13
	s_delay_alu instid0(VALU_DEP_1)
	v_cmpx_gt_u32_e32 0x47800000, v14
	s_xor_b32 s2, exec_lo, s2
	s_cbranch_execz .LBB388_34
; %bb.29:                               ;   in Loop: Header=BB388_4 Depth=1
	s_mov_b32 s19, exec_lo
                                        ; implicit-def: $vgpr13
	v_cmpx_lt_u32_e32 0x387fffff, v14
	s_xor_b32 s19, exec_lo, s19
; %bb.30:                               ;   in Loop: Header=BB388_4 Depth=1
	v_bfe_u32 v13, v6, 21, 1
	s_delay_alu instid0(VALU_DEP_1) | instskip(NEXT) | instid1(VALU_DEP_1)
	v_add3_u32 v13, v6, v13, 0x80fffff
	v_lshrrev_b32_e32 v13, 21, v13
; %bb.31:                               ;   in Loop: Header=BB388_4 Depth=1
	s_and_not1_saveexec_b32 s19, s19
; %bb.32:                               ;   in Loop: Header=BB388_4 Depth=1
	v_add_f32_e64 v13, 0x43000000, |v6|
; %bb.33:                               ;   in Loop: Header=BB388_4 Depth=1
	s_or_b32 exec_lo, exec_lo, s19
                                        ; implicit-def: $vgpr14
.LBB388_34:                             ;   in Loop: Header=BB388_4 Depth=1
	s_and_not1_saveexec_b32 s2, s2
	s_cbranch_execz .LBB388_3
; %bb.35:                               ;   in Loop: Header=BB388_4 Depth=1
	v_cmp_lt_u32_e32 vcc_lo, 0x7f800000, v14
	v_cndmask_b32_e32 v13, 0x7c, v5, vcc_lo
	s_branch .LBB388_3
.LBB388_36:
	s_or_b32 exec_lo, exec_lo, s3
	s_mov_b32 s2, 0
.LBB388_37:
	s_delay_alu instid0(SALU_CYCLE_1)
	s_and_not1_b32 vcc_lo, exec_lo, s2
	s_cbranch_vccnz .LBB388_89
; %bb.38:
	v_cmp_lt_i64_e64 s2, s[4:5], 1
	s_delay_alu instid0(VALU_DEP_1)
	s_and_b32 vcc_lo, exec_lo, s2
	s_cbranch_vccnz .LBB388_89
; %bb.39:
	s_load_b32 s0, s[0:1], 0xc5c
	v_cmp_gt_u64_e64 s1, 0x10000, s[4:5]
	v_add_co_u32 v5, s2, s8, v0
	v_dual_mov_b32 v30, 0 :: v_dual_lshlrev_b32 v1, 3, v0
	v_add_co_ci_u32_e64 v6, null, s9, 0, s2
	s_delay_alu instid0(VALU_DEP_3) | instskip(SKIP_1) | instid1(VALU_DEP_3)
	v_add_co_u32 v14, vcc_lo, s6, v5
	v_dual_mov_b32 v13, 0 :: v_dual_mov_b32 v28, 0x7f
	v_add_co_ci_u32_e32 v15, vcc_lo, s7, v6, vcc_lo
	v_mov_b32_e32 v31, 0
	v_mov_b32_e32 v29, 0
	s_waitcnt lgkmcnt(0)
	s_and_b32 s0, s0, 0xffff
	s_and_b32 s1, s1, exec_lo
	s_cselect_b32 s3, s5, 0
	s_cselect_b32 s2, s4, 0x10000
	s_lshl_b64 s[10:11], s[10:11], 19
	s_lshl_b32 s14, s0, 1
	s_lshl_b32 s1, s0, 2
	s_add_u32 s12, s12, s10
	s_mul_i32 s15, s0, 3
	s_addc_u32 s13, s13, s11
	s_lshl_b32 s10, s0, 5
	v_add_co_u32 v1, s16, s12, v1
	s_add_u32 s11, s8, s15
	v_add_co_ci_u32_e64 v2, null, s13, 0, s16
	s_addc_u32 s16, s9, 0
	s_add_u32 s11, s6, s11
	s_addc_u32 s16, s7, s16
	v_add_co_u32 v16, s11, s11, v0
	s_delay_alu instid0(VALU_DEP_1)
	v_add_co_ci_u32_e64 v17, null, s16, 0, s11
	v_add_co_u32 v18, s11, s15, v0
	v_add_co_u32 v20, s15, v0, s0
	v_add_co_ci_u32_e64 v19, null, 0, 0, s11
	s_lshl_b32 s11, s0, 4
	s_add_u32 s8, s8, s14
	s_addc_u32 s9, s9, 0
	s_add_u32 s8, s6, s8
	v_lshlrev_b32_e32 v3, 3, v20
	s_addc_u32 s9, s7, s9
	v_add_co_u32 v21, s8, s8, v0
	s_delay_alu instid0(VALU_DEP_1)
	v_add_co_ci_u32_e64 v22, null, s9, 0, s8
	v_add_co_u32 v24, s8, s14, v0
	s_add_u32 s6, s6, s0
	v_add_co_ci_u32_e64 v25, null, 0, 0, s8
	v_add_co_u32 v3, s8, s12, v3
	s_addc_u32 s7, s7, 0
	v_add_co_u32 v26, vcc_lo, s6, v5
	v_add_co_ci_u32_e64 v23, null, 0, 0, s15
	v_add_co_ci_u32_e64 v4, null, s13, 0, s8
	v_add_co_ci_u32_e32 v27, vcc_lo, s7, v6, vcc_lo
	s_mul_i32 s8, s0, 24
	s_mov_b64 s[6:7], 0
	s_branch .LBB388_41
.LBB388_40:                             ;   in Loop: Header=BB388_41 Depth=1
	s_or_b32 exec_lo, exec_lo, s0
	s_add_u32 s6, s6, s1
	s_addc_u32 s7, s7, 0
	v_add_co_u32 v1, vcc_lo, v1, s10
	v_cmp_ge_i64_e64 s0, s[6:7], s[4:5]
	v_cmp_lt_u64_e64 s9, 0xffff, s[6:7]
	v_add_co_ci_u32_e32 v2, vcc_lo, 0, v2, vcc_lo
	v_add_co_u32 v3, vcc_lo, v3, s10
	v_add_co_ci_u32_e32 v4, vcc_lo, 0, v4, vcc_lo
	s_delay_alu instid0(VALU_DEP_4) | instskip(NEXT) | instid1(SALU_CYCLE_1)
	s_or_b32 s0, s0, s9
	s_and_b32 vcc_lo, exec_lo, s0
	s_cbranch_vccnz .LBB388_89
.LBB388_41:                             ; =>This Inner Loop Header: Depth=1
	v_add_co_u32 v5, s0, v0, s6
	s_delay_alu instid0(VALU_DEP_1) | instskip(NEXT) | instid1(VALU_DEP_1)
	v_add_co_ci_u32_e64 v6, null, 0, s7, s0
	v_cmp_gt_i64_e32 vcc_lo, s[4:5], v[5:6]
	v_cmp_gt_u64_e64 s0, 0x10000, v[5:6]
	s_delay_alu instid0(VALU_DEP_1) | instskip(NEXT) | instid1(SALU_CYCLE_1)
	s_and_b32 s9, vcc_lo, s0
	s_and_saveexec_b32 s0, s9
	s_cbranch_execz .LBB388_43
; %bb.42:                               ;   in Loop: Header=BB388_41 Depth=1
	global_load_b32 v30, v[1:2], off
.LBB388_43:                             ;   in Loop: Header=BB388_41 Depth=1
	s_or_b32 exec_lo, exec_lo, s0
	v_add_co_u32 v7, vcc_lo, v20, s6
	v_add_co_ci_u32_e32 v8, vcc_lo, s7, v23, vcc_lo
	s_delay_alu instid0(VALU_DEP_1) | instskip(SKIP_1) | instid1(VALU_DEP_1)
	v_cmp_gt_i64_e32 vcc_lo, s[4:5], v[7:8]
	v_cmp_gt_u64_e64 s0, 0x10000, v[7:8]
	s_and_b32 s9, vcc_lo, s0
	s_delay_alu instid0(SALU_CYCLE_1)
	s_and_saveexec_b32 s0, s9
	s_cbranch_execz .LBB388_45
; %bb.44:                               ;   in Loop: Header=BB388_41 Depth=1
	global_load_b32 v29, v[3:4], off
.LBB388_45:                             ;   in Loop: Header=BB388_41 Depth=1
	s_or_b32 exec_lo, exec_lo, s0
	v_add_co_u32 v9, vcc_lo, v24, s6
	v_add_co_ci_u32_e32 v10, vcc_lo, s7, v25, vcc_lo
	s_delay_alu instid0(VALU_DEP_1) | instskip(SKIP_1) | instid1(VALU_DEP_1)
	v_cmp_gt_i64_e32 vcc_lo, s[4:5], v[9:10]
	v_cmp_gt_u64_e64 s0, 0x10000, v[9:10]
	s_and_b32 s9, vcc_lo, s0
	s_delay_alu instid0(SALU_CYCLE_1)
	s_and_saveexec_b32 s0, s9
	s_cbranch_execz .LBB388_47
; %bb.46:                               ;   in Loop: Header=BB388_41 Depth=1
	v_add_co_u32 v11, vcc_lo, v1, s11
	v_add_co_ci_u32_e32 v12, vcc_lo, 0, v2, vcc_lo
	global_load_b32 v31, v[11:12], off
.LBB388_47:                             ;   in Loop: Header=BB388_41 Depth=1
	s_or_b32 exec_lo, exec_lo, s0
	v_add_co_u32 v11, vcc_lo, v18, s6
	v_add_co_ci_u32_e32 v12, vcc_lo, s7, v19, vcc_lo
	s_delay_alu instid0(VALU_DEP_1) | instskip(SKIP_1) | instid1(VALU_DEP_1)
	v_cmp_gt_i64_e32 vcc_lo, s[4:5], v[11:12]
	v_cmp_gt_u64_e64 s0, 0x10000, v[11:12]
	s_and_b32 s9, vcc_lo, s0
	s_delay_alu instid0(SALU_CYCLE_1)
	s_and_saveexec_b32 s0, s9
	s_cbranch_execz .LBB388_49
; %bb.48:                               ;   in Loop: Header=BB388_41 Depth=1
	v_add_co_u32 v32, vcc_lo, v1, s8
	v_add_co_ci_u32_e32 v33, vcc_lo, 0, v2, vcc_lo
	global_load_b32 v13, v[32:33], off
.LBB388_49:                             ;   in Loop: Header=BB388_41 Depth=1
	s_or_b32 exec_lo, exec_lo, s0
	s_waitcnt vmcnt(0)
	v_and_b32_e32 v33, 0x7fffffff, v30
	s_mov_b32 s0, exec_lo
                                        ; implicit-def: $vgpr32
	s_delay_alu instid0(VALU_DEP_1)
	v_cmpx_gt_u32_e32 0x47800000, v33
	s_xor_b32 s0, exec_lo, s0
	s_cbranch_execz .LBB388_55
; %bb.50:                               ;   in Loop: Header=BB388_41 Depth=1
	s_mov_b32 s9, exec_lo
                                        ; implicit-def: $vgpr32
	v_cmpx_lt_u32_e32 0x387fffff, v33
	s_xor_b32 s9, exec_lo, s9
; %bb.51:                               ;   in Loop: Header=BB388_41 Depth=1
	v_bfe_u32 v32, v30, 21, 1
	s_delay_alu instid0(VALU_DEP_1) | instskip(NEXT) | instid1(VALU_DEP_1)
	v_add3_u32 v32, v30, v32, 0x80fffff
	v_lshrrev_b32_e32 v32, 21, v32
; %bb.52:                               ;   in Loop: Header=BB388_41 Depth=1
	s_and_not1_saveexec_b32 s9, s9
; %bb.53:                               ;   in Loop: Header=BB388_41 Depth=1
	v_add_f32_e64 v32, 0x43000000, |v30|
; %bb.54:                               ;   in Loop: Header=BB388_41 Depth=1
	s_or_b32 exec_lo, exec_lo, s9
                                        ; implicit-def: $vgpr33
.LBB388_55:                             ;   in Loop: Header=BB388_41 Depth=1
	s_and_not1_saveexec_b32 s0, s0
; %bb.56:                               ;   in Loop: Header=BB388_41 Depth=1
	v_cmp_lt_u32_e32 vcc_lo, 0x7f800000, v33
	v_cndmask_b32_e32 v32, 0x7c, v28, vcc_lo
; %bb.57:                               ;   in Loop: Header=BB388_41 Depth=1
	s_or_b32 exec_lo, exec_lo, s0
	v_and_b32_e32 v34, 0x7fffffff, v29
	s_mov_b32 s0, exec_lo
                                        ; implicit-def: $vgpr33
	s_delay_alu instid0(VALU_DEP_1)
	v_cmpx_gt_u32_e32 0x47800000, v34
	s_xor_b32 s0, exec_lo, s0
	s_cbranch_execz .LBB388_63
; %bb.58:                               ;   in Loop: Header=BB388_41 Depth=1
	s_mov_b32 s9, exec_lo
                                        ; implicit-def: $vgpr33
	v_cmpx_lt_u32_e32 0x387fffff, v34
	s_xor_b32 s9, exec_lo, s9
; %bb.59:                               ;   in Loop: Header=BB388_41 Depth=1
	v_bfe_u32 v33, v29, 21, 1
	s_delay_alu instid0(VALU_DEP_1) | instskip(NEXT) | instid1(VALU_DEP_1)
	v_add3_u32 v33, v29, v33, 0x80fffff
	v_lshrrev_b32_e32 v33, 21, v33
; %bb.60:                               ;   in Loop: Header=BB388_41 Depth=1
	s_and_not1_saveexec_b32 s9, s9
; %bb.61:                               ;   in Loop: Header=BB388_41 Depth=1
	v_add_f32_e64 v33, 0x43000000, |v29|
; %bb.62:                               ;   in Loop: Header=BB388_41 Depth=1
	s_or_b32 exec_lo, exec_lo, s9
                                        ; implicit-def: $vgpr34
.LBB388_63:                             ;   in Loop: Header=BB388_41 Depth=1
	s_and_not1_saveexec_b32 s0, s0
; %bb.64:                               ;   in Loop: Header=BB388_41 Depth=1
	v_cmp_lt_u32_e32 vcc_lo, 0x7f800000, v34
	v_cndmask_b32_e32 v33, 0x7c, v28, vcc_lo
; %bb.65:                               ;   in Loop: Header=BB388_41 Depth=1
	s_or_b32 exec_lo, exec_lo, s0
	v_and_b32_e32 v35, 0x7fffffff, v31
	s_mov_b32 s0, exec_lo
                                        ; implicit-def: $vgpr34
	s_delay_alu instid0(VALU_DEP_1)
	v_cmpx_gt_u32_e32 0x47800000, v35
	s_xor_b32 s0, exec_lo, s0
	s_cbranch_execz .LBB388_71
; %bb.66:                               ;   in Loop: Header=BB388_41 Depth=1
	s_mov_b32 s9, exec_lo
                                        ; implicit-def: $vgpr34
	v_cmpx_lt_u32_e32 0x387fffff, v35
	s_xor_b32 s9, exec_lo, s9
; %bb.67:                               ;   in Loop: Header=BB388_41 Depth=1
	v_bfe_u32 v34, v31, 21, 1
	s_delay_alu instid0(VALU_DEP_1) | instskip(NEXT) | instid1(VALU_DEP_1)
	v_add3_u32 v34, v31, v34, 0x80fffff
	v_lshrrev_b32_e32 v34, 21, v34
; %bb.68:                               ;   in Loop: Header=BB388_41 Depth=1
	s_and_not1_saveexec_b32 s9, s9
; %bb.69:                               ;   in Loop: Header=BB388_41 Depth=1
	v_add_f32_e64 v34, 0x43000000, |v31|
; %bb.70:                               ;   in Loop: Header=BB388_41 Depth=1
	s_or_b32 exec_lo, exec_lo, s9
                                        ; implicit-def: $vgpr35
.LBB388_71:                             ;   in Loop: Header=BB388_41 Depth=1
	s_and_not1_saveexec_b32 s0, s0
; %bb.72:                               ;   in Loop: Header=BB388_41 Depth=1
	v_cmp_lt_u32_e32 vcc_lo, 0x7f800000, v35
	v_cndmask_b32_e32 v34, 0x7c, v28, vcc_lo
; %bb.73:                               ;   in Loop: Header=BB388_41 Depth=1
	s_or_b32 exec_lo, exec_lo, s0
	v_and_b32_e32 v36, 0x7fffffff, v13
	s_mov_b32 s0, exec_lo
                                        ; implicit-def: $vgpr35
	s_delay_alu instid0(VALU_DEP_1)
	v_cmpx_gt_u32_e32 0x47800000, v36
	s_xor_b32 s0, exec_lo, s0
	s_cbranch_execz .LBB388_79
; %bb.74:                               ;   in Loop: Header=BB388_41 Depth=1
	s_mov_b32 s9, exec_lo
                                        ; implicit-def: $vgpr35
	v_cmpx_lt_u32_e32 0x387fffff, v36
	s_xor_b32 s9, exec_lo, s9
; %bb.75:                               ;   in Loop: Header=BB388_41 Depth=1
	v_bfe_u32 v35, v13, 21, 1
	s_delay_alu instid0(VALU_DEP_1) | instskip(NEXT) | instid1(VALU_DEP_1)
	v_add3_u32 v35, v13, v35, 0x80fffff
	v_lshrrev_b32_e32 v35, 21, v35
; %bb.76:                               ;   in Loop: Header=BB388_41 Depth=1
	s_and_not1_saveexec_b32 s9, s9
; %bb.77:                               ;   in Loop: Header=BB388_41 Depth=1
	v_add_f32_e64 v35, 0x43000000, |v13|
; %bb.78:                               ;   in Loop: Header=BB388_41 Depth=1
	s_or_b32 exec_lo, exec_lo, s9
                                        ; implicit-def: $vgpr36
.LBB388_79:                             ;   in Loop: Header=BB388_41 Depth=1
	s_and_not1_saveexec_b32 s0, s0
; %bb.80:                               ;   in Loop: Header=BB388_41 Depth=1
	v_cmp_lt_u32_e32 vcc_lo, 0x7f800000, v36
	v_cndmask_b32_e32 v35, 0x7c, v28, vcc_lo
; %bb.81:                               ;   in Loop: Header=BB388_41 Depth=1
	s_or_b32 exec_lo, exec_lo, s0
	s_delay_alu instid0(SALU_CYCLE_1)
	s_mov_b32 s0, exec_lo
	v_cmpx_gt_u64_e64 s[2:3], v[5:6]
	s_xor_b32 s0, exec_lo, s0
	s_cbranch_execnz .LBB388_85
; %bb.82:                               ;   in Loop: Header=BB388_41 Depth=1
	s_or_b32 exec_lo, exec_lo, s0
	s_delay_alu instid0(SALU_CYCLE_1)
	s_mov_b32 s0, exec_lo
	v_cmpx_gt_u64_e64 s[2:3], v[7:8]
	s_cbranch_execnz .LBB388_86
.LBB388_83:                             ;   in Loop: Header=BB388_41 Depth=1
	s_or_b32 exec_lo, exec_lo, s0
	s_delay_alu instid0(SALU_CYCLE_1)
	s_mov_b32 s0, exec_lo
	v_cmpx_gt_u64_e64 s[2:3], v[9:10]
	s_cbranch_execnz .LBB388_87
.LBB388_84:                             ;   in Loop: Header=BB388_41 Depth=1
	s_or_b32 exec_lo, exec_lo, s0
	s_delay_alu instid0(SALU_CYCLE_1)
	s_mov_b32 s0, exec_lo
	v_cmpx_gt_u64_e64 s[2:3], v[11:12]
	s_cbranch_execz .LBB388_40
	s_branch .LBB388_88
.LBB388_85:                             ;   in Loop: Header=BB388_41 Depth=1
	v_lshrrev_b32_e32 v5, 24, v30
	s_delay_alu instid0(VALU_DEP_1) | instskip(SKIP_4) | instid1(SALU_CYCLE_1)
	v_and_or_b32 v32, 0x80, v5, v32
	v_add_co_u32 v5, vcc_lo, v14, s6
	v_add_co_ci_u32_e32 v6, vcc_lo, s7, v15, vcc_lo
	global_store_b8 v[5:6], v32, off
	s_or_b32 exec_lo, exec_lo, s0
	s_mov_b32 s0, exec_lo
	v_cmpx_gt_u64_e64 s[2:3], v[7:8]
	s_cbranch_execz .LBB388_83
.LBB388_86:                             ;   in Loop: Header=BB388_41 Depth=1
	v_lshrrev_b32_e32 v5, 24, v29
	s_delay_alu instid0(VALU_DEP_1) | instskip(SKIP_4) | instid1(SALU_CYCLE_1)
	v_and_or_b32 v7, 0x80, v5, v33
	v_add_co_u32 v5, vcc_lo, v26, s6
	v_add_co_ci_u32_e32 v6, vcc_lo, s7, v27, vcc_lo
	global_store_b8 v[5:6], v7, off
	s_or_b32 exec_lo, exec_lo, s0
	s_mov_b32 s0, exec_lo
	v_cmpx_gt_u64_e64 s[2:3], v[9:10]
	s_cbranch_execz .LBB388_84
.LBB388_87:                             ;   in Loop: Header=BB388_41 Depth=1
	v_lshrrev_b32_e32 v5, 24, v31
	s_delay_alu instid0(VALU_DEP_1) | instskip(SKIP_4) | instid1(SALU_CYCLE_1)
	v_and_or_b32 v7, 0x80, v5, v34
	v_add_co_u32 v5, vcc_lo, v21, s6
	v_add_co_ci_u32_e32 v6, vcc_lo, s7, v22, vcc_lo
	global_store_b8 v[5:6], v7, off
	s_or_b32 exec_lo, exec_lo, s0
	s_mov_b32 s0, exec_lo
	v_cmpx_gt_u64_e64 s[2:3], v[11:12]
	s_cbranch_execz .LBB388_40
.LBB388_88:                             ;   in Loop: Header=BB388_41 Depth=1
	v_lshrrev_b32_e32 v5, 24, v13
	s_delay_alu instid0(VALU_DEP_1)
	v_and_or_b32 v7, 0x80, v5, v35
	v_add_co_u32 v5, vcc_lo, v16, s6
	v_add_co_ci_u32_e32 v6, vcc_lo, s7, v17, vcc_lo
	global_store_b8 v[5:6], v7, off
	s_branch .LBB388_40
.LBB388_89:
	s_nop 0
	s_sendmsg sendmsg(MSG_DEALLOC_VGPRS)
	s_endpgm
	.section	.rodata,"a",@progbits
	.p2align	6, 0x0
	.amdhsa_kernel _ZN2at6native12_GLOBAL__N_125multi_tensor_apply_kernelINS1_18TensorListMetadataILi2EEENS1_11CopyFunctorIN3c1011Float8_e5m2ENS6_7complexIfEELi2ELi1ELi1EEEJNS0_4CopyIS7_S9_EEEEEvT_T0_DpT1_
		.amdhsa_group_segment_fixed_size 0
		.amdhsa_private_segment_fixed_size 0
		.amdhsa_kernarg_size 3408
		.amdhsa_user_sgpr_count 15
		.amdhsa_user_sgpr_dispatch_ptr 0
		.amdhsa_user_sgpr_queue_ptr 0
		.amdhsa_user_sgpr_kernarg_segment_ptr 1
		.amdhsa_user_sgpr_dispatch_id 0
		.amdhsa_user_sgpr_private_segment_size 0
		.amdhsa_wavefront_size32 1
		.amdhsa_uses_dynamic_stack 0
		.amdhsa_enable_private_segment 0
		.amdhsa_system_sgpr_workgroup_id_x 1
		.amdhsa_system_sgpr_workgroup_id_y 0
		.amdhsa_system_sgpr_workgroup_id_z 0
		.amdhsa_system_sgpr_workgroup_info 0
		.amdhsa_system_vgpr_workitem_id 0
		.amdhsa_next_free_vgpr 37
		.amdhsa_next_free_sgpr 20
		.amdhsa_reserve_vcc 1
		.amdhsa_float_round_mode_32 0
		.amdhsa_float_round_mode_16_64 0
		.amdhsa_float_denorm_mode_32 3
		.amdhsa_float_denorm_mode_16_64 3
		.amdhsa_dx10_clamp 1
		.amdhsa_ieee_mode 1
		.amdhsa_fp16_overflow 0
		.amdhsa_workgroup_processor_mode 1
		.amdhsa_memory_ordered 1
		.amdhsa_forward_progress 0
		.amdhsa_shared_vgpr_count 0
		.amdhsa_exception_fp_ieee_invalid_op 0
		.amdhsa_exception_fp_denorm_src 0
		.amdhsa_exception_fp_ieee_div_zero 0
		.amdhsa_exception_fp_ieee_overflow 0
		.amdhsa_exception_fp_ieee_underflow 0
		.amdhsa_exception_fp_ieee_inexact 0
		.amdhsa_exception_int_div_zero 0
	.end_amdhsa_kernel
	.section	.text._ZN2at6native12_GLOBAL__N_125multi_tensor_apply_kernelINS1_18TensorListMetadataILi2EEENS1_11CopyFunctorIN3c1011Float8_e5m2ENS6_7complexIfEELi2ELi1ELi1EEEJNS0_4CopyIS7_S9_EEEEEvT_T0_DpT1_,"axG",@progbits,_ZN2at6native12_GLOBAL__N_125multi_tensor_apply_kernelINS1_18TensorListMetadataILi2EEENS1_11CopyFunctorIN3c1011Float8_e5m2ENS6_7complexIfEELi2ELi1ELi1EEEJNS0_4CopyIS7_S9_EEEEEvT_T0_DpT1_,comdat
.Lfunc_end388:
	.size	_ZN2at6native12_GLOBAL__N_125multi_tensor_apply_kernelINS1_18TensorListMetadataILi2EEENS1_11CopyFunctorIN3c1011Float8_e5m2ENS6_7complexIfEELi2ELi1ELi1EEEJNS0_4CopyIS7_S9_EEEEEvT_T0_DpT1_, .Lfunc_end388-_ZN2at6native12_GLOBAL__N_125multi_tensor_apply_kernelINS1_18TensorListMetadataILi2EEENS1_11CopyFunctorIN3c1011Float8_e5m2ENS6_7complexIfEELi2ELi1ELi1EEEJNS0_4CopyIS7_S9_EEEEEvT_T0_DpT1_
                                        ; -- End function
	.section	.AMDGPU.csdata,"",@progbits
; Kernel info:
; codeLenInByte = 2536
; NumSgprs: 22
; NumVgprs: 37
; ScratchSize: 0
; MemoryBound: 0
; FloatMode: 240
; IeeeMode: 1
; LDSByteSize: 0 bytes/workgroup (compile time only)
; SGPRBlocks: 2
; VGPRBlocks: 4
; NumSGPRsForWavesPerEU: 22
; NumVGPRsForWavesPerEU: 37
; Occupancy: 16
; WaveLimiterHint : 0
; COMPUTE_PGM_RSRC2:SCRATCH_EN: 0
; COMPUTE_PGM_RSRC2:USER_SGPR: 15
; COMPUTE_PGM_RSRC2:TRAP_HANDLER: 0
; COMPUTE_PGM_RSRC2:TGID_X_EN: 1
; COMPUTE_PGM_RSRC2:TGID_Y_EN: 0
; COMPUTE_PGM_RSRC2:TGID_Z_EN: 0
; COMPUTE_PGM_RSRC2:TIDIG_COMP_CNT: 0
	.section	.text._ZN2at6native12_GLOBAL__N_125multi_tensor_apply_kernelINS1_18TensorListMetadataILi2EEENS1_11CopyFunctorIN3c1011Float8_e5m2ENS6_4HalfELi2ELi1ELi1EEEJNS0_4CopyIS7_S8_EEEEEvT_T0_DpT1_,"axG",@progbits,_ZN2at6native12_GLOBAL__N_125multi_tensor_apply_kernelINS1_18TensorListMetadataILi2EEENS1_11CopyFunctorIN3c1011Float8_e5m2ENS6_4HalfELi2ELi1ELi1EEEJNS0_4CopyIS7_S8_EEEEEvT_T0_DpT1_,comdat
	.globl	_ZN2at6native12_GLOBAL__N_125multi_tensor_apply_kernelINS1_18TensorListMetadataILi2EEENS1_11CopyFunctorIN3c1011Float8_e5m2ENS6_4HalfELi2ELi1ELi1EEEJNS0_4CopyIS7_S8_EEEEEvT_T0_DpT1_ ; -- Begin function _ZN2at6native12_GLOBAL__N_125multi_tensor_apply_kernelINS1_18TensorListMetadataILi2EEENS1_11CopyFunctorIN3c1011Float8_e5m2ENS6_4HalfELi2ELi1ELi1EEEJNS0_4CopyIS7_S8_EEEEEvT_T0_DpT1_
	.p2align	8
	.type	_ZN2at6native12_GLOBAL__N_125multi_tensor_apply_kernelINS1_18TensorListMetadataILi2EEENS1_11CopyFunctorIN3c1011Float8_e5m2ENS6_4HalfELi2ELi1ELi1EEEJNS0_4CopyIS7_S8_EEEEEvT_T0_DpT1_,@function
_ZN2at6native12_GLOBAL__N_125multi_tensor_apply_kernelINS1_18TensorListMetadataILi2EEENS1_11CopyFunctorIN3c1011Float8_e5m2ENS6_4HalfELi2ELi1ELi1EEEJNS0_4CopyIS7_S8_EEEEEvT_T0_DpT1_: ; @_ZN2at6native12_GLOBAL__N_125multi_tensor_apply_kernelINS1_18TensorListMetadataILi2EEENS1_11CopyFunctorIN3c1011Float8_e5m2ENS6_4HalfELi2ELi1ELi1EEEJNS0_4CopyIS7_S8_EEEEEvT_T0_DpT1_
; %bb.0:
	v_mov_b32_e32 v1, s15
	s_add_u32 s2, s0, s15
	s_mul_i32 s4, s15, 3
	s_addc_u32 s3, s1, 0
	s_mul_hi_u32 s5, s15, 3
	global_load_u8 v1, v1, s[0:1] offset:1536
	s_add_u32 s2, s2, s4
	s_addc_u32 s3, s3, s5
	s_mov_b32 s17, 0
	s_load_b32 s10, s[2:3], 0x740
	s_waitcnt lgkmcnt(0)
	s_ashr_i32 s11, s10, 31
	s_delay_alu instid0(SALU_CYCLE_1) | instskip(SKIP_2) | instid1(VALU_DEP_1)
	s_lshl_b64 s[8:9], s[10:11], 16
	s_waitcnt vmcnt(0)
	v_readfirstlane_b32 s4, v1
	s_lshl_b32 s4, s4, 3
	s_clause 0x2
	s_load_b64 s[6:7], s[0:1], s4 offset:0x200
	s_load_b64 s[2:3], s[0:1], s4 offset:0x400
	s_load_b64 s[12:13], s[0:1], s4 offset:0x0
	s_waitcnt lgkmcnt(0)
	s_add_u32 s14, s6, s8
	s_addc_u32 s15, s7, s9
	s_delay_alu instid0(SALU_CYCLE_1) | instskip(SKIP_2) | instid1(SALU_CYCLE_1)
	s_or_b64 s[4:5], s[2:3], s[14:15]
	s_and_b32 s5, s12, 7
	s_and_b32 s4, s4, 3
	s_or_b32 s16, s4, s5
	s_sub_u32 s4, s2, s8
	s_subb_u32 s5, s3, s9
	s_cmp_eq_u64 s[16:17], 0
	s_mov_b32 s2, -1
	s_cbranch_scc0 .LBB389_37
; %bb.1:
	v_dual_mov_b32 v2, 0 :: v_dual_lshlrev_b32 v1, 2, v0
	s_mov_b32 s3, exec_lo
	s_delay_alu instid0(VALU_DEP_1)
	v_cmpx_gt_i64_e64 s[4:5], v[1:2]
	s_cbranch_execz .LBB389_36
; %bb.2:
	s_load_b32 s2, s[0:1], 0xc5c
	v_lshlrev_b32_e32 v3, 3, v0
	s_lshl_b64 s[18:19], s[10:11], 17
	v_mov_b32_e32 v7, 0x7f
	s_waitcnt lgkmcnt(0)
	s_and_b32 s2, s2, 0xffff
	s_delay_alu instid0(SALU_CYCLE_1) | instskip(SKIP_3) | instid1(VALU_DEP_1)
	s_lshl_b32 s16, s2, 2
	s_add_u32 s17, s12, s18
	s_addc_u32 s18, s13, s19
	v_add_co_u32 v3, s17, s17, v3
	v_add_co_ci_u32_e64 v4, null, s18, 0, s17
	s_mov_b32 s17, 0
	s_lshl_b32 s18, s2, 3
	s_branch .LBB389_4
.LBB389_3:                              ;   in Loop: Header=BB389_4 Depth=1
	s_or_b32 exec_lo, exec_lo, s2
	v_lshrrev_b32_e32 v12, 24, v12
	v_lshrrev_b32_e32 v10, 24, v10
	;; [unrolled: 1-line block ×3, first 2 shown]
	v_add_co_u32 v9, vcc_lo, s14, v1
	s_delay_alu instid0(VALU_DEP_4) | instskip(NEXT) | instid1(VALU_DEP_4)
	v_and_b32_e32 v12, 0x80, v12
	v_and_b32_e32 v15, 0x80, v10
	v_add_co_ci_u32_e32 v10, vcc_lo, s15, v2, vcc_lo
	v_add_co_u32 v1, vcc_lo, s16, v1
	s_delay_alu instid0(VALU_DEP_4)
	v_and_or_b32 v11, 0xff, v11, v12
	v_add_co_ci_u32_e32 v2, vcc_lo, 0, v2, vcc_lo
	v_lshlrev_b32_e32 v13, 24, v13
	v_and_or_b32 v5, 0xff, v5, v15
	v_and_b32_e32 v6, 0x80000000, v6
	v_and_b32_e32 v8, 0xff, v8
	v_lshlrev_b32_e32 v11, 16, v11
	v_cmp_le_i64_e32 vcc_lo, s[4:5], v[1:2]
	v_cmp_lt_u64_e64 s2, 0xffff, v[1:2]
	v_lshlrev_b32_e32 v5, 8, v5
	v_and_or_b32 v8, 0x80, v14, v8
	v_or3_b32 v6, v6, v13, v11
	s_delay_alu instid0(VALU_DEP_4) | instskip(SKIP_1) | instid1(VALU_DEP_2)
	s_or_b32 s2, vcc_lo, s2
	v_add_co_u32 v3, vcc_lo, v3, s18
	v_or3_b32 v5, v6, v5, v8
	v_add_co_ci_u32_e32 v4, vcc_lo, 0, v4, vcc_lo
	s_and_b32 s2, exec_lo, s2
	s_delay_alu instid0(SALU_CYCLE_1)
	s_or_b32 s17, s2, s17
	global_store_b32 v[9:10], v5, off
	s_and_not1_b32 exec_lo, exec_lo, s17
	s_cbranch_execz .LBB389_36
.LBB389_4:                              ; =>This Inner Loop Header: Depth=1
	global_load_b64 v[5:6], v[3:4], off
	s_mov_b32 s2, exec_lo
                                        ; implicit-def: $vgpr8
	s_waitcnt vmcnt(0)
	v_cvt_f32_f16_e32 v9, v5
	s_delay_alu instid0(VALU_DEP_1) | instskip(NEXT) | instid1(VALU_DEP_1)
	v_and_b32_e32 v10, 0x7fffffff, v9
	v_cmpx_gt_u32_e32 0x47800000, v10
	s_xor_b32 s2, exec_lo, s2
	s_cbranch_execz .LBB389_10
; %bb.5:                                ;   in Loop: Header=BB389_4 Depth=1
	s_mov_b32 s19, exec_lo
                                        ; implicit-def: $vgpr8
	v_cmpx_lt_u32_e32 0x387fffff, v10
	s_xor_b32 s19, exec_lo, s19
; %bb.6:                                ;   in Loop: Header=BB389_4 Depth=1
	v_bfe_u32 v8, v9, 21, 1
	s_delay_alu instid0(VALU_DEP_1) | instskip(NEXT) | instid1(VALU_DEP_1)
	v_add3_u32 v8, v9, v8, 0x80fffff
	v_lshrrev_b32_e32 v8, 21, v8
; %bb.7:                                ;   in Loop: Header=BB389_4 Depth=1
	s_and_not1_saveexec_b32 s19, s19
; %bb.8:                                ;   in Loop: Header=BB389_4 Depth=1
	v_add_f32_e64 v8, 0x43000000, |v9|
; %bb.9:                                ;   in Loop: Header=BB389_4 Depth=1
	s_or_b32 exec_lo, exec_lo, s19
                                        ; implicit-def: $vgpr10
.LBB389_10:                             ;   in Loop: Header=BB389_4 Depth=1
	s_and_not1_saveexec_b32 s2, s2
; %bb.11:                               ;   in Loop: Header=BB389_4 Depth=1
	v_cmp_lt_u32_e32 vcc_lo, 0x7f800000, v10
	v_cndmask_b32_e32 v8, 0x7c, v7, vcc_lo
; %bb.12:                               ;   in Loop: Header=BB389_4 Depth=1
	s_or_b32 exec_lo, exec_lo, s2
	v_lshrrev_b32_e32 v5, 16, v5
	s_mov_b32 s2, exec_lo
	s_delay_alu instid0(VALU_DEP_1) | instskip(NEXT) | instid1(VALU_DEP_1)
	v_cvt_f32_f16_e32 v10, v5
                                        ; implicit-def: $vgpr5
	v_and_b32_e32 v11, 0x7fffffff, v10
	s_delay_alu instid0(VALU_DEP_1)
	v_cmpx_gt_u32_e32 0x47800000, v11
	s_xor_b32 s2, exec_lo, s2
	s_cbranch_execz .LBB389_18
; %bb.13:                               ;   in Loop: Header=BB389_4 Depth=1
	s_mov_b32 s19, exec_lo
                                        ; implicit-def: $vgpr5
	v_cmpx_lt_u32_e32 0x387fffff, v11
	s_xor_b32 s19, exec_lo, s19
; %bb.14:                               ;   in Loop: Header=BB389_4 Depth=1
	v_bfe_u32 v5, v10, 21, 1
	s_delay_alu instid0(VALU_DEP_1) | instskip(NEXT) | instid1(VALU_DEP_1)
	v_add3_u32 v5, v10, v5, 0x80fffff
	v_lshrrev_b32_e32 v5, 21, v5
; %bb.15:                               ;   in Loop: Header=BB389_4 Depth=1
	s_and_not1_saveexec_b32 s19, s19
; %bb.16:                               ;   in Loop: Header=BB389_4 Depth=1
	v_add_f32_e64 v5, 0x43000000, |v10|
; %bb.17:                               ;   in Loop: Header=BB389_4 Depth=1
	s_or_b32 exec_lo, exec_lo, s19
                                        ; implicit-def: $vgpr11
.LBB389_18:                             ;   in Loop: Header=BB389_4 Depth=1
	s_and_not1_saveexec_b32 s2, s2
; %bb.19:                               ;   in Loop: Header=BB389_4 Depth=1
	v_cmp_lt_u32_e32 vcc_lo, 0x7f800000, v11
	v_cndmask_b32_e32 v5, 0x7c, v7, vcc_lo
; %bb.20:                               ;   in Loop: Header=BB389_4 Depth=1
	s_or_b32 exec_lo, exec_lo, s2
	v_cvt_f32_f16_e32 v12, v6
	s_mov_b32 s2, exec_lo
                                        ; implicit-def: $vgpr11
	s_delay_alu instid0(VALU_DEP_1) | instskip(NEXT) | instid1(VALU_DEP_1)
	v_and_b32_e32 v13, 0x7fffffff, v12
	v_cmpx_gt_u32_e32 0x47800000, v13
	s_xor_b32 s2, exec_lo, s2
	s_cbranch_execz .LBB389_26
; %bb.21:                               ;   in Loop: Header=BB389_4 Depth=1
	s_mov_b32 s19, exec_lo
                                        ; implicit-def: $vgpr11
	v_cmpx_lt_u32_e32 0x387fffff, v13
	s_xor_b32 s19, exec_lo, s19
; %bb.22:                               ;   in Loop: Header=BB389_4 Depth=1
	v_bfe_u32 v11, v12, 21, 1
	s_delay_alu instid0(VALU_DEP_1) | instskip(NEXT) | instid1(VALU_DEP_1)
	v_add3_u32 v11, v12, v11, 0x80fffff
	v_lshrrev_b32_e32 v11, 21, v11
; %bb.23:                               ;   in Loop: Header=BB389_4 Depth=1
	s_and_not1_saveexec_b32 s19, s19
; %bb.24:                               ;   in Loop: Header=BB389_4 Depth=1
	v_add_f32_e64 v11, 0x43000000, |v12|
; %bb.25:                               ;   in Loop: Header=BB389_4 Depth=1
	s_or_b32 exec_lo, exec_lo, s19
                                        ; implicit-def: $vgpr13
.LBB389_26:                             ;   in Loop: Header=BB389_4 Depth=1
	s_and_not1_saveexec_b32 s2, s2
; %bb.27:                               ;   in Loop: Header=BB389_4 Depth=1
	v_cmp_lt_u32_e32 vcc_lo, 0x7f800000, v13
	v_cndmask_b32_e32 v11, 0x7c, v7, vcc_lo
; %bb.28:                               ;   in Loop: Header=BB389_4 Depth=1
	s_or_b32 exec_lo, exec_lo, s2
	v_lshrrev_b32_e32 v6, 16, v6
	s_mov_b32 s2, exec_lo
                                        ; implicit-def: $vgpr13
	s_delay_alu instid0(VALU_DEP_1) | instskip(NEXT) | instid1(VALU_DEP_1)
	v_cvt_f32_f16_e32 v6, v6
	v_and_b32_e32 v14, 0x7fffffff, v6
	s_delay_alu instid0(VALU_DEP_1)
	v_cmpx_gt_u32_e32 0x47800000, v14
	s_xor_b32 s2, exec_lo, s2
	s_cbranch_execz .LBB389_34
; %bb.29:                               ;   in Loop: Header=BB389_4 Depth=1
	s_mov_b32 s19, exec_lo
                                        ; implicit-def: $vgpr13
	v_cmpx_lt_u32_e32 0x387fffff, v14
	s_xor_b32 s19, exec_lo, s19
; %bb.30:                               ;   in Loop: Header=BB389_4 Depth=1
	v_bfe_u32 v13, v6, 21, 1
	s_delay_alu instid0(VALU_DEP_1) | instskip(NEXT) | instid1(VALU_DEP_1)
	v_add3_u32 v13, v6, v13, 0x80fffff
	v_lshrrev_b32_e32 v13, 21, v13
; %bb.31:                               ;   in Loop: Header=BB389_4 Depth=1
	s_and_not1_saveexec_b32 s19, s19
; %bb.32:                               ;   in Loop: Header=BB389_4 Depth=1
	v_add_f32_e64 v13, 0x43000000, |v6|
; %bb.33:                               ;   in Loop: Header=BB389_4 Depth=1
	s_or_b32 exec_lo, exec_lo, s19
                                        ; implicit-def: $vgpr14
.LBB389_34:                             ;   in Loop: Header=BB389_4 Depth=1
	s_and_not1_saveexec_b32 s2, s2
	s_cbranch_execz .LBB389_3
; %bb.35:                               ;   in Loop: Header=BB389_4 Depth=1
	v_cmp_lt_u32_e32 vcc_lo, 0x7f800000, v14
	v_cndmask_b32_e32 v13, 0x7c, v7, vcc_lo
	s_branch .LBB389_3
.LBB389_36:
	s_or_b32 exec_lo, exec_lo, s3
	s_mov_b32 s2, 0
.LBB389_37:
	s_delay_alu instid0(SALU_CYCLE_1)
	s_and_not1_b32 vcc_lo, exec_lo, s2
	s_cbranch_vccnz .LBB389_89
; %bb.38:
	v_cmp_lt_i64_e64 s2, s[4:5], 1
	s_delay_alu instid0(VALU_DEP_1)
	s_and_b32 vcc_lo, exec_lo, s2
	s_cbranch_vccnz .LBB389_89
; %bb.39:
	s_load_b32 s0, s[0:1], 0xc5c
	v_cmp_gt_u64_e64 s1, 0x10000, s[4:5]
	v_add_co_u32 v5, s2, s8, v0
	v_lshlrev_b32_e32 v1, 1, v0
	v_add_co_ci_u32_e64 v6, null, s9, 0, s2
	s_delay_alu instid0(VALU_DEP_3) | instskip(SKIP_1) | instid1(VALU_DEP_3)
	v_add_co_u32 v13, vcc_lo, s6, v5
	v_mov_b32_e32 v27, 0x7f
	v_add_co_ci_u32_e32 v14, vcc_lo, s7, v6, vcc_lo
                                        ; implicit-def: $vgpr30
                                        ; implicit-def: $vgpr31
                                        ; implicit-def: $vgpr28
                                        ; implicit-def: $vgpr29
	s_waitcnt lgkmcnt(0)
	s_and_b32 s0, s0, 0xffff
	s_and_b32 s1, s1, exec_lo
	s_cselect_b32 s3, s5, 0
	s_cselect_b32 s2, s4, 0x10000
	s_lshl_b64 s[10:11], s[10:11], 17
	s_lshl_b32 s14, s0, 1
	s_lshl_b32 s1, s0, 2
	s_add_u32 s12, s12, s10
	s_mul_i32 s15, s0, 3
	s_addc_u32 s11, s13, s11
	s_lshl_b32 s10, s0, 3
	v_add_co_u32 v1, s16, s12, v1
	s_add_u32 s13, s8, s15
	v_add_co_ci_u32_e64 v2, null, s11, 0, s16
	s_addc_u32 s16, s9, 0
	s_add_u32 s13, s6, s13
	s_addc_u32 s16, s7, s16
	v_add_co_u32 v15, s13, s13, v0
	s_delay_alu instid0(VALU_DEP_1) | instskip(SKIP_1) | instid1(VALU_DEP_1)
	v_add_co_ci_u32_e64 v16, null, s16, 0, s13
	v_add_co_u32 v17, s13, s15, v0
	v_add_co_ci_u32_e64 v18, null, 0, 0, s13
	v_add_co_u32 v19, s13, v0, s0
	s_add_u32 s8, s8, s14
	s_addc_u32 s9, s9, 0
	s_add_u32 s8, s6, s8
	s_delay_alu instid0(VALU_DEP_1) | instskip(SKIP_2) | instid1(VALU_DEP_1)
	v_lshlrev_b32_e32 v3, 1, v19
	s_addc_u32 s9, s7, s9
	v_add_co_u32 v20, s8, s8, v0
	v_add_co_ci_u32_e64 v21, null, s9, 0, s8
	v_add_co_u32 v23, s8, s14, v0
	s_add_u32 s6, s6, s0
	v_add_co_ci_u32_e64 v24, null, 0, 0, s8
	v_add_co_u32 v3, s8, s12, v3
	s_addc_u32 s7, s7, 0
	v_add_co_u32 v25, vcc_lo, s6, v5
	v_add_co_ci_u32_e64 v22, null, 0, 0, s13
	v_add_co_ci_u32_e64 v4, null, s11, 0, s8
	v_add_co_ci_u32_e32 v26, vcc_lo, s7, v6, vcc_lo
	s_mul_i32 s8, s0, 6
	s_mov_b64 s[6:7], 0
	s_branch .LBB389_41
.LBB389_40:                             ;   in Loop: Header=BB389_41 Depth=1
	s_or_b32 exec_lo, exec_lo, s0
	s_add_u32 s6, s6, s1
	s_addc_u32 s7, s7, 0
	v_add_co_u32 v1, vcc_lo, v1, s10
	v_cmp_ge_i64_e64 s0, s[6:7], s[4:5]
	v_cmp_lt_u64_e64 s9, 0xffff, s[6:7]
	v_add_co_ci_u32_e32 v2, vcc_lo, 0, v2, vcc_lo
	v_add_co_u32 v3, vcc_lo, v3, s10
	v_add_co_ci_u32_e32 v4, vcc_lo, 0, v4, vcc_lo
	s_delay_alu instid0(VALU_DEP_4) | instskip(NEXT) | instid1(SALU_CYCLE_1)
	s_or_b32 s0, s0, s9
	s_and_b32 vcc_lo, exec_lo, s0
	s_cbranch_vccnz .LBB389_89
.LBB389_41:                             ; =>This Inner Loop Header: Depth=1
	v_add_co_u32 v5, s0, v0, s6
	s_delay_alu instid0(VALU_DEP_1) | instskip(NEXT) | instid1(VALU_DEP_1)
	v_add_co_ci_u32_e64 v6, null, 0, s7, s0
	v_cmp_gt_i64_e32 vcc_lo, s[4:5], v[5:6]
	v_cmp_gt_u64_e64 s0, 0x10000, v[5:6]
	s_delay_alu instid0(VALU_DEP_1) | instskip(NEXT) | instid1(SALU_CYCLE_1)
	s_and_b32 s9, vcc_lo, s0
	s_and_saveexec_b32 s0, s9
	s_cbranch_execz .LBB389_43
; %bb.42:                               ;   in Loop: Header=BB389_41 Depth=1
	global_load_u16 v29, v[1:2], off
.LBB389_43:                             ;   in Loop: Header=BB389_41 Depth=1
	s_or_b32 exec_lo, exec_lo, s0
	v_add_co_u32 v7, vcc_lo, v19, s6
	v_add_co_ci_u32_e32 v8, vcc_lo, s7, v22, vcc_lo
	s_delay_alu instid0(VALU_DEP_1) | instskip(SKIP_1) | instid1(VALU_DEP_1)
	v_cmp_gt_i64_e32 vcc_lo, s[4:5], v[7:8]
	v_cmp_gt_u64_e64 s0, 0x10000, v[7:8]
	s_and_b32 s9, vcc_lo, s0
	s_delay_alu instid0(SALU_CYCLE_1)
	s_and_saveexec_b32 s0, s9
	s_cbranch_execz .LBB389_45
; %bb.44:                               ;   in Loop: Header=BB389_41 Depth=1
	global_load_u16 v28, v[3:4], off
.LBB389_45:                             ;   in Loop: Header=BB389_41 Depth=1
	s_or_b32 exec_lo, exec_lo, s0
	v_add_co_u32 v9, vcc_lo, v23, s6
	v_add_co_ci_u32_e32 v10, vcc_lo, s7, v24, vcc_lo
	s_delay_alu instid0(VALU_DEP_1) | instskip(SKIP_1) | instid1(VALU_DEP_1)
	v_cmp_gt_i64_e32 vcc_lo, s[4:5], v[9:10]
	v_cmp_gt_u64_e64 s0, 0x10000, v[9:10]
	s_and_b32 s9, vcc_lo, s0
	s_delay_alu instid0(SALU_CYCLE_1)
	s_and_saveexec_b32 s0, s9
	s_cbranch_execz .LBB389_47
; %bb.46:                               ;   in Loop: Header=BB389_41 Depth=1
	v_add_co_u32 v11, vcc_lo, v1, s1
	v_add_co_ci_u32_e32 v12, vcc_lo, 0, v2, vcc_lo
	global_load_u16 v31, v[11:12], off
.LBB389_47:                             ;   in Loop: Header=BB389_41 Depth=1
	s_or_b32 exec_lo, exec_lo, s0
	v_add_co_u32 v11, vcc_lo, v17, s6
	v_add_co_ci_u32_e32 v12, vcc_lo, s7, v18, vcc_lo
	s_delay_alu instid0(VALU_DEP_1) | instskip(SKIP_1) | instid1(VALU_DEP_1)
	v_cmp_gt_i64_e32 vcc_lo, s[4:5], v[11:12]
	v_cmp_gt_u64_e64 s0, 0x10000, v[11:12]
	s_and_b32 s9, vcc_lo, s0
	s_delay_alu instid0(SALU_CYCLE_1)
	s_and_saveexec_b32 s0, s9
	s_cbranch_execz .LBB389_49
; %bb.48:                               ;   in Loop: Header=BB389_41 Depth=1
	v_add_co_u32 v32, vcc_lo, v1, s8
	v_add_co_ci_u32_e32 v33, vcc_lo, 0, v2, vcc_lo
	global_load_u16 v30, v[32:33], off
.LBB389_49:                             ;   in Loop: Header=BB389_41 Depth=1
	s_or_b32 exec_lo, exec_lo, s0
	s_waitcnt vmcnt(0)
	v_cvt_f32_f16_e32 v32, v29
	s_mov_b32 s0, exec_lo
                                        ; implicit-def: $vgpr33
	s_delay_alu instid0(VALU_DEP_1) | instskip(NEXT) | instid1(VALU_DEP_1)
	v_and_b32_e32 v34, 0x7fffffff, v32
	v_cmpx_gt_u32_e32 0x47800000, v34
	s_xor_b32 s0, exec_lo, s0
	s_cbranch_execz .LBB389_55
; %bb.50:                               ;   in Loop: Header=BB389_41 Depth=1
	s_mov_b32 s9, exec_lo
                                        ; implicit-def: $vgpr33
	v_cmpx_lt_u32_e32 0x387fffff, v34
	s_xor_b32 s9, exec_lo, s9
; %bb.51:                               ;   in Loop: Header=BB389_41 Depth=1
	v_bfe_u32 v33, v32, 21, 1
	s_delay_alu instid0(VALU_DEP_1) | instskip(NEXT) | instid1(VALU_DEP_1)
	v_add3_u32 v33, v32, v33, 0x80fffff
	v_lshrrev_b32_e32 v33, 21, v33
; %bb.52:                               ;   in Loop: Header=BB389_41 Depth=1
	s_and_not1_saveexec_b32 s9, s9
; %bb.53:                               ;   in Loop: Header=BB389_41 Depth=1
	v_add_f32_e64 v33, 0x43000000, |v32|
; %bb.54:                               ;   in Loop: Header=BB389_41 Depth=1
	s_or_b32 exec_lo, exec_lo, s9
                                        ; implicit-def: $vgpr34
.LBB389_55:                             ;   in Loop: Header=BB389_41 Depth=1
	s_and_not1_saveexec_b32 s0, s0
; %bb.56:                               ;   in Loop: Header=BB389_41 Depth=1
	v_cmp_lt_u32_e32 vcc_lo, 0x7f800000, v34
	v_cndmask_b32_e32 v33, 0x7c, v27, vcc_lo
; %bb.57:                               ;   in Loop: Header=BB389_41 Depth=1
	s_or_b32 exec_lo, exec_lo, s0
	v_cvt_f32_f16_e32 v34, v28
	s_mov_b32 s0, exec_lo
                                        ; implicit-def: $vgpr35
	s_delay_alu instid0(VALU_DEP_1) | instskip(NEXT) | instid1(VALU_DEP_1)
	v_and_b32_e32 v36, 0x7fffffff, v34
	v_cmpx_gt_u32_e32 0x47800000, v36
	s_xor_b32 s0, exec_lo, s0
	s_cbranch_execz .LBB389_63
; %bb.58:                               ;   in Loop: Header=BB389_41 Depth=1
	s_mov_b32 s9, exec_lo
                                        ; implicit-def: $vgpr35
	v_cmpx_lt_u32_e32 0x387fffff, v36
	s_xor_b32 s9, exec_lo, s9
; %bb.59:                               ;   in Loop: Header=BB389_41 Depth=1
	v_bfe_u32 v35, v34, 21, 1
	s_delay_alu instid0(VALU_DEP_1) | instskip(NEXT) | instid1(VALU_DEP_1)
	v_add3_u32 v35, v34, v35, 0x80fffff
	v_lshrrev_b32_e32 v35, 21, v35
; %bb.60:                               ;   in Loop: Header=BB389_41 Depth=1
	s_and_not1_saveexec_b32 s9, s9
; %bb.61:                               ;   in Loop: Header=BB389_41 Depth=1
	v_add_f32_e64 v35, 0x43000000, |v34|
; %bb.62:                               ;   in Loop: Header=BB389_41 Depth=1
	s_or_b32 exec_lo, exec_lo, s9
                                        ; implicit-def: $vgpr36
.LBB389_63:                             ;   in Loop: Header=BB389_41 Depth=1
	s_and_not1_saveexec_b32 s0, s0
; %bb.64:                               ;   in Loop: Header=BB389_41 Depth=1
	v_cmp_lt_u32_e32 vcc_lo, 0x7f800000, v36
	v_cndmask_b32_e32 v35, 0x7c, v27, vcc_lo
; %bb.65:                               ;   in Loop: Header=BB389_41 Depth=1
	s_or_b32 exec_lo, exec_lo, s0
	v_cvt_f32_f16_e32 v36, v31
	s_mov_b32 s0, exec_lo
                                        ; implicit-def: $vgpr37
	s_delay_alu instid0(VALU_DEP_1) | instskip(NEXT) | instid1(VALU_DEP_1)
	v_and_b32_e32 v38, 0x7fffffff, v36
	v_cmpx_gt_u32_e32 0x47800000, v38
	s_xor_b32 s0, exec_lo, s0
	s_cbranch_execz .LBB389_71
; %bb.66:                               ;   in Loop: Header=BB389_41 Depth=1
	s_mov_b32 s9, exec_lo
                                        ; implicit-def: $vgpr37
	v_cmpx_lt_u32_e32 0x387fffff, v38
	s_xor_b32 s9, exec_lo, s9
; %bb.67:                               ;   in Loop: Header=BB389_41 Depth=1
	v_bfe_u32 v37, v36, 21, 1
	s_delay_alu instid0(VALU_DEP_1) | instskip(NEXT) | instid1(VALU_DEP_1)
	v_add3_u32 v37, v36, v37, 0x80fffff
	v_lshrrev_b32_e32 v37, 21, v37
; %bb.68:                               ;   in Loop: Header=BB389_41 Depth=1
	s_and_not1_saveexec_b32 s9, s9
; %bb.69:                               ;   in Loop: Header=BB389_41 Depth=1
	v_add_f32_e64 v37, 0x43000000, |v36|
; %bb.70:                               ;   in Loop: Header=BB389_41 Depth=1
	s_or_b32 exec_lo, exec_lo, s9
                                        ; implicit-def: $vgpr38
.LBB389_71:                             ;   in Loop: Header=BB389_41 Depth=1
	s_and_not1_saveexec_b32 s0, s0
; %bb.72:                               ;   in Loop: Header=BB389_41 Depth=1
	v_cmp_lt_u32_e32 vcc_lo, 0x7f800000, v38
	v_cndmask_b32_e32 v37, 0x7c, v27, vcc_lo
; %bb.73:                               ;   in Loop: Header=BB389_41 Depth=1
	s_or_b32 exec_lo, exec_lo, s0
	v_cvt_f32_f16_e32 v38, v30
	s_mov_b32 s0, exec_lo
                                        ; implicit-def: $vgpr39
	s_delay_alu instid0(VALU_DEP_1) | instskip(NEXT) | instid1(VALU_DEP_1)
	v_and_b32_e32 v40, 0x7fffffff, v38
	v_cmpx_gt_u32_e32 0x47800000, v40
	s_xor_b32 s0, exec_lo, s0
	s_cbranch_execz .LBB389_79
; %bb.74:                               ;   in Loop: Header=BB389_41 Depth=1
	s_mov_b32 s9, exec_lo
                                        ; implicit-def: $vgpr39
	v_cmpx_lt_u32_e32 0x387fffff, v40
	s_xor_b32 s9, exec_lo, s9
; %bb.75:                               ;   in Loop: Header=BB389_41 Depth=1
	v_bfe_u32 v39, v38, 21, 1
	s_delay_alu instid0(VALU_DEP_1) | instskip(NEXT) | instid1(VALU_DEP_1)
	v_add3_u32 v39, v38, v39, 0x80fffff
	v_lshrrev_b32_e32 v39, 21, v39
; %bb.76:                               ;   in Loop: Header=BB389_41 Depth=1
	s_and_not1_saveexec_b32 s9, s9
; %bb.77:                               ;   in Loop: Header=BB389_41 Depth=1
	v_add_f32_e64 v39, 0x43000000, |v38|
; %bb.78:                               ;   in Loop: Header=BB389_41 Depth=1
	s_or_b32 exec_lo, exec_lo, s9
                                        ; implicit-def: $vgpr40
.LBB389_79:                             ;   in Loop: Header=BB389_41 Depth=1
	s_and_not1_saveexec_b32 s0, s0
; %bb.80:                               ;   in Loop: Header=BB389_41 Depth=1
	v_cmp_lt_u32_e32 vcc_lo, 0x7f800000, v40
	v_cndmask_b32_e32 v39, 0x7c, v27, vcc_lo
; %bb.81:                               ;   in Loop: Header=BB389_41 Depth=1
	s_or_b32 exec_lo, exec_lo, s0
	s_delay_alu instid0(SALU_CYCLE_1)
	s_mov_b32 s0, exec_lo
	v_cmpx_gt_u64_e64 s[2:3], v[5:6]
	s_xor_b32 s0, exec_lo, s0
	s_cbranch_execnz .LBB389_85
; %bb.82:                               ;   in Loop: Header=BB389_41 Depth=1
	s_or_b32 exec_lo, exec_lo, s0
	s_delay_alu instid0(SALU_CYCLE_1)
	s_mov_b32 s0, exec_lo
	v_cmpx_gt_u64_e64 s[2:3], v[7:8]
	s_cbranch_execnz .LBB389_86
.LBB389_83:                             ;   in Loop: Header=BB389_41 Depth=1
	s_or_b32 exec_lo, exec_lo, s0
	s_delay_alu instid0(SALU_CYCLE_1)
	s_mov_b32 s0, exec_lo
	v_cmpx_gt_u64_e64 s[2:3], v[9:10]
	s_cbranch_execnz .LBB389_87
.LBB389_84:                             ;   in Loop: Header=BB389_41 Depth=1
	s_or_b32 exec_lo, exec_lo, s0
	s_delay_alu instid0(SALU_CYCLE_1)
	s_mov_b32 s0, exec_lo
	v_cmpx_gt_u64_e64 s[2:3], v[11:12]
	s_cbranch_execz .LBB389_40
	s_branch .LBB389_88
.LBB389_85:                             ;   in Loop: Header=BB389_41 Depth=1
	v_lshrrev_b32_e32 v5, 24, v32
	s_delay_alu instid0(VALU_DEP_1) | instskip(SKIP_4) | instid1(SALU_CYCLE_1)
	v_and_or_b32 v32, 0x80, v5, v33
	v_add_co_u32 v5, vcc_lo, v13, s6
	v_add_co_ci_u32_e32 v6, vcc_lo, s7, v14, vcc_lo
	global_store_b8 v[5:6], v32, off
	s_or_b32 exec_lo, exec_lo, s0
	s_mov_b32 s0, exec_lo
	v_cmpx_gt_u64_e64 s[2:3], v[7:8]
	s_cbranch_execz .LBB389_83
.LBB389_86:                             ;   in Loop: Header=BB389_41 Depth=1
	v_lshrrev_b32_e32 v5, 24, v34
	s_delay_alu instid0(VALU_DEP_1) | instskip(SKIP_4) | instid1(SALU_CYCLE_1)
	v_and_or_b32 v7, 0x80, v5, v35
	v_add_co_u32 v5, vcc_lo, v25, s6
	v_add_co_ci_u32_e32 v6, vcc_lo, s7, v26, vcc_lo
	global_store_b8 v[5:6], v7, off
	s_or_b32 exec_lo, exec_lo, s0
	s_mov_b32 s0, exec_lo
	v_cmpx_gt_u64_e64 s[2:3], v[9:10]
	s_cbranch_execz .LBB389_84
.LBB389_87:                             ;   in Loop: Header=BB389_41 Depth=1
	v_lshrrev_b32_e32 v5, 24, v36
	s_delay_alu instid0(VALU_DEP_1) | instskip(SKIP_4) | instid1(SALU_CYCLE_1)
	v_and_or_b32 v7, 0x80, v5, v37
	v_add_co_u32 v5, vcc_lo, v20, s6
	v_add_co_ci_u32_e32 v6, vcc_lo, s7, v21, vcc_lo
	global_store_b8 v[5:6], v7, off
	s_or_b32 exec_lo, exec_lo, s0
	s_mov_b32 s0, exec_lo
	v_cmpx_gt_u64_e64 s[2:3], v[11:12]
	s_cbranch_execz .LBB389_40
.LBB389_88:                             ;   in Loop: Header=BB389_41 Depth=1
	v_lshrrev_b32_e32 v5, 24, v38
	s_delay_alu instid0(VALU_DEP_1)
	v_and_or_b32 v7, 0x80, v5, v39
	v_add_co_u32 v5, vcc_lo, v15, s6
	v_add_co_ci_u32_e32 v6, vcc_lo, s7, v16, vcc_lo
	global_store_b8 v[5:6], v7, off
	s_branch .LBB389_40
.LBB389_89:
	s_nop 0
	s_sendmsg sendmsg(MSG_DEALLOC_VGPRS)
	s_endpgm
	.section	.rodata,"a",@progbits
	.p2align	6, 0x0
	.amdhsa_kernel _ZN2at6native12_GLOBAL__N_125multi_tensor_apply_kernelINS1_18TensorListMetadataILi2EEENS1_11CopyFunctorIN3c1011Float8_e5m2ENS6_4HalfELi2ELi1ELi1EEEJNS0_4CopyIS7_S8_EEEEEvT_T0_DpT1_
		.amdhsa_group_segment_fixed_size 0
		.amdhsa_private_segment_fixed_size 0
		.amdhsa_kernarg_size 3408
		.amdhsa_user_sgpr_count 15
		.amdhsa_user_sgpr_dispatch_ptr 0
		.amdhsa_user_sgpr_queue_ptr 0
		.amdhsa_user_sgpr_kernarg_segment_ptr 1
		.amdhsa_user_sgpr_dispatch_id 0
		.amdhsa_user_sgpr_private_segment_size 0
		.amdhsa_wavefront_size32 1
		.amdhsa_uses_dynamic_stack 0
		.amdhsa_enable_private_segment 0
		.amdhsa_system_sgpr_workgroup_id_x 1
		.amdhsa_system_sgpr_workgroup_id_y 0
		.amdhsa_system_sgpr_workgroup_id_z 0
		.amdhsa_system_sgpr_workgroup_info 0
		.amdhsa_system_vgpr_workitem_id 0
		.amdhsa_next_free_vgpr 41
		.amdhsa_next_free_sgpr 20
		.amdhsa_reserve_vcc 1
		.amdhsa_float_round_mode_32 0
		.amdhsa_float_round_mode_16_64 0
		.amdhsa_float_denorm_mode_32 3
		.amdhsa_float_denorm_mode_16_64 3
		.amdhsa_dx10_clamp 1
		.amdhsa_ieee_mode 1
		.amdhsa_fp16_overflow 0
		.amdhsa_workgroup_processor_mode 1
		.amdhsa_memory_ordered 1
		.amdhsa_forward_progress 0
		.amdhsa_shared_vgpr_count 0
		.amdhsa_exception_fp_ieee_invalid_op 0
		.amdhsa_exception_fp_denorm_src 0
		.amdhsa_exception_fp_ieee_div_zero 0
		.amdhsa_exception_fp_ieee_overflow 0
		.amdhsa_exception_fp_ieee_underflow 0
		.amdhsa_exception_fp_ieee_inexact 0
		.amdhsa_exception_int_div_zero 0
	.end_amdhsa_kernel
	.section	.text._ZN2at6native12_GLOBAL__N_125multi_tensor_apply_kernelINS1_18TensorListMetadataILi2EEENS1_11CopyFunctorIN3c1011Float8_e5m2ENS6_4HalfELi2ELi1ELi1EEEJNS0_4CopyIS7_S8_EEEEEvT_T0_DpT1_,"axG",@progbits,_ZN2at6native12_GLOBAL__N_125multi_tensor_apply_kernelINS1_18TensorListMetadataILi2EEENS1_11CopyFunctorIN3c1011Float8_e5m2ENS6_4HalfELi2ELi1ELi1EEEJNS0_4CopyIS7_S8_EEEEEvT_T0_DpT1_,comdat
.Lfunc_end389:
	.size	_ZN2at6native12_GLOBAL__N_125multi_tensor_apply_kernelINS1_18TensorListMetadataILi2EEENS1_11CopyFunctorIN3c1011Float8_e5m2ENS6_4HalfELi2ELi1ELi1EEEJNS0_4CopyIS7_S8_EEEEEvT_T0_DpT1_, .Lfunc_end389-_ZN2at6native12_GLOBAL__N_125multi_tensor_apply_kernelINS1_18TensorListMetadataILi2EEENS1_11CopyFunctorIN3c1011Float8_e5m2ENS6_4HalfELi2ELi1ELi1EEEJNS0_4CopyIS7_S8_EEEEEvT_T0_DpT1_
                                        ; -- End function
	.section	.AMDGPU.csdata,"",@progbits
; Kernel info:
; codeLenInByte = 2524
; NumSgprs: 22
; NumVgprs: 41
; ScratchSize: 0
; MemoryBound: 0
; FloatMode: 240
; IeeeMode: 1
; LDSByteSize: 0 bytes/workgroup (compile time only)
; SGPRBlocks: 2
; VGPRBlocks: 5
; NumSGPRsForWavesPerEU: 22
; NumVGPRsForWavesPerEU: 41
; Occupancy: 16
; WaveLimiterHint : 0
; COMPUTE_PGM_RSRC2:SCRATCH_EN: 0
; COMPUTE_PGM_RSRC2:USER_SGPR: 15
; COMPUTE_PGM_RSRC2:TRAP_HANDLER: 0
; COMPUTE_PGM_RSRC2:TGID_X_EN: 1
; COMPUTE_PGM_RSRC2:TGID_Y_EN: 0
; COMPUTE_PGM_RSRC2:TGID_Z_EN: 0
; COMPUTE_PGM_RSRC2:TIDIG_COMP_CNT: 0
	.section	.text._ZN2at6native12_GLOBAL__N_125multi_tensor_apply_kernelINS1_18TensorListMetadataILi2EEENS1_11CopyFunctorIN3c1011Float8_e5m2ENS6_8BFloat16ELi2ELi1ELi1EEEJNS0_4CopyIS7_S8_EEEEEvT_T0_DpT1_,"axG",@progbits,_ZN2at6native12_GLOBAL__N_125multi_tensor_apply_kernelINS1_18TensorListMetadataILi2EEENS1_11CopyFunctorIN3c1011Float8_e5m2ENS6_8BFloat16ELi2ELi1ELi1EEEJNS0_4CopyIS7_S8_EEEEEvT_T0_DpT1_,comdat
	.globl	_ZN2at6native12_GLOBAL__N_125multi_tensor_apply_kernelINS1_18TensorListMetadataILi2EEENS1_11CopyFunctorIN3c1011Float8_e5m2ENS6_8BFloat16ELi2ELi1ELi1EEEJNS0_4CopyIS7_S8_EEEEEvT_T0_DpT1_ ; -- Begin function _ZN2at6native12_GLOBAL__N_125multi_tensor_apply_kernelINS1_18TensorListMetadataILi2EEENS1_11CopyFunctorIN3c1011Float8_e5m2ENS6_8BFloat16ELi2ELi1ELi1EEEJNS0_4CopyIS7_S8_EEEEEvT_T0_DpT1_
	.p2align	8
	.type	_ZN2at6native12_GLOBAL__N_125multi_tensor_apply_kernelINS1_18TensorListMetadataILi2EEENS1_11CopyFunctorIN3c1011Float8_e5m2ENS6_8BFloat16ELi2ELi1ELi1EEEJNS0_4CopyIS7_S8_EEEEEvT_T0_DpT1_,@function
_ZN2at6native12_GLOBAL__N_125multi_tensor_apply_kernelINS1_18TensorListMetadataILi2EEENS1_11CopyFunctorIN3c1011Float8_e5m2ENS6_8BFloat16ELi2ELi1ELi1EEEJNS0_4CopyIS7_S8_EEEEEvT_T0_DpT1_: ; @_ZN2at6native12_GLOBAL__N_125multi_tensor_apply_kernelINS1_18TensorListMetadataILi2EEENS1_11CopyFunctorIN3c1011Float8_e5m2ENS6_8BFloat16ELi2ELi1ELi1EEEJNS0_4CopyIS7_S8_EEEEEvT_T0_DpT1_
; %bb.0:
	v_mov_b32_e32 v1, s15
	s_add_u32 s2, s0, s15
	s_mul_i32 s4, s15, 3
	s_addc_u32 s3, s1, 0
	s_mul_hi_u32 s5, s15, 3
	global_load_u8 v1, v1, s[0:1] offset:1536
	s_add_u32 s2, s2, s4
	s_addc_u32 s3, s3, s5
	s_mov_b32 s17, 0
	s_load_b32 s10, s[2:3], 0x740
	s_waitcnt lgkmcnt(0)
	s_ashr_i32 s11, s10, 31
	s_delay_alu instid0(SALU_CYCLE_1) | instskip(SKIP_2) | instid1(VALU_DEP_1)
	s_lshl_b64 s[8:9], s[10:11], 16
	s_waitcnt vmcnt(0)
	v_readfirstlane_b32 s4, v1
	s_lshl_b32 s4, s4, 3
	s_clause 0x2
	s_load_b64 s[6:7], s[0:1], s4 offset:0x200
	s_load_b64 s[2:3], s[0:1], s4 offset:0x400
	;; [unrolled: 1-line block ×3, first 2 shown]
	s_waitcnt lgkmcnt(0)
	s_add_u32 s14, s6, s8
	s_addc_u32 s15, s7, s9
	s_delay_alu instid0(SALU_CYCLE_1) | instskip(SKIP_2) | instid1(SALU_CYCLE_1)
	s_or_b64 s[4:5], s[2:3], s[14:15]
	s_and_b32 s5, s12, 7
	s_and_b32 s4, s4, 3
	s_or_b32 s16, s4, s5
	s_sub_u32 s4, s2, s8
	s_subb_u32 s5, s3, s9
	s_cmp_eq_u64 s[16:17], 0
	s_mov_b32 s2, -1
	s_cbranch_scc0 .LBB390_37
; %bb.1:
	v_dual_mov_b32 v2, 0 :: v_dual_lshlrev_b32 v1, 2, v0
	s_mov_b32 s3, exec_lo
	s_delay_alu instid0(VALU_DEP_1)
	v_cmpx_gt_i64_e64 s[4:5], v[1:2]
	s_cbranch_execz .LBB390_36
; %bb.2:
	s_load_b32 s2, s[0:1], 0xc5c
	v_lshlrev_b32_e32 v3, 3, v0
	s_lshl_b64 s[16:17], s[10:11], 17
	v_mov_b32_e32 v7, 0x7f
	s_waitcnt lgkmcnt(0)
	s_and_b32 s2, s2, 0xffff
	s_add_u32 s16, s12, s16
	s_addc_u32 s17, s13, s17
	v_add_co_u32 v3, s16, s16, v3
	s_delay_alu instid0(VALU_DEP_1)
	v_add_co_ci_u32_e64 v4, null, s17, 0, s16
	s_mov_b32 s16, 0
	s_lshl_b32 s17, s2, 3
	s_lshl_b32 s18, s2, 2
	s_branch .LBB390_4
.LBB390_3:                              ;   in Loop: Header=BB390_4 Depth=1
	s_or_b32 exec_lo, exec_lo, s2
	v_lshrrev_b32_e32 v6, 8, v6
	v_lshrrev_b32_e32 v13, 24, v5
	v_lshrrev_b32_e32 v14, 8, v5
	v_add_co_u32 v5, vcc_lo, s14, v1
	s_delay_alu instid0(VALU_DEP_4) | instskip(SKIP_3) | instid1(VALU_DEP_4)
	v_and_b32_e32 v15, 0x80, v6
	v_add_co_ci_u32_e32 v6, vcc_lo, s15, v2, vcc_lo
	v_lshrrev_b32_e32 v12, 8, v12
	v_and_b32_e32 v13, 0x80, v13
	v_and_or_b32 v10, 0xff, v10, v15
	v_add_co_u32 v1, vcc_lo, s18, v1
	v_add_co_ci_u32_e32 v2, vcc_lo, 0, v2, vcc_lo
	s_delay_alu instid0(VALU_DEP_4)
	v_and_or_b32 v9, 0xff, v9, v13
	v_and_or_b32 v11, 0x80, v12, v11
	v_and_b32_e32 v8, 0xff, v8
	v_lshlrev_b32_e32 v10, 16, v10
	v_cmp_le_i64_e32 vcc_lo, s[4:5], v[1:2]
	v_cmp_lt_u64_e64 s2, 0xffff, v[1:2]
	v_lshlrev_b32_e32 v9, 8, v9
	v_and_or_b32 v8, 0x80, v14, v8
	v_lshl_or_b32 v10, v11, 24, v10
	s_delay_alu instid0(VALU_DEP_4) | instskip(SKIP_1) | instid1(VALU_DEP_2)
	s_or_b32 s2, vcc_lo, s2
	v_add_co_u32 v3, vcc_lo, v3, s17
	v_or3_b32 v8, v10, v9, v8
	v_add_co_ci_u32_e32 v4, vcc_lo, 0, v4, vcc_lo
	s_and_b32 s2, exec_lo, s2
	s_delay_alu instid0(SALU_CYCLE_1)
	s_or_b32 s16, s2, s16
	global_store_b32 v[5:6], v8, off
	s_and_not1_b32 exec_lo, exec_lo, s16
	s_cbranch_execz .LBB390_36
.LBB390_4:                              ; =>This Inner Loop Header: Depth=1
	global_load_b64 v[5:6], v[3:4], off
	s_mov_b32 s2, exec_lo
                                        ; implicit-def: $vgpr8
	s_waitcnt vmcnt(0)
	v_lshlrev_b32_e32 v9, 16, v5
	s_delay_alu instid0(VALU_DEP_1) | instskip(NEXT) | instid1(VALU_DEP_1)
	v_and_b32_e32 v10, 0x7fffffff, v9
	v_cmpx_gt_u32_e32 0x47800000, v10
	s_xor_b32 s2, exec_lo, s2
	s_cbranch_execz .LBB390_10
; %bb.5:                                ;   in Loop: Header=BB390_4 Depth=1
	s_mov_b32 s19, exec_lo
                                        ; implicit-def: $vgpr8
	v_cmpx_lt_u32_e32 0x387fffff, v10
	s_xor_b32 s19, exec_lo, s19
; %bb.6:                                ;   in Loop: Header=BB390_4 Depth=1
	v_bfe_u32 v8, v5, 5, 1
	s_delay_alu instid0(VALU_DEP_1) | instskip(NEXT) | instid1(VALU_DEP_1)
	v_add3_u32 v8, v9, v8, 0x80fffff
                                        ; implicit-def: $vgpr9
	v_lshrrev_b32_e32 v8, 21, v8
; %bb.7:                                ;   in Loop: Header=BB390_4 Depth=1
	s_and_not1_saveexec_b32 s19, s19
; %bb.8:                                ;   in Loop: Header=BB390_4 Depth=1
	v_add_f32_e64 v8, 0x43000000, |v9|
; %bb.9:                                ;   in Loop: Header=BB390_4 Depth=1
	s_or_b32 exec_lo, exec_lo, s19
                                        ; implicit-def: $vgpr10
.LBB390_10:                             ;   in Loop: Header=BB390_4 Depth=1
	s_and_not1_saveexec_b32 s2, s2
; %bb.11:                               ;   in Loop: Header=BB390_4 Depth=1
	v_cmp_lt_u32_e32 vcc_lo, 0x7f800000, v10
	v_cndmask_b32_e32 v8, 0x7c, v7, vcc_lo
; %bb.12:                               ;   in Loop: Header=BB390_4 Depth=1
	s_or_b32 exec_lo, exec_lo, s2
	v_and_b32_e32 v10, 0xffff0000, v5
	s_mov_b32 s2, exec_lo
                                        ; implicit-def: $vgpr9
	s_delay_alu instid0(VALU_DEP_1) | instskip(NEXT) | instid1(VALU_DEP_1)
	v_and_b32_e32 v11, 0x7fffffff, v10
	v_cmpx_gt_u32_e32 0x47800000, v11
	s_xor_b32 s2, exec_lo, s2
	s_cbranch_execz .LBB390_18
; %bb.13:                               ;   in Loop: Header=BB390_4 Depth=1
	s_mov_b32 s19, exec_lo
                                        ; implicit-def: $vgpr9
	v_cmpx_lt_u32_e32 0x387fffff, v11
	s_xor_b32 s19, exec_lo, s19
; %bb.14:                               ;   in Loop: Header=BB390_4 Depth=1
	v_bfe_u32 v9, v5, 21, 1
	s_delay_alu instid0(VALU_DEP_1) | instskip(NEXT) | instid1(VALU_DEP_1)
	v_add3_u32 v9, v10, v9, 0x80fffff
                                        ; implicit-def: $vgpr10
	v_lshrrev_b32_e32 v9, 21, v9
; %bb.15:                               ;   in Loop: Header=BB390_4 Depth=1
	s_and_not1_saveexec_b32 s19, s19
; %bb.16:                               ;   in Loop: Header=BB390_4 Depth=1
	v_add_f32_e64 v9, 0x43000000, |v10|
; %bb.17:                               ;   in Loop: Header=BB390_4 Depth=1
	s_or_b32 exec_lo, exec_lo, s19
                                        ; implicit-def: $vgpr11
.LBB390_18:                             ;   in Loop: Header=BB390_4 Depth=1
	s_and_not1_saveexec_b32 s2, s2
; %bb.19:                               ;   in Loop: Header=BB390_4 Depth=1
	v_cmp_lt_u32_e32 vcc_lo, 0x7f800000, v11
	v_cndmask_b32_e32 v9, 0x7c, v7, vcc_lo
; %bb.20:                               ;   in Loop: Header=BB390_4 Depth=1
	s_or_b32 exec_lo, exec_lo, s2
	v_lshlrev_b32_e32 v11, 16, v6
	s_mov_b32 s2, exec_lo
                                        ; implicit-def: $vgpr10
	s_delay_alu instid0(VALU_DEP_1) | instskip(NEXT) | instid1(VALU_DEP_1)
	v_and_b32_e32 v12, 0x7fffffff, v11
	v_cmpx_gt_u32_e32 0x47800000, v12
	s_xor_b32 s2, exec_lo, s2
	s_cbranch_execz .LBB390_26
; %bb.21:                               ;   in Loop: Header=BB390_4 Depth=1
	s_mov_b32 s19, exec_lo
                                        ; implicit-def: $vgpr10
	v_cmpx_lt_u32_e32 0x387fffff, v12
	s_xor_b32 s19, exec_lo, s19
; %bb.22:                               ;   in Loop: Header=BB390_4 Depth=1
	v_bfe_u32 v10, v6, 5, 1
	s_delay_alu instid0(VALU_DEP_1) | instskip(NEXT) | instid1(VALU_DEP_1)
	v_add3_u32 v10, v11, v10, 0x80fffff
                                        ; implicit-def: $vgpr11
	v_lshrrev_b32_e32 v10, 21, v10
; %bb.23:                               ;   in Loop: Header=BB390_4 Depth=1
	s_and_not1_saveexec_b32 s19, s19
; %bb.24:                               ;   in Loop: Header=BB390_4 Depth=1
	v_add_f32_e64 v10, 0x43000000, |v11|
; %bb.25:                               ;   in Loop: Header=BB390_4 Depth=1
	s_or_b32 exec_lo, exec_lo, s19
                                        ; implicit-def: $vgpr12
.LBB390_26:                             ;   in Loop: Header=BB390_4 Depth=1
	s_and_not1_saveexec_b32 s2, s2
; %bb.27:                               ;   in Loop: Header=BB390_4 Depth=1
	v_cmp_lt_u32_e32 vcc_lo, 0x7f800000, v12
	v_cndmask_b32_e32 v10, 0x7c, v7, vcc_lo
; %bb.28:                               ;   in Loop: Header=BB390_4 Depth=1
	s_or_b32 exec_lo, exec_lo, s2
	v_and_b32_e32 v13, 0xffff0000, v6
	v_lshrrev_b32_e32 v12, 16, v6
	s_mov_b32 s2, exec_lo
                                        ; implicit-def: $vgpr11
	s_delay_alu instid0(VALU_DEP_2) | instskip(NEXT) | instid1(VALU_DEP_1)
	v_and_b32_e32 v14, 0x7fffffff, v13
	v_cmpx_gt_u32_e32 0x47800000, v14
	s_xor_b32 s2, exec_lo, s2
	s_cbranch_execz .LBB390_34
; %bb.29:                               ;   in Loop: Header=BB390_4 Depth=1
	s_mov_b32 s19, exec_lo
                                        ; implicit-def: $vgpr11
	v_cmpx_lt_u32_e32 0x387fffff, v14
	s_xor_b32 s19, exec_lo, s19
; %bb.30:                               ;   in Loop: Header=BB390_4 Depth=1
	v_bfe_u32 v11, v12, 5, 1
	s_delay_alu instid0(VALU_DEP_1) | instskip(NEXT) | instid1(VALU_DEP_1)
	v_add3_u32 v11, v13, v11, 0x80fffff
                                        ; implicit-def: $vgpr13
	v_lshrrev_b32_e32 v11, 21, v11
; %bb.31:                               ;   in Loop: Header=BB390_4 Depth=1
	s_and_not1_saveexec_b32 s19, s19
; %bb.32:                               ;   in Loop: Header=BB390_4 Depth=1
	v_add_f32_e64 v11, 0x43000000, |v13|
; %bb.33:                               ;   in Loop: Header=BB390_4 Depth=1
	s_or_b32 exec_lo, exec_lo, s19
                                        ; implicit-def: $vgpr14
.LBB390_34:                             ;   in Loop: Header=BB390_4 Depth=1
	s_and_not1_saveexec_b32 s2, s2
	s_cbranch_execz .LBB390_3
; %bb.35:                               ;   in Loop: Header=BB390_4 Depth=1
	v_cmp_lt_u32_e32 vcc_lo, 0x7f800000, v14
	v_cndmask_b32_e32 v11, 0x7c, v7, vcc_lo
	s_branch .LBB390_3
.LBB390_36:
	s_or_b32 exec_lo, exec_lo, s3
	s_mov_b32 s2, 0
.LBB390_37:
	s_delay_alu instid0(SALU_CYCLE_1)
	s_and_not1_b32 vcc_lo, exec_lo, s2
	s_cbranch_vccnz .LBB390_89
; %bb.38:
	v_cmp_lt_i64_e64 s2, s[4:5], 1
	s_delay_alu instid0(VALU_DEP_1)
	s_and_b32 vcc_lo, exec_lo, s2
	s_cbranch_vccnz .LBB390_89
; %bb.39:
	s_load_b32 s0, s[0:1], 0xc5c
	v_cmp_gt_u64_e64 s1, 0x10000, s[4:5]
	v_add_co_u32 v5, s2, s8, v0
	v_lshlrev_b32_e32 v1, 1, v0
	v_add_co_ci_u32_e64 v6, null, s9, 0, s2
	s_delay_alu instid0(VALU_DEP_3) | instskip(SKIP_1) | instid1(VALU_DEP_3)
	v_add_co_u32 v13, vcc_lo, s6, v5
	v_mov_b32_e32 v27, 0x7f
	v_add_co_ci_u32_e32 v14, vcc_lo, s7, v6, vcc_lo
                                        ; implicit-def: $vgpr30
                                        ; implicit-def: $vgpr31
                                        ; implicit-def: $vgpr28
                                        ; implicit-def: $vgpr29
	s_waitcnt lgkmcnt(0)
	s_and_b32 s0, s0, 0xffff
	s_and_b32 s1, s1, exec_lo
	s_cselect_b32 s3, s5, 0
	s_cselect_b32 s2, s4, 0x10000
	s_lshl_b64 s[10:11], s[10:11], 17
	s_lshl_b32 s14, s0, 1
	s_lshl_b32 s1, s0, 2
	s_add_u32 s12, s12, s10
	s_mul_i32 s15, s0, 3
	s_addc_u32 s11, s13, s11
	s_lshl_b32 s10, s0, 3
	v_add_co_u32 v1, s16, s12, v1
	s_add_u32 s13, s8, s15
	v_add_co_ci_u32_e64 v2, null, s11, 0, s16
	s_addc_u32 s16, s9, 0
	s_add_u32 s13, s6, s13
	s_addc_u32 s16, s7, s16
	v_add_co_u32 v15, s13, s13, v0
	s_delay_alu instid0(VALU_DEP_1) | instskip(SKIP_1) | instid1(VALU_DEP_1)
	v_add_co_ci_u32_e64 v16, null, s16, 0, s13
	v_add_co_u32 v17, s13, s15, v0
	v_add_co_ci_u32_e64 v18, null, 0, 0, s13
	v_add_co_u32 v19, s13, v0, s0
	s_add_u32 s8, s8, s14
	s_addc_u32 s9, s9, 0
	s_add_u32 s8, s6, s8
	s_delay_alu instid0(VALU_DEP_1) | instskip(SKIP_2) | instid1(VALU_DEP_1)
	v_lshlrev_b32_e32 v3, 1, v19
	s_addc_u32 s9, s7, s9
	v_add_co_u32 v20, s8, s8, v0
	v_add_co_ci_u32_e64 v21, null, s9, 0, s8
	v_add_co_u32 v23, s8, s14, v0
	s_add_u32 s6, s6, s0
	v_add_co_ci_u32_e64 v24, null, 0, 0, s8
	v_add_co_u32 v3, s8, s12, v3
	s_addc_u32 s7, s7, 0
	v_add_co_u32 v25, vcc_lo, s6, v5
	v_add_co_ci_u32_e64 v22, null, 0, 0, s13
	v_add_co_ci_u32_e64 v4, null, s11, 0, s8
	v_add_co_ci_u32_e32 v26, vcc_lo, s7, v6, vcc_lo
	s_mul_i32 s8, s0, 6
	s_mov_b64 s[6:7], 0
	s_branch .LBB390_41
.LBB390_40:                             ;   in Loop: Header=BB390_41 Depth=1
	s_or_b32 exec_lo, exec_lo, s0
	s_add_u32 s6, s6, s1
	s_addc_u32 s7, s7, 0
	v_add_co_u32 v1, vcc_lo, v1, s10
	v_cmp_ge_i64_e64 s0, s[6:7], s[4:5]
	v_cmp_lt_u64_e64 s9, 0xffff, s[6:7]
	v_add_co_ci_u32_e32 v2, vcc_lo, 0, v2, vcc_lo
	v_add_co_u32 v3, vcc_lo, v3, s10
	v_add_co_ci_u32_e32 v4, vcc_lo, 0, v4, vcc_lo
	s_delay_alu instid0(VALU_DEP_4) | instskip(NEXT) | instid1(SALU_CYCLE_1)
	s_or_b32 s0, s0, s9
	s_and_b32 vcc_lo, exec_lo, s0
	s_cbranch_vccnz .LBB390_89
.LBB390_41:                             ; =>This Inner Loop Header: Depth=1
	v_add_co_u32 v5, s0, v0, s6
	s_delay_alu instid0(VALU_DEP_1) | instskip(NEXT) | instid1(VALU_DEP_1)
	v_add_co_ci_u32_e64 v6, null, 0, s7, s0
	v_cmp_gt_i64_e32 vcc_lo, s[4:5], v[5:6]
	v_cmp_gt_u64_e64 s0, 0x10000, v[5:6]
	s_delay_alu instid0(VALU_DEP_1) | instskip(NEXT) | instid1(SALU_CYCLE_1)
	s_and_b32 s9, vcc_lo, s0
	s_and_saveexec_b32 s0, s9
	s_cbranch_execz .LBB390_43
; %bb.42:                               ;   in Loop: Header=BB390_41 Depth=1
	global_load_u16 v29, v[1:2], off
.LBB390_43:                             ;   in Loop: Header=BB390_41 Depth=1
	s_or_b32 exec_lo, exec_lo, s0
	v_add_co_u32 v7, vcc_lo, v19, s6
	v_add_co_ci_u32_e32 v8, vcc_lo, s7, v22, vcc_lo
	s_delay_alu instid0(VALU_DEP_1) | instskip(SKIP_1) | instid1(VALU_DEP_1)
	v_cmp_gt_i64_e32 vcc_lo, s[4:5], v[7:8]
	v_cmp_gt_u64_e64 s0, 0x10000, v[7:8]
	s_and_b32 s9, vcc_lo, s0
	s_delay_alu instid0(SALU_CYCLE_1)
	s_and_saveexec_b32 s0, s9
	s_cbranch_execz .LBB390_45
; %bb.44:                               ;   in Loop: Header=BB390_41 Depth=1
	global_load_u16 v28, v[3:4], off
.LBB390_45:                             ;   in Loop: Header=BB390_41 Depth=1
	s_or_b32 exec_lo, exec_lo, s0
	v_add_co_u32 v9, vcc_lo, v23, s6
	v_add_co_ci_u32_e32 v10, vcc_lo, s7, v24, vcc_lo
	s_delay_alu instid0(VALU_DEP_1) | instskip(SKIP_1) | instid1(VALU_DEP_1)
	v_cmp_gt_i64_e32 vcc_lo, s[4:5], v[9:10]
	v_cmp_gt_u64_e64 s0, 0x10000, v[9:10]
	s_and_b32 s9, vcc_lo, s0
	s_delay_alu instid0(SALU_CYCLE_1)
	s_and_saveexec_b32 s0, s9
	s_cbranch_execz .LBB390_47
; %bb.46:                               ;   in Loop: Header=BB390_41 Depth=1
	v_add_co_u32 v11, vcc_lo, v1, s1
	v_add_co_ci_u32_e32 v12, vcc_lo, 0, v2, vcc_lo
	global_load_u16 v31, v[11:12], off
.LBB390_47:                             ;   in Loop: Header=BB390_41 Depth=1
	s_or_b32 exec_lo, exec_lo, s0
	v_add_co_u32 v11, vcc_lo, v17, s6
	v_add_co_ci_u32_e32 v12, vcc_lo, s7, v18, vcc_lo
	s_delay_alu instid0(VALU_DEP_1) | instskip(SKIP_1) | instid1(VALU_DEP_1)
	v_cmp_gt_i64_e32 vcc_lo, s[4:5], v[11:12]
	v_cmp_gt_u64_e64 s0, 0x10000, v[11:12]
	s_and_b32 s9, vcc_lo, s0
	s_delay_alu instid0(SALU_CYCLE_1)
	s_and_saveexec_b32 s0, s9
	s_cbranch_execz .LBB390_49
; %bb.48:                               ;   in Loop: Header=BB390_41 Depth=1
	v_add_co_u32 v32, vcc_lo, v1, s8
	v_add_co_ci_u32_e32 v33, vcc_lo, 0, v2, vcc_lo
	global_load_u16 v30, v[32:33], off
.LBB390_49:                             ;   in Loop: Header=BB390_41 Depth=1
	s_or_b32 exec_lo, exec_lo, s0
	s_waitcnt vmcnt(0)
	v_lshlrev_b32_e32 v34, 16, v29
	v_and_b32_e32 v32, 0xffff, v29
	s_mov_b32 s0, exec_lo
                                        ; implicit-def: $vgpr33
	s_delay_alu instid0(VALU_DEP_2) | instskip(NEXT) | instid1(VALU_DEP_1)
	v_and_b32_e32 v35, 0x7fffffff, v34
	v_cmpx_gt_u32_e32 0x47800000, v35
	s_xor_b32 s0, exec_lo, s0
	s_cbranch_execz .LBB390_55
; %bb.50:                               ;   in Loop: Header=BB390_41 Depth=1
	s_mov_b32 s9, exec_lo
                                        ; implicit-def: $vgpr33
	v_cmpx_lt_u32_e32 0x387fffff, v35
	s_xor_b32 s9, exec_lo, s9
; %bb.51:                               ;   in Loop: Header=BB390_41 Depth=1
	v_bfe_u32 v33, v32, 5, 1
	s_delay_alu instid0(VALU_DEP_1) | instskip(NEXT) | instid1(VALU_DEP_1)
	v_add3_u32 v33, v34, v33, 0x80fffff
                                        ; implicit-def: $vgpr34
	v_lshrrev_b32_e32 v33, 21, v33
; %bb.52:                               ;   in Loop: Header=BB390_41 Depth=1
	s_and_not1_saveexec_b32 s9, s9
; %bb.53:                               ;   in Loop: Header=BB390_41 Depth=1
	v_add_f32_e64 v33, 0x43000000, |v34|
; %bb.54:                               ;   in Loop: Header=BB390_41 Depth=1
	s_or_b32 exec_lo, exec_lo, s9
                                        ; implicit-def: $vgpr35
.LBB390_55:                             ;   in Loop: Header=BB390_41 Depth=1
	s_and_not1_saveexec_b32 s0, s0
; %bb.56:                               ;   in Loop: Header=BB390_41 Depth=1
	v_cmp_lt_u32_e32 vcc_lo, 0x7f800000, v35
	v_cndmask_b32_e32 v33, 0x7c, v27, vcc_lo
; %bb.57:                               ;   in Loop: Header=BB390_41 Depth=1
	s_or_b32 exec_lo, exec_lo, s0
	v_lshlrev_b32_e32 v36, 16, v28
	v_and_b32_e32 v34, 0xffff, v28
	s_mov_b32 s0, exec_lo
                                        ; implicit-def: $vgpr35
	s_delay_alu instid0(VALU_DEP_2) | instskip(NEXT) | instid1(VALU_DEP_1)
	v_and_b32_e32 v37, 0x7fffffff, v36
	v_cmpx_gt_u32_e32 0x47800000, v37
	s_xor_b32 s0, exec_lo, s0
	s_cbranch_execz .LBB390_63
; %bb.58:                               ;   in Loop: Header=BB390_41 Depth=1
	s_mov_b32 s9, exec_lo
                                        ; implicit-def: $vgpr35
	v_cmpx_lt_u32_e32 0x387fffff, v37
	s_xor_b32 s9, exec_lo, s9
; %bb.59:                               ;   in Loop: Header=BB390_41 Depth=1
	v_bfe_u32 v35, v34, 5, 1
	s_delay_alu instid0(VALU_DEP_1) | instskip(NEXT) | instid1(VALU_DEP_1)
	v_add3_u32 v35, v36, v35, 0x80fffff
                                        ; implicit-def: $vgpr36
	v_lshrrev_b32_e32 v35, 21, v35
; %bb.60:                               ;   in Loop: Header=BB390_41 Depth=1
	s_and_not1_saveexec_b32 s9, s9
; %bb.61:                               ;   in Loop: Header=BB390_41 Depth=1
	v_add_f32_e64 v35, 0x43000000, |v36|
; %bb.62:                               ;   in Loop: Header=BB390_41 Depth=1
	s_or_b32 exec_lo, exec_lo, s9
                                        ; implicit-def: $vgpr37
.LBB390_63:                             ;   in Loop: Header=BB390_41 Depth=1
	s_and_not1_saveexec_b32 s0, s0
; %bb.64:                               ;   in Loop: Header=BB390_41 Depth=1
	v_cmp_lt_u32_e32 vcc_lo, 0x7f800000, v37
	v_cndmask_b32_e32 v35, 0x7c, v27, vcc_lo
; %bb.65:                               ;   in Loop: Header=BB390_41 Depth=1
	s_or_b32 exec_lo, exec_lo, s0
	v_lshlrev_b32_e32 v38, 16, v31
	v_and_b32_e32 v36, 0xffff, v31
	s_mov_b32 s0, exec_lo
                                        ; implicit-def: $vgpr37
	s_delay_alu instid0(VALU_DEP_2) | instskip(NEXT) | instid1(VALU_DEP_1)
	v_and_b32_e32 v39, 0x7fffffff, v38
	v_cmpx_gt_u32_e32 0x47800000, v39
	s_xor_b32 s0, exec_lo, s0
	s_cbranch_execz .LBB390_71
; %bb.66:                               ;   in Loop: Header=BB390_41 Depth=1
	s_mov_b32 s9, exec_lo
                                        ; implicit-def: $vgpr37
	v_cmpx_lt_u32_e32 0x387fffff, v39
	s_xor_b32 s9, exec_lo, s9
; %bb.67:                               ;   in Loop: Header=BB390_41 Depth=1
	v_bfe_u32 v37, v36, 5, 1
	s_delay_alu instid0(VALU_DEP_1) | instskip(NEXT) | instid1(VALU_DEP_1)
	v_add3_u32 v37, v38, v37, 0x80fffff
                                        ; implicit-def: $vgpr38
	v_lshrrev_b32_e32 v37, 21, v37
; %bb.68:                               ;   in Loop: Header=BB390_41 Depth=1
	s_and_not1_saveexec_b32 s9, s9
; %bb.69:                               ;   in Loop: Header=BB390_41 Depth=1
	v_add_f32_e64 v37, 0x43000000, |v38|
; %bb.70:                               ;   in Loop: Header=BB390_41 Depth=1
	s_or_b32 exec_lo, exec_lo, s9
                                        ; implicit-def: $vgpr39
.LBB390_71:                             ;   in Loop: Header=BB390_41 Depth=1
	s_and_not1_saveexec_b32 s0, s0
; %bb.72:                               ;   in Loop: Header=BB390_41 Depth=1
	v_cmp_lt_u32_e32 vcc_lo, 0x7f800000, v39
	v_cndmask_b32_e32 v37, 0x7c, v27, vcc_lo
; %bb.73:                               ;   in Loop: Header=BB390_41 Depth=1
	s_or_b32 exec_lo, exec_lo, s0
	v_lshlrev_b32_e32 v40, 16, v30
	v_and_b32_e32 v38, 0xffff, v30
	s_mov_b32 s0, exec_lo
                                        ; implicit-def: $vgpr39
	s_delay_alu instid0(VALU_DEP_2) | instskip(NEXT) | instid1(VALU_DEP_1)
	v_and_b32_e32 v41, 0x7fffffff, v40
	v_cmpx_gt_u32_e32 0x47800000, v41
	s_xor_b32 s0, exec_lo, s0
	s_cbranch_execz .LBB390_79
; %bb.74:                               ;   in Loop: Header=BB390_41 Depth=1
	s_mov_b32 s9, exec_lo
                                        ; implicit-def: $vgpr39
	v_cmpx_lt_u32_e32 0x387fffff, v41
	s_xor_b32 s9, exec_lo, s9
; %bb.75:                               ;   in Loop: Header=BB390_41 Depth=1
	v_bfe_u32 v39, v38, 5, 1
	s_delay_alu instid0(VALU_DEP_1) | instskip(NEXT) | instid1(VALU_DEP_1)
	v_add3_u32 v39, v40, v39, 0x80fffff
                                        ; implicit-def: $vgpr40
	v_lshrrev_b32_e32 v39, 21, v39
; %bb.76:                               ;   in Loop: Header=BB390_41 Depth=1
	s_and_not1_saveexec_b32 s9, s9
; %bb.77:                               ;   in Loop: Header=BB390_41 Depth=1
	v_add_f32_e64 v39, 0x43000000, |v40|
; %bb.78:                               ;   in Loop: Header=BB390_41 Depth=1
	s_or_b32 exec_lo, exec_lo, s9
                                        ; implicit-def: $vgpr41
.LBB390_79:                             ;   in Loop: Header=BB390_41 Depth=1
	s_and_not1_saveexec_b32 s0, s0
; %bb.80:                               ;   in Loop: Header=BB390_41 Depth=1
	v_cmp_lt_u32_e32 vcc_lo, 0x7f800000, v41
	v_cndmask_b32_e32 v39, 0x7c, v27, vcc_lo
; %bb.81:                               ;   in Loop: Header=BB390_41 Depth=1
	s_or_b32 exec_lo, exec_lo, s0
	s_delay_alu instid0(SALU_CYCLE_1)
	s_mov_b32 s0, exec_lo
	v_cmpx_gt_u64_e64 s[2:3], v[5:6]
	s_xor_b32 s0, exec_lo, s0
	s_cbranch_execnz .LBB390_85
; %bb.82:                               ;   in Loop: Header=BB390_41 Depth=1
	s_or_b32 exec_lo, exec_lo, s0
	s_delay_alu instid0(SALU_CYCLE_1)
	s_mov_b32 s0, exec_lo
	v_cmpx_gt_u64_e64 s[2:3], v[7:8]
	s_cbranch_execnz .LBB390_86
.LBB390_83:                             ;   in Loop: Header=BB390_41 Depth=1
	s_or_b32 exec_lo, exec_lo, s0
	s_delay_alu instid0(SALU_CYCLE_1)
	s_mov_b32 s0, exec_lo
	v_cmpx_gt_u64_e64 s[2:3], v[9:10]
	s_cbranch_execnz .LBB390_87
.LBB390_84:                             ;   in Loop: Header=BB390_41 Depth=1
	s_or_b32 exec_lo, exec_lo, s0
	s_delay_alu instid0(SALU_CYCLE_1)
	s_mov_b32 s0, exec_lo
	v_cmpx_gt_u64_e64 s[2:3], v[11:12]
	s_cbranch_execz .LBB390_40
	s_branch .LBB390_88
.LBB390_85:                             ;   in Loop: Header=BB390_41 Depth=1
	v_lshrrev_b32_e32 v5, 8, v32
	s_delay_alu instid0(VALU_DEP_1) | instskip(SKIP_4) | instid1(SALU_CYCLE_1)
	v_and_or_b32 v32, 0x80, v5, v33
	v_add_co_u32 v5, vcc_lo, v13, s6
	v_add_co_ci_u32_e32 v6, vcc_lo, s7, v14, vcc_lo
	global_store_b8 v[5:6], v32, off
	s_or_b32 exec_lo, exec_lo, s0
	s_mov_b32 s0, exec_lo
	v_cmpx_gt_u64_e64 s[2:3], v[7:8]
	s_cbranch_execz .LBB390_83
.LBB390_86:                             ;   in Loop: Header=BB390_41 Depth=1
	v_lshrrev_b32_e32 v5, 8, v34
	s_delay_alu instid0(VALU_DEP_1) | instskip(SKIP_4) | instid1(SALU_CYCLE_1)
	v_and_or_b32 v7, 0x80, v5, v35
	v_add_co_u32 v5, vcc_lo, v25, s6
	v_add_co_ci_u32_e32 v6, vcc_lo, s7, v26, vcc_lo
	global_store_b8 v[5:6], v7, off
	s_or_b32 exec_lo, exec_lo, s0
	s_mov_b32 s0, exec_lo
	v_cmpx_gt_u64_e64 s[2:3], v[9:10]
	s_cbranch_execz .LBB390_84
.LBB390_87:                             ;   in Loop: Header=BB390_41 Depth=1
	v_lshrrev_b32_e32 v5, 8, v36
	s_delay_alu instid0(VALU_DEP_1) | instskip(SKIP_4) | instid1(SALU_CYCLE_1)
	v_and_or_b32 v7, 0x80, v5, v37
	v_add_co_u32 v5, vcc_lo, v20, s6
	v_add_co_ci_u32_e32 v6, vcc_lo, s7, v21, vcc_lo
	global_store_b8 v[5:6], v7, off
	s_or_b32 exec_lo, exec_lo, s0
	s_mov_b32 s0, exec_lo
	v_cmpx_gt_u64_e64 s[2:3], v[11:12]
	s_cbranch_execz .LBB390_40
.LBB390_88:                             ;   in Loop: Header=BB390_41 Depth=1
	v_lshrrev_b32_e32 v5, 8, v38
	s_delay_alu instid0(VALU_DEP_1)
	v_and_or_b32 v7, 0x80, v5, v39
	v_add_co_u32 v5, vcc_lo, v15, s6
	v_add_co_ci_u32_e32 v6, vcc_lo, s7, v16, vcc_lo
	global_store_b8 v[5:6], v7, off
	s_branch .LBB390_40
.LBB390_89:
	s_nop 0
	s_sendmsg sendmsg(MSG_DEALLOC_VGPRS)
	s_endpgm
	.section	.rodata,"a",@progbits
	.p2align	6, 0x0
	.amdhsa_kernel _ZN2at6native12_GLOBAL__N_125multi_tensor_apply_kernelINS1_18TensorListMetadataILi2EEENS1_11CopyFunctorIN3c1011Float8_e5m2ENS6_8BFloat16ELi2ELi1ELi1EEEJNS0_4CopyIS7_S8_EEEEEvT_T0_DpT1_
		.amdhsa_group_segment_fixed_size 0
		.amdhsa_private_segment_fixed_size 0
		.amdhsa_kernarg_size 3408
		.amdhsa_user_sgpr_count 15
		.amdhsa_user_sgpr_dispatch_ptr 0
		.amdhsa_user_sgpr_queue_ptr 0
		.amdhsa_user_sgpr_kernarg_segment_ptr 1
		.amdhsa_user_sgpr_dispatch_id 0
		.amdhsa_user_sgpr_private_segment_size 0
		.amdhsa_wavefront_size32 1
		.amdhsa_uses_dynamic_stack 0
		.amdhsa_enable_private_segment 0
		.amdhsa_system_sgpr_workgroup_id_x 1
		.amdhsa_system_sgpr_workgroup_id_y 0
		.amdhsa_system_sgpr_workgroup_id_z 0
		.amdhsa_system_sgpr_workgroup_info 0
		.amdhsa_system_vgpr_workitem_id 0
		.amdhsa_next_free_vgpr 42
		.amdhsa_next_free_sgpr 20
		.amdhsa_reserve_vcc 1
		.amdhsa_float_round_mode_32 0
		.amdhsa_float_round_mode_16_64 0
		.amdhsa_float_denorm_mode_32 3
		.amdhsa_float_denorm_mode_16_64 3
		.amdhsa_dx10_clamp 1
		.amdhsa_ieee_mode 1
		.amdhsa_fp16_overflow 0
		.amdhsa_workgroup_processor_mode 1
		.amdhsa_memory_ordered 1
		.amdhsa_forward_progress 0
		.amdhsa_shared_vgpr_count 0
		.amdhsa_exception_fp_ieee_invalid_op 0
		.amdhsa_exception_fp_denorm_src 0
		.amdhsa_exception_fp_ieee_div_zero 0
		.amdhsa_exception_fp_ieee_overflow 0
		.amdhsa_exception_fp_ieee_underflow 0
		.amdhsa_exception_fp_ieee_inexact 0
		.amdhsa_exception_int_div_zero 0
	.end_amdhsa_kernel
	.section	.text._ZN2at6native12_GLOBAL__N_125multi_tensor_apply_kernelINS1_18TensorListMetadataILi2EEENS1_11CopyFunctorIN3c1011Float8_e5m2ENS6_8BFloat16ELi2ELi1ELi1EEEJNS0_4CopyIS7_S8_EEEEEvT_T0_DpT1_,"axG",@progbits,_ZN2at6native12_GLOBAL__N_125multi_tensor_apply_kernelINS1_18TensorListMetadataILi2EEENS1_11CopyFunctorIN3c1011Float8_e5m2ENS6_8BFloat16ELi2ELi1ELi1EEEJNS0_4CopyIS7_S8_EEEEEvT_T0_DpT1_,comdat
.Lfunc_end390:
	.size	_ZN2at6native12_GLOBAL__N_125multi_tensor_apply_kernelINS1_18TensorListMetadataILi2EEENS1_11CopyFunctorIN3c1011Float8_e5m2ENS6_8BFloat16ELi2ELi1ELi1EEEJNS0_4CopyIS7_S8_EEEEEvT_T0_DpT1_, .Lfunc_end390-_ZN2at6native12_GLOBAL__N_125multi_tensor_apply_kernelINS1_18TensorListMetadataILi2EEENS1_11CopyFunctorIN3c1011Float8_e5m2ENS6_8BFloat16ELi2ELi1ELi1EEEJNS0_4CopyIS7_S8_EEEEEvT_T0_DpT1_
                                        ; -- End function
	.section	.AMDGPU.csdata,"",@progbits
; Kernel info:
; codeLenInByte = 2556
; NumSgprs: 22
; NumVgprs: 42
; ScratchSize: 0
; MemoryBound: 0
; FloatMode: 240
; IeeeMode: 1
; LDSByteSize: 0 bytes/workgroup (compile time only)
; SGPRBlocks: 2
; VGPRBlocks: 5
; NumSGPRsForWavesPerEU: 22
; NumVGPRsForWavesPerEU: 42
; Occupancy: 16
; WaveLimiterHint : 0
; COMPUTE_PGM_RSRC2:SCRATCH_EN: 0
; COMPUTE_PGM_RSRC2:USER_SGPR: 15
; COMPUTE_PGM_RSRC2:TRAP_HANDLER: 0
; COMPUTE_PGM_RSRC2:TGID_X_EN: 1
; COMPUTE_PGM_RSRC2:TGID_Y_EN: 0
; COMPUTE_PGM_RSRC2:TGID_Z_EN: 0
; COMPUTE_PGM_RSRC2:TIDIG_COMP_CNT: 0
	.section	.text._ZN2at6native12_GLOBAL__N_125multi_tensor_apply_kernelINS1_18TensorListMetadataILi2EEENS1_11CopyFunctorIN3c1011Float8_e5m2EbLi2ELi1ELi1EEEJNS0_4CopyIS7_bEEEEEvT_T0_DpT1_,"axG",@progbits,_ZN2at6native12_GLOBAL__N_125multi_tensor_apply_kernelINS1_18TensorListMetadataILi2EEENS1_11CopyFunctorIN3c1011Float8_e5m2EbLi2ELi1ELi1EEEJNS0_4CopyIS7_bEEEEEvT_T0_DpT1_,comdat
	.globl	_ZN2at6native12_GLOBAL__N_125multi_tensor_apply_kernelINS1_18TensorListMetadataILi2EEENS1_11CopyFunctorIN3c1011Float8_e5m2EbLi2ELi1ELi1EEEJNS0_4CopyIS7_bEEEEEvT_T0_DpT1_ ; -- Begin function _ZN2at6native12_GLOBAL__N_125multi_tensor_apply_kernelINS1_18TensorListMetadataILi2EEENS1_11CopyFunctorIN3c1011Float8_e5m2EbLi2ELi1ELi1EEEJNS0_4CopyIS7_bEEEEEvT_T0_DpT1_
	.p2align	8
	.type	_ZN2at6native12_GLOBAL__N_125multi_tensor_apply_kernelINS1_18TensorListMetadataILi2EEENS1_11CopyFunctorIN3c1011Float8_e5m2EbLi2ELi1ELi1EEEJNS0_4CopyIS7_bEEEEEvT_T0_DpT1_,@function
_ZN2at6native12_GLOBAL__N_125multi_tensor_apply_kernelINS1_18TensorListMetadataILi2EEENS1_11CopyFunctorIN3c1011Float8_e5m2EbLi2ELi1ELi1EEEJNS0_4CopyIS7_bEEEEEvT_T0_DpT1_: ; @_ZN2at6native12_GLOBAL__N_125multi_tensor_apply_kernelINS1_18TensorListMetadataILi2EEENS1_11CopyFunctorIN3c1011Float8_e5m2EbLi2ELi1ELi1EEEJNS0_4CopyIS7_bEEEEEvT_T0_DpT1_
; %bb.0:
	v_mov_b32_e32 v1, s15
	s_add_u32 s2, s0, s15
	s_mul_i32 s4, s15, 3
	s_addc_u32 s3, s1, 0
	s_mul_hi_u32 s5, s15, 3
	global_load_u8 v1, v1, s[0:1] offset:1536
	s_add_u32 s2, s2, s4
	s_addc_u32 s3, s3, s5
	s_load_b32 s2, s[2:3], 0x740
	s_waitcnt vmcnt(0)
	v_readfirstlane_b32 s4, v1
	s_delay_alu instid0(VALU_DEP_1)
	s_lshl_b32 s3, s4, 3
	s_clause 0x2
	s_load_b64 s[8:9], s[0:1], s3 offset:0x0
	s_load_b64 s[10:11], s[0:1], s3 offset:0x200
	;; [unrolled: 1-line block ×3, first 2 shown]
	s_waitcnt lgkmcnt(0)
	s_ashr_i32 s3, s2, 31
	s_delay_alu instid0(SALU_CYCLE_1) | instskip(NEXT) | instid1(SALU_CYCLE_1)
	s_lshl_b64 s[12:13], s[2:3], 16
	s_add_u32 s5, s8, s12
	s_addc_u32 s16, s9, s13
	s_add_u32 s14, s10, s12
	s_addc_u32 s15, s11, s13
	s_delay_alu instid0(SALU_CYCLE_1) | instskip(NEXT) | instid1(SALU_CYCLE_1)
	s_or_b64 s[2:3], s[6:7], s[14:15]
	s_or_b32 s2, s5, s2
	s_delay_alu instid0(SALU_CYCLE_1)
	s_and_b32 s2, s2, 3
	s_sub_u32 s6, s6, s12
	s_subb_u32 s7, s7, s13
	s_cmp_eq_u32 s2, 0
	s_mov_b32 s2, -1
	s_cbranch_scc0 .LBB391_37
; %bb.1:
	v_dual_mov_b32 v2, 0 :: v_dual_lshlrev_b32 v1, 2, v0
	s_mov_b32 s17, exec_lo
	s_delay_alu instid0(VALU_DEP_1)
	v_cmpx_gt_i64_e64 s[6:7], v[1:2]
	s_cbranch_execz .LBB391_36
; %bb.2:
	s_load_b32 s2, s[0:1], 0xc5c
	v_mov_b32_e32 v3, 0x7f
	s_mov_b32 s19, 0
	s_waitcnt lgkmcnt(0)
	s_and_b32 s2, s2, 0xffff
	s_delay_alu instid0(SALU_CYCLE_1)
	s_lshl_b32 s18, s2, 2
	s_branch .LBB391_4
.LBB391_3:                              ;   in Loop: Header=BB391_4 Depth=1
	s_or_b32 exec_lo, exec_lo, s2
	v_add_co_u32 v8, vcc_lo, s14, v1
	v_add_co_ci_u32_e32 v9, vcc_lo, s15, v2, vcc_lo
	v_add_co_u32 v1, vcc_lo, s18, v1
	v_add_co_ci_u32_e32 v2, vcc_lo, 0, v2, vcc_lo
	v_lshlrev_b32_e32 v6, 16, v6
	v_lshlrev_b32_e32 v5, 8, v5
	v_and_b32_e32 v4, 0xff, v4
	s_delay_alu instid0(VALU_DEP_4) | instskip(SKIP_3) | instid1(VALU_DEP_3)
	v_cmp_le_i64_e32 vcc_lo, s[6:7], v[1:2]
	v_cmp_lt_u64_e64 s2, 0xffff, v[1:2]
	v_perm_b32 v6, v7, v6, 0x4020c0c
	v_and_b32_e32 v5, 0xff00, v5
	s_or_b32 s2, vcc_lo, s2
	s_delay_alu instid0(VALU_DEP_1) | instskip(SKIP_1) | instid1(SALU_CYCLE_1)
	v_or3_b32 v4, v6, v5, v4
	s_and_b32 s2, exec_lo, s2
	s_or_b32 s19, s2, s19
	global_store_b32 v[8:9], v4, off
	s_and_not1_b32 exec_lo, exec_lo, s19
	s_cbranch_execz .LBB391_36
.LBB391_4:                              ; =>This Inner Loop Header: Depth=1
	v_add_co_u32 v4, vcc_lo, s5, v1
	v_add_co_ci_u32_e32 v5, vcc_lo, s16, v2, vcc_lo
	s_mov_b32 s20, exec_lo
	global_load_b32 v4, v[4:5], off
	s_waitcnt vmcnt(0)
	v_lshrrev_b16 v5, 8, v4
	v_and_b32_e32 v6, 1, v4
	v_and_b32_e32 v7, 0x1000000, v4
	;; [unrolled: 1-line block ×3, first 2 shown]
	s_delay_alu instid0(VALU_DEP_4) | instskip(NEXT) | instid1(VALU_DEP_4)
	v_and_b32_e32 v8, 1, v5
	v_cmp_eq_u32_e32 vcc_lo, 1, v6
	s_delay_alu instid0(VALU_DEP_3) | instskip(NEXT) | instid1(VALU_DEP_3)
	v_cmp_ne_u32_e64 s2, 0, v4
                                        ; implicit-def: $vgpr4
	v_cmp_eq_u32_e64 s3, 1, v8
	v_cndmask_b32_e64 v5, 0, 1.0, vcc_lo
	v_cmp_ne_u32_e32 vcc_lo, 0, v7
	s_delay_alu instid0(VALU_DEP_2)
	v_cmpx_gt_u32_e32 0x47800000, v5
	s_xor_b32 s20, exec_lo, s20
	s_cbranch_execz .LBB391_10
; %bb.5:                                ;   in Loop: Header=BB391_4 Depth=1
	v_cmp_lt_u32_e64 s4, 0x387fffff, v5
                                        ; implicit-def: $vgpr4
	s_delay_alu instid0(VALU_DEP_1) | instskip(NEXT) | instid1(SALU_CYCLE_1)
	s_and_saveexec_b32 s21, s4
	s_xor_b32 s4, exec_lo, s21
; %bb.6:                                ;   in Loop: Header=BB391_4 Depth=1
	v_bfe_u32 v4, v5, 21, 1
	s_delay_alu instid0(VALU_DEP_1) | instskip(NEXT) | instid1(VALU_DEP_1)
	v_add3_u32 v4, v5, v4, 0x80fffff
                                        ; implicit-def: $vgpr5
	v_lshrrev_b32_e32 v4, 21, v4
; %bb.7:                                ;   in Loop: Header=BB391_4 Depth=1
	s_and_not1_saveexec_b32 s4, s4
; %bb.8:                                ;   in Loop: Header=BB391_4 Depth=1
	v_add_f32_e32 v4, 0x43000000, v5
; %bb.9:                                ;   in Loop: Header=BB391_4 Depth=1
	s_or_b32 exec_lo, exec_lo, s4
                                        ; implicit-def: $vgpr5
.LBB391_10:                             ;   in Loop: Header=BB391_4 Depth=1
	s_and_not1_saveexec_b32 s20, s20
; %bb.11:                               ;   in Loop: Header=BB391_4 Depth=1
	v_cmp_lt_u32_e64 s4, 0x7f800000, v5
	s_delay_alu instid0(VALU_DEP_1)
	v_cndmask_b32_e64 v4, 0x7c, v3, s4
; %bb.12:                               ;   in Loop: Header=BB391_4 Depth=1
	s_or_b32 exec_lo, exec_lo, s20
	v_cndmask_b32_e64 v6, 0, 1.0, s3
	s_mov_b32 s4, exec_lo
                                        ; implicit-def: $vgpr5
	s_delay_alu instid0(VALU_DEP_1)
	v_cmpx_gt_u32_e32 0x47800000, v6
	s_xor_b32 s4, exec_lo, s4
	s_cbranch_execz .LBB391_18
; %bb.13:                               ;   in Loop: Header=BB391_4 Depth=1
	v_cmp_lt_u32_e64 s3, 0x387fffff, v6
                                        ; implicit-def: $vgpr5
	s_delay_alu instid0(VALU_DEP_1) | instskip(NEXT) | instid1(SALU_CYCLE_1)
	s_and_saveexec_b32 s20, s3
	s_xor_b32 s3, exec_lo, s20
; %bb.14:                               ;   in Loop: Header=BB391_4 Depth=1
	v_bfe_u32 v5, v6, 21, 1
	s_delay_alu instid0(VALU_DEP_1) | instskip(NEXT) | instid1(VALU_DEP_1)
	v_add3_u32 v5, v6, v5, 0x80fffff
                                        ; implicit-def: $vgpr6
	v_lshrrev_b32_e32 v5, 21, v5
; %bb.15:                               ;   in Loop: Header=BB391_4 Depth=1
	s_and_not1_saveexec_b32 s3, s3
; %bb.16:                               ;   in Loop: Header=BB391_4 Depth=1
	v_add_f32_e32 v5, 0x43000000, v6
; %bb.17:                               ;   in Loop: Header=BB391_4 Depth=1
	s_or_b32 exec_lo, exec_lo, s3
                                        ; implicit-def: $vgpr6
.LBB391_18:                             ;   in Loop: Header=BB391_4 Depth=1
	s_and_not1_saveexec_b32 s4, s4
; %bb.19:                               ;   in Loop: Header=BB391_4 Depth=1
	v_cmp_lt_u32_e64 s3, 0x7f800000, v6
	s_delay_alu instid0(VALU_DEP_1)
	v_cndmask_b32_e64 v5, 0x7c, v3, s3
; %bb.20:                               ;   in Loop: Header=BB391_4 Depth=1
	s_or_b32 exec_lo, exec_lo, s4
	v_cndmask_b32_e64 v7, 0, 1.0, s2
	s_mov_b32 s3, exec_lo
                                        ; implicit-def: $vgpr6
	s_delay_alu instid0(VALU_DEP_1)
	v_cmpx_gt_u32_e32 0x47800000, v7
	s_xor_b32 s3, exec_lo, s3
	s_cbranch_execz .LBB391_26
; %bb.21:                               ;   in Loop: Header=BB391_4 Depth=1
	v_cmp_lt_u32_e64 s2, 0x387fffff, v7
                                        ; implicit-def: $vgpr6
	s_delay_alu instid0(VALU_DEP_1) | instskip(NEXT) | instid1(SALU_CYCLE_1)
	s_and_saveexec_b32 s4, s2
	s_xor_b32 s2, exec_lo, s4
; %bb.22:                               ;   in Loop: Header=BB391_4 Depth=1
	v_bfe_u32 v6, v7, 21, 1
	s_delay_alu instid0(VALU_DEP_1) | instskip(NEXT) | instid1(VALU_DEP_1)
	v_add3_u32 v6, v7, v6, 0x80fffff
                                        ; implicit-def: $vgpr7
	v_lshrrev_b32_e32 v6, 21, v6
; %bb.23:                               ;   in Loop: Header=BB391_4 Depth=1
	s_and_not1_saveexec_b32 s2, s2
; %bb.24:                               ;   in Loop: Header=BB391_4 Depth=1
	v_add_f32_e32 v6, 0x43000000, v7
; %bb.25:                               ;   in Loop: Header=BB391_4 Depth=1
	s_or_b32 exec_lo, exec_lo, s2
                                        ; implicit-def: $vgpr7
.LBB391_26:                             ;   in Loop: Header=BB391_4 Depth=1
	s_and_not1_saveexec_b32 s3, s3
; %bb.27:                               ;   in Loop: Header=BB391_4 Depth=1
	v_cmp_lt_u32_e64 s2, 0x7f800000, v7
	s_delay_alu instid0(VALU_DEP_1)
	v_cndmask_b32_e64 v6, 0x7c, v3, s2
; %bb.28:                               ;   in Loop: Header=BB391_4 Depth=1
	s_or_b32 exec_lo, exec_lo, s3
	v_cndmask_b32_e64 v8, 0, 1.0, vcc_lo
	s_mov_b32 s2, exec_lo
                                        ; implicit-def: $vgpr7
	s_delay_alu instid0(VALU_DEP_1)
	v_cmpx_gt_u32_e32 0x47800000, v8
	s_xor_b32 s2, exec_lo, s2
	s_cbranch_execz .LBB391_34
; %bb.29:                               ;   in Loop: Header=BB391_4 Depth=1
	s_mov_b32 s3, exec_lo
                                        ; implicit-def: $vgpr7
	v_cmpx_lt_u32_e32 0x387fffff, v8
	s_xor_b32 s3, exec_lo, s3
; %bb.30:                               ;   in Loop: Header=BB391_4 Depth=1
	v_bfe_u32 v7, v8, 21, 1
	s_delay_alu instid0(VALU_DEP_1) | instskip(NEXT) | instid1(VALU_DEP_1)
	v_add3_u32 v7, v8, v7, 0x80fffff
                                        ; implicit-def: $vgpr8
	v_lshrrev_b32_e32 v7, 21, v7
; %bb.31:                               ;   in Loop: Header=BB391_4 Depth=1
	s_and_not1_saveexec_b32 s3, s3
; %bb.32:                               ;   in Loop: Header=BB391_4 Depth=1
	v_add_f32_e32 v7, 0x43000000, v8
; %bb.33:                               ;   in Loop: Header=BB391_4 Depth=1
	s_or_b32 exec_lo, exec_lo, s3
                                        ; implicit-def: $vgpr8
.LBB391_34:                             ;   in Loop: Header=BB391_4 Depth=1
	s_and_not1_saveexec_b32 s2, s2
	s_cbranch_execz .LBB391_3
; %bb.35:                               ;   in Loop: Header=BB391_4 Depth=1
	v_cmp_lt_u32_e32 vcc_lo, 0x7f800000, v8
	v_cndmask_b32_e32 v7, 0x7c, v3, vcc_lo
	s_branch .LBB391_3
.LBB391_36:
	s_or_b32 exec_lo, exec_lo, s17
	s_mov_b32 s2, 0
.LBB391_37:
	s_delay_alu instid0(SALU_CYCLE_1)
	s_and_not1_b32 vcc_lo, exec_lo, s2
	s_cbranch_vccnz .LBB391_89
; %bb.38:
	v_cmp_lt_i64_e64 s2, s[6:7], 1
	s_delay_alu instid0(VALU_DEP_1)
	s_and_b32 vcc_lo, exec_lo, s2
	s_cbranch_vccnz .LBB391_89
; %bb.39:
	s_load_b32 s0, s[0:1], 0xc5c
	v_add_co_u32 v1, s1, s12, v0
	s_delay_alu instid0(VALU_DEP_1) | instskip(SKIP_1) | instid1(VALU_DEP_3)
	v_add_co_ci_u32_e64 v2, null, s13, 0, s1
	v_cmp_gt_u64_e64 s1, 0x10000, s[6:7]
	v_add_co_u32 v9, vcc_lo, s8, v1
	s_delay_alu instid0(VALU_DEP_3)
	v_add_co_ci_u32_e32 v10, vcc_lo, s9, v2, vcc_lo
	v_add_co_u32 v11, vcc_lo, s10, v1
	v_add_co_ci_u32_e32 v12, vcc_lo, s11, v2, vcc_lo
	v_mov_b32_e32 v31, 0x7f
                                        ; implicit-def: $vgpr32
                                        ; implicit-def: $vgpr33
                                        ; implicit-def: $vgpr34
                                        ; implicit-def: $vgpr35
	s_waitcnt lgkmcnt(0)
	s_and_b32 s0, s0, 0xffff
	s_and_b32 s1, s1, exec_lo
	s_mul_i32 s2, s0, 3
	s_cselect_b32 s5, s7, 0
	s_cselect_b32 s4, s6, 0x10000
	s_lshl_b32 s1, s0, 1
	s_lshl_b32 s3, s0, 2
	s_add_u32 s14, s12, s2
	s_addc_u32 s15, s13, 0
	v_add_co_u32 v3, s14, s14, v0
	s_delay_alu instid0(VALU_DEP_1) | instskip(SKIP_1) | instid1(VALU_DEP_2)
	v_add_co_ci_u32_e64 v4, null, s15, 0, s14
	s_add_u32 s12, s12, s1
	v_add_co_u32 v13, vcc_lo, s8, v3
	s_delay_alu instid0(VALU_DEP_2)
	v_add_co_ci_u32_e32 v14, vcc_lo, s9, v4, vcc_lo
	v_add_co_u32 v15, vcc_lo, s10, v3
	s_addc_u32 s13, s13, 0
	v_add_co_u32 v3, s12, s12, v0
	v_add_co_ci_u32_e32 v16, vcc_lo, s11, v4, vcc_lo
	v_add_co_ci_u32_e64 v4, null, s13, 0, s12
	s_delay_alu instid0(VALU_DEP_3) | instskip(SKIP_1) | instid1(VALU_DEP_3)
	v_add_co_u32 v19, vcc_lo, s8, v3
	v_add_co_u32 v17, s2, s2, v0
	v_add_co_ci_u32_e32 v20, vcc_lo, s9, v4, vcc_lo
	v_add_co_u32 v21, vcc_lo, s10, v3
	v_add_co_ci_u32_e32 v22, vcc_lo, s11, v4, vcc_lo
	v_add_co_u32 v1, vcc_lo, v1, s0
	v_add_co_ci_u32_e32 v2, vcc_lo, 0, v2, vcc_lo
	v_add_co_u32 v23, s1, s1, v0
	s_delay_alu instid0(VALU_DEP_3) | instskip(NEXT) | instid1(VALU_DEP_3)
	v_add_co_u32 v25, vcc_lo, s8, v1
	v_add_co_ci_u32_e32 v26, vcc_lo, s9, v2, vcc_lo
	v_add_co_u32 v27, vcc_lo, s10, v1
	v_add_co_u32 v29, s0, v0, s0
	v_add_co_ci_u32_e64 v18, null, 0, 0, s2
	v_add_co_ci_u32_e64 v24, null, 0, 0, s1
	v_add_co_ci_u32_e32 v28, vcc_lo, s11, v2, vcc_lo
	v_add_co_ci_u32_e64 v30, null, 0, 0, s0
	s_mov_b64 s[8:9], 0
	s_branch .LBB391_41
.LBB391_40:                             ;   in Loop: Header=BB391_41 Depth=1
	s_or_b32 exec_lo, exec_lo, s0
	s_add_u32 s8, s8, s3
	s_addc_u32 s9, s9, 0
	s_delay_alu instid0(SALU_CYCLE_1) | instskip(SKIP_1) | instid1(VALU_DEP_1)
	v_cmp_ge_i64_e64 s0, s[8:9], s[6:7]
	v_cmp_lt_u64_e64 s1, 0xffff, s[8:9]
	s_or_b32 s0, s0, s1
	s_delay_alu instid0(SALU_CYCLE_1)
	s_and_b32 vcc_lo, exec_lo, s0
	s_cbranch_vccnz .LBB391_89
.LBB391_41:                             ; =>This Inner Loop Header: Depth=1
	v_add_co_u32 v1, s0, v0, s8
	s_delay_alu instid0(VALU_DEP_1) | instskip(NEXT) | instid1(VALU_DEP_1)
	v_add_co_ci_u32_e64 v2, null, 0, s9, s0
	v_cmp_gt_i64_e32 vcc_lo, s[6:7], v[1:2]
	v_cmp_gt_u64_e64 s0, 0x10000, v[1:2]
	s_delay_alu instid0(VALU_DEP_1) | instskip(NEXT) | instid1(SALU_CYCLE_1)
	s_and_b32 s1, vcc_lo, s0
	s_and_saveexec_b32 s0, s1
	s_cbranch_execz .LBB391_43
; %bb.42:                               ;   in Loop: Header=BB391_41 Depth=1
	v_add_co_u32 v3, vcc_lo, v9, s8
	v_add_co_ci_u32_e32 v4, vcc_lo, s9, v10, vcc_lo
	global_load_u8 v32, v[3:4], off
.LBB391_43:                             ;   in Loop: Header=BB391_41 Depth=1
	s_or_b32 exec_lo, exec_lo, s0
	v_add_co_u32 v3, vcc_lo, v29, s8
	v_add_co_ci_u32_e32 v4, vcc_lo, s9, v30, vcc_lo
	s_delay_alu instid0(VALU_DEP_1) | instskip(SKIP_1) | instid1(VALU_DEP_1)
	v_cmp_gt_i64_e32 vcc_lo, s[6:7], v[3:4]
	v_cmp_gt_u64_e64 s0, 0x10000, v[3:4]
	s_and_b32 s1, vcc_lo, s0
	s_delay_alu instid0(SALU_CYCLE_1)
	s_and_saveexec_b32 s0, s1
	s_cbranch_execz .LBB391_45
; %bb.44:                               ;   in Loop: Header=BB391_41 Depth=1
	v_add_co_u32 v5, vcc_lo, v25, s8
	v_add_co_ci_u32_e32 v6, vcc_lo, s9, v26, vcc_lo
	global_load_u8 v33, v[5:6], off
.LBB391_45:                             ;   in Loop: Header=BB391_41 Depth=1
	s_or_b32 exec_lo, exec_lo, s0
	v_add_co_u32 v5, vcc_lo, v23, s8
	v_add_co_ci_u32_e32 v6, vcc_lo, s9, v24, vcc_lo
	s_delay_alu instid0(VALU_DEP_1) | instskip(SKIP_1) | instid1(VALU_DEP_1)
	v_cmp_gt_i64_e32 vcc_lo, s[6:7], v[5:6]
	v_cmp_gt_u64_e64 s0, 0x10000, v[5:6]
	s_and_b32 s1, vcc_lo, s0
	s_delay_alu instid0(SALU_CYCLE_1)
	;; [unrolled: 15-line block ×3, first 2 shown]
	s_and_saveexec_b32 s0, s1
	s_cbranch_execz .LBB391_49
; %bb.48:                               ;   in Loop: Header=BB391_41 Depth=1
	v_add_co_u32 v35, vcc_lo, v13, s8
	v_add_co_ci_u32_e32 v36, vcc_lo, s9, v14, vcc_lo
	global_load_u8 v35, v[35:36], off
.LBB391_49:                             ;   in Loop: Header=BB391_41 Depth=1
	s_or_b32 exec_lo, exec_lo, s0
	s_waitcnt vmcnt(0)
	v_and_b32_e32 v36, 1, v32
	v_and_b32_e32 v38, 1, v33
	;; [unrolled: 1-line block ×4, first 2 shown]
	s_mov_b32 s10, exec_lo
	v_cmp_eq_u32_e32 vcc_lo, 1, v36
	v_cmp_eq_u32_e64 s1, 1, v38
	v_cmp_eq_u32_e64 s0, 1, v39
                                        ; implicit-def: $vgpr36
	v_cndmask_b32_e64 v37, 0, 1.0, vcc_lo
	v_cmp_eq_u32_e32 vcc_lo, 1, v40
	s_delay_alu instid0(VALU_DEP_2)
	v_cmpx_gt_u32_e32 0x47800000, v37
	s_xor_b32 s10, exec_lo, s10
	s_cbranch_execz .LBB391_55
; %bb.50:                               ;   in Loop: Header=BB391_41 Depth=1
	v_cmp_lt_u32_e64 s2, 0x387fffff, v37
                                        ; implicit-def: $vgpr36
	s_delay_alu instid0(VALU_DEP_1) | instskip(NEXT) | instid1(SALU_CYCLE_1)
	s_and_saveexec_b32 s11, s2
	s_xor_b32 s2, exec_lo, s11
; %bb.51:                               ;   in Loop: Header=BB391_41 Depth=1
	v_bfe_u32 v36, v37, 21, 1
	s_delay_alu instid0(VALU_DEP_1) | instskip(NEXT) | instid1(VALU_DEP_1)
	v_add3_u32 v36, v37, v36, 0x80fffff
                                        ; implicit-def: $vgpr37
	v_lshrrev_b32_e32 v36, 21, v36
; %bb.52:                               ;   in Loop: Header=BB391_41 Depth=1
	s_and_not1_saveexec_b32 s2, s2
; %bb.53:                               ;   in Loop: Header=BB391_41 Depth=1
	v_add_f32_e32 v36, 0x43000000, v37
; %bb.54:                               ;   in Loop: Header=BB391_41 Depth=1
	s_or_b32 exec_lo, exec_lo, s2
                                        ; implicit-def: $vgpr37
.LBB391_55:                             ;   in Loop: Header=BB391_41 Depth=1
	s_and_not1_saveexec_b32 s10, s10
; %bb.56:                               ;   in Loop: Header=BB391_41 Depth=1
	v_cmp_lt_u32_e64 s2, 0x7f800000, v37
	s_delay_alu instid0(VALU_DEP_1)
	v_cndmask_b32_e64 v36, 0x7c, v31, s2
; %bb.57:                               ;   in Loop: Header=BB391_41 Depth=1
	s_or_b32 exec_lo, exec_lo, s10
	v_cndmask_b32_e64 v38, 0, 1.0, s1
	s_mov_b32 s2, exec_lo
                                        ; implicit-def: $vgpr37
	s_delay_alu instid0(VALU_DEP_1)
	v_cmpx_gt_u32_e32 0x47800000, v38
	s_xor_b32 s2, exec_lo, s2
	s_cbranch_execz .LBB391_63
; %bb.58:                               ;   in Loop: Header=BB391_41 Depth=1
	v_cmp_lt_u32_e64 s1, 0x387fffff, v38
                                        ; implicit-def: $vgpr37
	s_delay_alu instid0(VALU_DEP_1) | instskip(NEXT) | instid1(SALU_CYCLE_1)
	s_and_saveexec_b32 s10, s1
	s_xor_b32 s1, exec_lo, s10
; %bb.59:                               ;   in Loop: Header=BB391_41 Depth=1
	v_bfe_u32 v37, v38, 21, 1
	s_delay_alu instid0(VALU_DEP_1) | instskip(NEXT) | instid1(VALU_DEP_1)
	v_add3_u32 v37, v38, v37, 0x80fffff
                                        ; implicit-def: $vgpr38
	v_lshrrev_b32_e32 v37, 21, v37
; %bb.60:                               ;   in Loop: Header=BB391_41 Depth=1
	s_and_not1_saveexec_b32 s1, s1
; %bb.61:                               ;   in Loop: Header=BB391_41 Depth=1
	v_add_f32_e32 v37, 0x43000000, v38
; %bb.62:                               ;   in Loop: Header=BB391_41 Depth=1
	s_or_b32 exec_lo, exec_lo, s1
                                        ; implicit-def: $vgpr38
.LBB391_63:                             ;   in Loop: Header=BB391_41 Depth=1
	s_and_not1_saveexec_b32 s2, s2
; %bb.64:                               ;   in Loop: Header=BB391_41 Depth=1
	v_cmp_lt_u32_e64 s1, 0x7f800000, v38
	s_delay_alu instid0(VALU_DEP_1)
	v_cndmask_b32_e64 v37, 0x7c, v31, s1
; %bb.65:                               ;   in Loop: Header=BB391_41 Depth=1
	s_or_b32 exec_lo, exec_lo, s2
	v_cndmask_b32_e64 v39, 0, 1.0, s0
	s_mov_b32 s1, exec_lo
                                        ; implicit-def: $vgpr38
	s_delay_alu instid0(VALU_DEP_1)
	v_cmpx_gt_u32_e32 0x47800000, v39
	s_xor_b32 s1, exec_lo, s1
	s_cbranch_execz .LBB391_71
; %bb.66:                               ;   in Loop: Header=BB391_41 Depth=1
	v_cmp_lt_u32_e64 s0, 0x387fffff, v39
                                        ; implicit-def: $vgpr38
	s_delay_alu instid0(VALU_DEP_1) | instskip(NEXT) | instid1(SALU_CYCLE_1)
	s_and_saveexec_b32 s2, s0
	s_xor_b32 s0, exec_lo, s2
; %bb.67:                               ;   in Loop: Header=BB391_41 Depth=1
	v_bfe_u32 v38, v39, 21, 1
	s_delay_alu instid0(VALU_DEP_1) | instskip(NEXT) | instid1(VALU_DEP_1)
	v_add3_u32 v38, v39, v38, 0x80fffff
                                        ; implicit-def: $vgpr39
	v_lshrrev_b32_e32 v38, 21, v38
; %bb.68:                               ;   in Loop: Header=BB391_41 Depth=1
	s_and_not1_saveexec_b32 s0, s0
; %bb.69:                               ;   in Loop: Header=BB391_41 Depth=1
	v_add_f32_e32 v38, 0x43000000, v39
; %bb.70:                               ;   in Loop: Header=BB391_41 Depth=1
	s_or_b32 exec_lo, exec_lo, s0
                                        ; implicit-def: $vgpr39
.LBB391_71:                             ;   in Loop: Header=BB391_41 Depth=1
	s_and_not1_saveexec_b32 s1, s1
; %bb.72:                               ;   in Loop: Header=BB391_41 Depth=1
	v_cmp_lt_u32_e64 s0, 0x7f800000, v39
	s_delay_alu instid0(VALU_DEP_1)
	v_cndmask_b32_e64 v38, 0x7c, v31, s0
; %bb.73:                               ;   in Loop: Header=BB391_41 Depth=1
	s_or_b32 exec_lo, exec_lo, s1
	v_cndmask_b32_e64 v40, 0, 1.0, vcc_lo
	s_mov_b32 s0, exec_lo
                                        ; implicit-def: $vgpr39
	s_delay_alu instid0(VALU_DEP_1)
	v_cmpx_gt_u32_e32 0x47800000, v40
	s_xor_b32 s0, exec_lo, s0
	s_cbranch_execz .LBB391_79
; %bb.74:                               ;   in Loop: Header=BB391_41 Depth=1
	s_mov_b32 s1, exec_lo
                                        ; implicit-def: $vgpr39
	v_cmpx_lt_u32_e32 0x387fffff, v40
	s_xor_b32 s1, exec_lo, s1
; %bb.75:                               ;   in Loop: Header=BB391_41 Depth=1
	v_bfe_u32 v39, v40, 21, 1
	s_delay_alu instid0(VALU_DEP_1) | instskip(NEXT) | instid1(VALU_DEP_1)
	v_add3_u32 v39, v40, v39, 0x80fffff
                                        ; implicit-def: $vgpr40
	v_lshrrev_b32_e32 v39, 21, v39
; %bb.76:                               ;   in Loop: Header=BB391_41 Depth=1
	s_and_not1_saveexec_b32 s1, s1
; %bb.77:                               ;   in Loop: Header=BB391_41 Depth=1
	v_add_f32_e32 v39, 0x43000000, v40
; %bb.78:                               ;   in Loop: Header=BB391_41 Depth=1
	s_or_b32 exec_lo, exec_lo, s1
                                        ; implicit-def: $vgpr40
.LBB391_79:                             ;   in Loop: Header=BB391_41 Depth=1
	s_and_not1_saveexec_b32 s0, s0
; %bb.80:                               ;   in Loop: Header=BB391_41 Depth=1
	v_cmp_lt_u32_e32 vcc_lo, 0x7f800000, v40
	v_cndmask_b32_e32 v39, 0x7c, v31, vcc_lo
; %bb.81:                               ;   in Loop: Header=BB391_41 Depth=1
	s_or_b32 exec_lo, exec_lo, s0
	s_delay_alu instid0(SALU_CYCLE_1)
	s_mov_b32 s0, exec_lo
	v_cmpx_gt_u64_e64 s[4:5], v[1:2]
	s_xor_b32 s0, exec_lo, s0
	s_cbranch_execnz .LBB391_85
; %bb.82:                               ;   in Loop: Header=BB391_41 Depth=1
	s_or_b32 exec_lo, exec_lo, s0
	s_delay_alu instid0(SALU_CYCLE_1)
	s_mov_b32 s0, exec_lo
	v_cmpx_gt_u64_e64 s[4:5], v[3:4]
	s_cbranch_execnz .LBB391_86
.LBB391_83:                             ;   in Loop: Header=BB391_41 Depth=1
	s_or_b32 exec_lo, exec_lo, s0
	s_delay_alu instid0(SALU_CYCLE_1)
	s_mov_b32 s0, exec_lo
	v_cmpx_gt_u64_e64 s[4:5], v[5:6]
	s_cbranch_execnz .LBB391_87
.LBB391_84:                             ;   in Loop: Header=BB391_41 Depth=1
	s_or_b32 exec_lo, exec_lo, s0
	s_delay_alu instid0(SALU_CYCLE_1)
	s_mov_b32 s0, exec_lo
	v_cmpx_gt_u64_e64 s[4:5], v[7:8]
	s_cbranch_execz .LBB391_40
	s_branch .LBB391_88
.LBB391_85:                             ;   in Loop: Header=BB391_41 Depth=1
	v_add_co_u32 v1, vcc_lo, v11, s8
	v_add_co_ci_u32_e32 v2, vcc_lo, s9, v12, vcc_lo
	global_store_b8 v[1:2], v36, off
	s_or_b32 exec_lo, exec_lo, s0
	s_delay_alu instid0(SALU_CYCLE_1)
	s_mov_b32 s0, exec_lo
	v_cmpx_gt_u64_e64 s[4:5], v[3:4]
	s_cbranch_execz .LBB391_83
.LBB391_86:                             ;   in Loop: Header=BB391_41 Depth=1
	v_add_co_u32 v1, vcc_lo, v27, s8
	v_add_co_ci_u32_e32 v2, vcc_lo, s9, v28, vcc_lo
	global_store_b8 v[1:2], v37, off
	s_or_b32 exec_lo, exec_lo, s0
	s_delay_alu instid0(SALU_CYCLE_1)
	s_mov_b32 s0, exec_lo
	v_cmpx_gt_u64_e64 s[4:5], v[5:6]
	s_cbranch_execz .LBB391_84
.LBB391_87:                             ;   in Loop: Header=BB391_41 Depth=1
	v_add_co_u32 v1, vcc_lo, v21, s8
	v_add_co_ci_u32_e32 v2, vcc_lo, s9, v22, vcc_lo
	global_store_b8 v[1:2], v38, off
	s_or_b32 exec_lo, exec_lo, s0
	s_delay_alu instid0(SALU_CYCLE_1)
	s_mov_b32 s0, exec_lo
	v_cmpx_gt_u64_e64 s[4:5], v[7:8]
	s_cbranch_execz .LBB391_40
.LBB391_88:                             ;   in Loop: Header=BB391_41 Depth=1
	v_add_co_u32 v1, vcc_lo, v15, s8
	v_add_co_ci_u32_e32 v2, vcc_lo, s9, v16, vcc_lo
	global_store_b8 v[1:2], v39, off
	s_branch .LBB391_40
.LBB391_89:
	s_nop 0
	s_sendmsg sendmsg(MSG_DEALLOC_VGPRS)
	s_endpgm
	.section	.rodata,"a",@progbits
	.p2align	6, 0x0
	.amdhsa_kernel _ZN2at6native12_GLOBAL__N_125multi_tensor_apply_kernelINS1_18TensorListMetadataILi2EEENS1_11CopyFunctorIN3c1011Float8_e5m2EbLi2ELi1ELi1EEEJNS0_4CopyIS7_bEEEEEvT_T0_DpT1_
		.amdhsa_group_segment_fixed_size 0
		.amdhsa_private_segment_fixed_size 0
		.amdhsa_kernarg_size 3408
		.amdhsa_user_sgpr_count 15
		.amdhsa_user_sgpr_dispatch_ptr 0
		.amdhsa_user_sgpr_queue_ptr 0
		.amdhsa_user_sgpr_kernarg_segment_ptr 1
		.amdhsa_user_sgpr_dispatch_id 0
		.amdhsa_user_sgpr_private_segment_size 0
		.amdhsa_wavefront_size32 1
		.amdhsa_uses_dynamic_stack 0
		.amdhsa_enable_private_segment 0
		.amdhsa_system_sgpr_workgroup_id_x 1
		.amdhsa_system_sgpr_workgroup_id_y 0
		.amdhsa_system_sgpr_workgroup_id_z 0
		.amdhsa_system_sgpr_workgroup_info 0
		.amdhsa_system_vgpr_workitem_id 0
		.amdhsa_next_free_vgpr 41
		.amdhsa_next_free_sgpr 22
		.amdhsa_reserve_vcc 1
		.amdhsa_float_round_mode_32 0
		.amdhsa_float_round_mode_16_64 0
		.amdhsa_float_denorm_mode_32 3
		.amdhsa_float_denorm_mode_16_64 3
		.amdhsa_dx10_clamp 1
		.amdhsa_ieee_mode 1
		.amdhsa_fp16_overflow 0
		.amdhsa_workgroup_processor_mode 1
		.amdhsa_memory_ordered 1
		.amdhsa_forward_progress 0
		.amdhsa_shared_vgpr_count 0
		.amdhsa_exception_fp_ieee_invalid_op 0
		.amdhsa_exception_fp_denorm_src 0
		.amdhsa_exception_fp_ieee_div_zero 0
		.amdhsa_exception_fp_ieee_overflow 0
		.amdhsa_exception_fp_ieee_underflow 0
		.amdhsa_exception_fp_ieee_inexact 0
		.amdhsa_exception_int_div_zero 0
	.end_amdhsa_kernel
	.section	.text._ZN2at6native12_GLOBAL__N_125multi_tensor_apply_kernelINS1_18TensorListMetadataILi2EEENS1_11CopyFunctorIN3c1011Float8_e5m2EbLi2ELi1ELi1EEEJNS0_4CopyIS7_bEEEEEvT_T0_DpT1_,"axG",@progbits,_ZN2at6native12_GLOBAL__N_125multi_tensor_apply_kernelINS1_18TensorListMetadataILi2EEENS1_11CopyFunctorIN3c1011Float8_e5m2EbLi2ELi1ELi1EEEJNS0_4CopyIS7_bEEEEEvT_T0_DpT1_,comdat
.Lfunc_end391:
	.size	_ZN2at6native12_GLOBAL__N_125multi_tensor_apply_kernelINS1_18TensorListMetadataILi2EEENS1_11CopyFunctorIN3c1011Float8_e5m2EbLi2ELi1ELi1EEEJNS0_4CopyIS7_bEEEEEvT_T0_DpT1_, .Lfunc_end391-_ZN2at6native12_GLOBAL__N_125multi_tensor_apply_kernelINS1_18TensorListMetadataILi2EEENS1_11CopyFunctorIN3c1011Float8_e5m2EbLi2ELi1ELi1EEEJNS0_4CopyIS7_bEEEEEvT_T0_DpT1_
                                        ; -- End function
	.section	.AMDGPU.csdata,"",@progbits
; Kernel info:
; codeLenInByte = 2512
; NumSgprs: 24
; NumVgprs: 41
; ScratchSize: 0
; MemoryBound: 0
; FloatMode: 240
; IeeeMode: 1
; LDSByteSize: 0 bytes/workgroup (compile time only)
; SGPRBlocks: 2
; VGPRBlocks: 5
; NumSGPRsForWavesPerEU: 24
; NumVGPRsForWavesPerEU: 41
; Occupancy: 16
; WaveLimiterHint : 0
; COMPUTE_PGM_RSRC2:SCRATCH_EN: 0
; COMPUTE_PGM_RSRC2:USER_SGPR: 15
; COMPUTE_PGM_RSRC2:TRAP_HANDLER: 0
; COMPUTE_PGM_RSRC2:TGID_X_EN: 1
; COMPUTE_PGM_RSRC2:TGID_Y_EN: 0
; COMPUTE_PGM_RSRC2:TGID_Z_EN: 0
; COMPUTE_PGM_RSRC2:TIDIG_COMP_CNT: 0
	.section	.text._ZN2at6native12_GLOBAL__N_125multi_tensor_apply_kernelINS1_18TensorListMetadataILi2EEENS1_11CopyFunctorIN3c1011Float8_e5m2ENS6_13Float8_e4m3fnELi2ELi1ELi1EEEJNS0_4CopyIS7_S8_EEEEEvT_T0_DpT1_,"axG",@progbits,_ZN2at6native12_GLOBAL__N_125multi_tensor_apply_kernelINS1_18TensorListMetadataILi2EEENS1_11CopyFunctorIN3c1011Float8_e5m2ENS6_13Float8_e4m3fnELi2ELi1ELi1EEEJNS0_4CopyIS7_S8_EEEEEvT_T0_DpT1_,comdat
	.globl	_ZN2at6native12_GLOBAL__N_125multi_tensor_apply_kernelINS1_18TensorListMetadataILi2EEENS1_11CopyFunctorIN3c1011Float8_e5m2ENS6_13Float8_e4m3fnELi2ELi1ELi1EEEJNS0_4CopyIS7_S8_EEEEEvT_T0_DpT1_ ; -- Begin function _ZN2at6native12_GLOBAL__N_125multi_tensor_apply_kernelINS1_18TensorListMetadataILi2EEENS1_11CopyFunctorIN3c1011Float8_e5m2ENS6_13Float8_e4m3fnELi2ELi1ELi1EEEJNS0_4CopyIS7_S8_EEEEEvT_T0_DpT1_
	.p2align	8
	.type	_ZN2at6native12_GLOBAL__N_125multi_tensor_apply_kernelINS1_18TensorListMetadataILi2EEENS1_11CopyFunctorIN3c1011Float8_e5m2ENS6_13Float8_e4m3fnELi2ELi1ELi1EEEJNS0_4CopyIS7_S8_EEEEEvT_T0_DpT1_,@function
_ZN2at6native12_GLOBAL__N_125multi_tensor_apply_kernelINS1_18TensorListMetadataILi2EEENS1_11CopyFunctorIN3c1011Float8_e5m2ENS6_13Float8_e4m3fnELi2ELi1ELi1EEEJNS0_4CopyIS7_S8_EEEEEvT_T0_DpT1_: ; @_ZN2at6native12_GLOBAL__N_125multi_tensor_apply_kernelINS1_18TensorListMetadataILi2EEENS1_11CopyFunctorIN3c1011Float8_e5m2ENS6_13Float8_e4m3fnELi2ELi1ELi1EEEJNS0_4CopyIS7_S8_EEEEEvT_T0_DpT1_
; %bb.0:
	v_mov_b32_e32 v1, s15
	s_add_u32 s2, s0, s15
	s_mul_i32 s4, s15, 3
	s_addc_u32 s3, s1, 0
	s_mul_hi_u32 s5, s15, 3
	global_load_u8 v1, v1, s[0:1] offset:1536
	s_add_u32 s2, s2, s4
	s_addc_u32 s3, s3, s5
	s_load_b32 s2, s[2:3], 0x740
	s_waitcnt vmcnt(0)
	v_readfirstlane_b32 s4, v1
	s_delay_alu instid0(VALU_DEP_1)
	s_lshl_b32 s3, s4, 3
	s_clause 0x2
	s_load_b64 s[6:7], s[0:1], s3 offset:0x0
	s_load_b64 s[8:9], s[0:1], s3 offset:0x200
	;; [unrolled: 1-line block ×3, first 2 shown]
	s_waitcnt lgkmcnt(0)
	s_ashr_i32 s3, s2, 31
	s_delay_alu instid0(SALU_CYCLE_1) | instskip(NEXT) | instid1(SALU_CYCLE_1)
	s_lshl_b64 s[10:11], s[2:3], 16
	s_add_u32 s3, s6, s10
	s_addc_u32 s14, s7, s11
	s_add_u32 s12, s8, s10
	s_addc_u32 s13, s9, s11
	s_delay_alu instid0(SALU_CYCLE_1) | instskip(NEXT) | instid1(SALU_CYCLE_1)
	s_or_b64 s[16:17], s[4:5], s[12:13]
	s_or_b32 s2, s3, s16
	s_delay_alu instid0(SALU_CYCLE_1)
	s_and_b32 s2, s2, 3
	s_sub_u32 s4, s4, s10
	s_subb_u32 s5, s5, s11
	s_cmp_eq_u32 s2, 0
	s_mov_b32 s2, -1
	s_cbranch_scc0 .LBB392_37
; %bb.1:
	v_dual_mov_b32 v2, 0 :: v_dual_lshlrev_b32 v1, 2, v0
	s_mov_b32 s15, exec_lo
	s_delay_alu instid0(VALU_DEP_1)
	v_cmpx_gt_i64_e64 s[4:5], v[1:2]
	s_cbranch_execz .LBB392_36
; %bb.2:
	s_load_b32 s2, s[0:1], 0xc5c
	v_mov_b32_e32 v3, 0x7f
	s_mov_b32 s17, 0
	s_waitcnt lgkmcnt(0)
	s_and_b32 s2, s2, 0xffff
	s_delay_alu instid0(SALU_CYCLE_1)
	s_lshl_b32 s16, s2, 2
	s_branch .LBB392_4
.LBB392_3:                              ;   in Loop: Header=BB392_4 Depth=1
	s_or_b32 exec_lo, exec_lo, s2
	v_lshrrev_b32_e32 v10, 24, v10
	v_lshrrev_b32_e32 v8, 24, v8
	v_add_co_u32 v12, vcc_lo, s12, v1
	v_add_co_ci_u32_e32 v13, vcc_lo, s13, v2, vcc_lo
	s_delay_alu instid0(VALU_DEP_4) | instskip(NEXT) | instid1(VALU_DEP_4)
	v_and_b32_e32 v10, 0x80, v10
	v_and_b32_e32 v8, 0x80, v8
	v_add_co_u32 v1, vcc_lo, s16, v1
	v_add_co_ci_u32_e32 v2, vcc_lo, 0, v2, vcc_lo
	s_delay_alu instid0(VALU_DEP_4)
	v_and_or_b32 v9, 0xff, v9, v10
	v_lshlrev_b32_e32 v11, 24, v11
	v_and_b32_e32 v6, 0x80000000, v6
	v_lshrrev_b32_e32 v4, 24, v4
	v_and_or_b32 v7, 0xff, v7, v8
	v_lshlrev_b32_e32 v9, 16, v9
	v_and_b32_e32 v5, 0xff, v5
	v_cmp_le_i64_e32 vcc_lo, s[4:5], v[1:2]
	v_cmp_lt_u64_e64 s2, 0xffff, v[1:2]
	v_lshlrev_b32_e32 v7, 8, v7
	v_or3_b32 v6, v6, v11, v9
	v_and_or_b32 v4, 0x80, v4, v5
	s_delay_alu instid0(VALU_DEP_4) | instskip(NEXT) | instid1(VALU_DEP_1)
	s_or_b32 s2, vcc_lo, s2
	v_or3_b32 v4, v6, v7, v4
	s_and_b32 s2, exec_lo, s2
	s_delay_alu instid0(SALU_CYCLE_1)
	s_or_b32 s17, s2, s17
	global_store_b32 v[12:13], v4, off
	s_and_not1_b32 exec_lo, exec_lo, s17
	s_cbranch_execz .LBB392_36
.LBB392_4:                              ; =>This Inner Loop Header: Depth=1
	v_add_co_u32 v4, vcc_lo, s3, v1
	v_add_co_ci_u32_e32 v5, vcc_lo, s14, v2, vcc_lo
	s_mov_b32 s2, exec_lo
	global_load_b32 v6, v[4:5], off
	s_waitcnt vmcnt(0)
	v_lshlrev_b32_e32 v4, 24, v6
	s_delay_alu instid0(VALU_DEP_1) | instskip(NEXT) | instid1(VALU_DEP_1)
	v_and_b32_e32 v5, 0x7f000000, v4
	v_clz_i32_u32_e32 v7, v5
	v_add_nc_u32_e32 v9, 0x1000000, v5
	v_cmp_ne_u32_e32 vcc_lo, 0, v5
	s_delay_alu instid0(VALU_DEP_3) | instskip(NEXT) | instid1(VALU_DEP_1)
	v_min_u32_e32 v7, 32, v7
	v_sub_nc_u32_e64 v7, v7, 4 clamp
	s_delay_alu instid0(VALU_DEP_1) | instskip(SKIP_1) | instid1(VALU_DEP_2)
	v_lshlrev_b32_e32 v8, v7, v5
	v_lshlrev_b32_e32 v7, 23, v7
                                        ; implicit-def: $vgpr5
	v_lshrrev_b32_e32 v8, 4, v8
	s_delay_alu instid0(VALU_DEP_1) | instskip(SKIP_1) | instid1(VALU_DEP_2)
	v_sub_nc_u32_e32 v7, v8, v7
	v_ashrrev_i32_e32 v8, 8, v9
	v_add_nc_u32_e32 v7, 0x3c000000, v7
	s_delay_alu instid0(VALU_DEP_1) | instskip(NEXT) | instid1(VALU_DEP_1)
	v_and_or_b32 v7, 0x7f800000, v8, v7
	v_cndmask_b32_e32 v8, 0, v7, vcc_lo
	s_delay_alu instid0(VALU_DEP_1) | instskip(NEXT) | instid1(VALU_DEP_1)
	v_and_or_b32 v4, 0x80000000, v4, v8
	v_and_b32_e32 v7, 0x7fffffff, v4
	s_delay_alu instid0(VALU_DEP_1)
	v_cmpx_gt_u32_e32 0x47800000, v7
	s_xor_b32 s2, exec_lo, s2
	s_cbranch_execz .LBB392_10
; %bb.5:                                ;   in Loop: Header=BB392_4 Depth=1
	s_mov_b32 s18, exec_lo
                                        ; implicit-def: $vgpr5
	v_cmpx_lt_u32_e32 0x387fffff, v7
	s_xor_b32 s18, exec_lo, s18
; %bb.6:                                ;   in Loop: Header=BB392_4 Depth=1
	v_bfe_u32 v5, v8, 21, 1
	s_delay_alu instid0(VALU_DEP_1) | instskip(NEXT) | instid1(VALU_DEP_1)
	v_add3_u32 v5, v4, v5, 0x80fffff
	v_lshrrev_b32_e32 v5, 21, v5
; %bb.7:                                ;   in Loop: Header=BB392_4 Depth=1
	s_and_not1_saveexec_b32 s18, s18
; %bb.8:                                ;   in Loop: Header=BB392_4 Depth=1
	v_add_f32_e64 v5, 0x43000000, |v4|
; %bb.9:                                ;   in Loop: Header=BB392_4 Depth=1
	s_or_b32 exec_lo, exec_lo, s18
                                        ; implicit-def: $vgpr7
.LBB392_10:                             ;   in Loop: Header=BB392_4 Depth=1
	s_and_not1_saveexec_b32 s2, s2
; %bb.11:                               ;   in Loop: Header=BB392_4 Depth=1
	v_cmp_lt_u32_e32 vcc_lo, 0x7f800000, v7
	v_cndmask_b32_e32 v5, 0x7c, v3, vcc_lo
; %bb.12:                               ;   in Loop: Header=BB392_4 Depth=1
	s_or_b32 exec_lo, exec_lo, s2
	v_lshlrev_b32_e32 v7, 16, v6
	s_mov_b32 s2, exec_lo
	s_delay_alu instid0(VALU_DEP_1) | instskip(NEXT) | instid1(VALU_DEP_1)
	v_and_b32_e32 v8, 0x7f000000, v7
	v_clz_i32_u32_e32 v9, v8
	v_add_nc_u32_e32 v11, 0x1000000, v8
	v_cmp_ne_u32_e32 vcc_lo, 0, v8
	s_delay_alu instid0(VALU_DEP_3) | instskip(NEXT) | instid1(VALU_DEP_1)
	v_min_u32_e32 v9, 32, v9
	v_sub_nc_u32_e64 v9, v9, 4 clamp
	s_delay_alu instid0(VALU_DEP_1) | instskip(SKIP_1) | instid1(VALU_DEP_2)
	v_lshlrev_b32_e32 v10, v9, v8
	v_lshlrev_b32_e32 v9, 23, v9
	v_lshrrev_b32_e32 v10, 4, v10
	s_delay_alu instid0(VALU_DEP_1) | instskip(SKIP_1) | instid1(VALU_DEP_2)
	v_sub_nc_u32_e32 v9, v10, v9
	v_ashrrev_i32_e32 v10, 8, v11
	v_add_nc_u32_e32 v9, 0x3c000000, v9
	s_delay_alu instid0(VALU_DEP_1) | instskip(NEXT) | instid1(VALU_DEP_1)
	v_and_or_b32 v9, 0x7f800000, v10, v9
	v_cndmask_b32_e32 v10, 0, v9, vcc_lo
	s_delay_alu instid0(VALU_DEP_1) | instskip(NEXT) | instid1(VALU_DEP_1)
	v_and_or_b32 v8, 0x80000000, v7, v10
                                        ; implicit-def: $vgpr7
	v_and_b32_e32 v9, 0x7fffffff, v8
	s_delay_alu instid0(VALU_DEP_1)
	v_cmpx_gt_u32_e32 0x47800000, v9
	s_xor_b32 s2, exec_lo, s2
	s_cbranch_execz .LBB392_18
; %bb.13:                               ;   in Loop: Header=BB392_4 Depth=1
	s_mov_b32 s18, exec_lo
                                        ; implicit-def: $vgpr7
	v_cmpx_lt_u32_e32 0x387fffff, v9
	s_xor_b32 s18, exec_lo, s18
; %bb.14:                               ;   in Loop: Header=BB392_4 Depth=1
	v_bfe_u32 v7, v10, 21, 1
	s_delay_alu instid0(VALU_DEP_1) | instskip(NEXT) | instid1(VALU_DEP_1)
	v_add3_u32 v7, v8, v7, 0x80fffff
	v_lshrrev_b32_e32 v7, 21, v7
; %bb.15:                               ;   in Loop: Header=BB392_4 Depth=1
	s_and_not1_saveexec_b32 s18, s18
; %bb.16:                               ;   in Loop: Header=BB392_4 Depth=1
	v_add_f32_e64 v7, 0x43000000, |v8|
; %bb.17:                               ;   in Loop: Header=BB392_4 Depth=1
	s_or_b32 exec_lo, exec_lo, s18
                                        ; implicit-def: $vgpr9
.LBB392_18:                             ;   in Loop: Header=BB392_4 Depth=1
	s_and_not1_saveexec_b32 s2, s2
; %bb.19:                               ;   in Loop: Header=BB392_4 Depth=1
	v_cmp_lt_u32_e32 vcc_lo, 0x7f800000, v9
	v_cndmask_b32_e32 v7, 0x7c, v3, vcc_lo
; %bb.20:                               ;   in Loop: Header=BB392_4 Depth=1
	s_or_b32 exec_lo, exec_lo, s2
	v_lshlrev_b32_e32 v9, 8, v6
	s_mov_b32 s2, exec_lo
	s_delay_alu instid0(VALU_DEP_1) | instskip(NEXT) | instid1(VALU_DEP_1)
	v_and_b32_e32 v10, 0x7f000000, v9
	v_clz_i32_u32_e32 v11, v10
	v_add_nc_u32_e32 v13, 0x1000000, v10
	v_cmp_ne_u32_e32 vcc_lo, 0, v10
	s_delay_alu instid0(VALU_DEP_3) | instskip(NEXT) | instid1(VALU_DEP_1)
	v_min_u32_e32 v11, 32, v11
	v_sub_nc_u32_e64 v11, v11, 4 clamp
	s_delay_alu instid0(VALU_DEP_1) | instskip(SKIP_1) | instid1(VALU_DEP_2)
	v_lshlrev_b32_e32 v12, v11, v10
	v_lshlrev_b32_e32 v11, 23, v11
	v_lshrrev_b32_e32 v12, 4, v12
	s_delay_alu instid0(VALU_DEP_1) | instskip(SKIP_1) | instid1(VALU_DEP_2)
	v_sub_nc_u32_e32 v11, v12, v11
	v_ashrrev_i32_e32 v12, 8, v13
	v_add_nc_u32_e32 v11, 0x3c000000, v11
	s_delay_alu instid0(VALU_DEP_1) | instskip(NEXT) | instid1(VALU_DEP_1)
	v_and_or_b32 v11, 0x7f800000, v12, v11
	v_cndmask_b32_e32 v12, 0, v11, vcc_lo
	s_delay_alu instid0(VALU_DEP_1) | instskip(NEXT) | instid1(VALU_DEP_1)
	v_and_or_b32 v10, 0x80000000, v9, v12
                                        ; implicit-def: $vgpr9
	v_and_b32_e32 v11, 0x7fffffff, v10
	s_delay_alu instid0(VALU_DEP_1)
	v_cmpx_gt_u32_e32 0x47800000, v11
	s_xor_b32 s2, exec_lo, s2
	s_cbranch_execz .LBB392_26
; %bb.21:                               ;   in Loop: Header=BB392_4 Depth=1
	s_mov_b32 s18, exec_lo
                                        ; implicit-def: $vgpr9
	v_cmpx_lt_u32_e32 0x387fffff, v11
	s_xor_b32 s18, exec_lo, s18
; %bb.22:                               ;   in Loop: Header=BB392_4 Depth=1
	v_bfe_u32 v9, v12, 21, 1
	s_delay_alu instid0(VALU_DEP_1) | instskip(NEXT) | instid1(VALU_DEP_1)
	v_add3_u32 v9, v10, v9, 0x80fffff
	v_lshrrev_b32_e32 v9, 21, v9
; %bb.23:                               ;   in Loop: Header=BB392_4 Depth=1
	s_and_not1_saveexec_b32 s18, s18
; %bb.24:                               ;   in Loop: Header=BB392_4 Depth=1
	v_add_f32_e64 v9, 0x43000000, |v10|
; %bb.25:                               ;   in Loop: Header=BB392_4 Depth=1
	s_or_b32 exec_lo, exec_lo, s18
                                        ; implicit-def: $vgpr11
.LBB392_26:                             ;   in Loop: Header=BB392_4 Depth=1
	s_and_not1_saveexec_b32 s2, s2
; %bb.27:                               ;   in Loop: Header=BB392_4 Depth=1
	v_cmp_lt_u32_e32 vcc_lo, 0x7f800000, v11
	v_cndmask_b32_e32 v9, 0x7c, v3, vcc_lo
; %bb.28:                               ;   in Loop: Header=BB392_4 Depth=1
	s_or_b32 exec_lo, exec_lo, s2
	v_and_b32_e32 v11, 0x7f000000, v6
	s_mov_b32 s2, exec_lo
	s_delay_alu instid0(VALU_DEP_1) | instskip(SKIP_2) | instid1(VALU_DEP_3)
	v_clz_i32_u32_e32 v12, v11
	v_cmp_ne_u32_e32 vcc_lo, 0, v11
	v_add_nc_u32_e32 v14, 0x1000000, v11
	v_min_u32_e32 v12, 32, v12
	s_delay_alu instid0(VALU_DEP_1) | instskip(NEXT) | instid1(VALU_DEP_1)
	v_sub_nc_u32_e64 v12, v12, 4 clamp
	v_lshlrev_b32_e32 v13, v12, v11
	v_lshlrev_b32_e32 v12, 23, v12
                                        ; implicit-def: $vgpr11
	s_delay_alu instid0(VALU_DEP_2) | instskip(NEXT) | instid1(VALU_DEP_1)
	v_lshrrev_b32_e32 v13, 4, v13
	v_sub_nc_u32_e32 v12, v13, v12
	v_ashrrev_i32_e32 v13, 8, v14
	s_delay_alu instid0(VALU_DEP_2) | instskip(NEXT) | instid1(VALU_DEP_1)
	v_add_nc_u32_e32 v12, 0x3c000000, v12
	v_and_or_b32 v12, 0x7f800000, v13, v12
	s_delay_alu instid0(VALU_DEP_1) | instskip(NEXT) | instid1(VALU_DEP_1)
	v_cndmask_b32_e32 v13, 0, v12, vcc_lo
	v_and_or_b32 v6, 0x80000000, v6, v13
	s_delay_alu instid0(VALU_DEP_1) | instskip(NEXT) | instid1(VALU_DEP_1)
	v_and_b32_e32 v12, 0x7fffffff, v6
	v_cmpx_gt_u32_e32 0x47800000, v12
	s_xor_b32 s2, exec_lo, s2
	s_cbranch_execz .LBB392_34
; %bb.29:                               ;   in Loop: Header=BB392_4 Depth=1
	s_mov_b32 s18, exec_lo
                                        ; implicit-def: $vgpr11
	v_cmpx_lt_u32_e32 0x387fffff, v12
	s_xor_b32 s18, exec_lo, s18
; %bb.30:                               ;   in Loop: Header=BB392_4 Depth=1
	v_bfe_u32 v11, v13, 21, 1
	s_delay_alu instid0(VALU_DEP_1) | instskip(NEXT) | instid1(VALU_DEP_1)
	v_add3_u32 v11, v6, v11, 0x80fffff
	v_lshrrev_b32_e32 v11, 21, v11
; %bb.31:                               ;   in Loop: Header=BB392_4 Depth=1
	s_and_not1_saveexec_b32 s18, s18
; %bb.32:                               ;   in Loop: Header=BB392_4 Depth=1
	v_add_f32_e64 v11, 0x43000000, |v6|
; %bb.33:                               ;   in Loop: Header=BB392_4 Depth=1
	s_or_b32 exec_lo, exec_lo, s18
                                        ; implicit-def: $vgpr12
.LBB392_34:                             ;   in Loop: Header=BB392_4 Depth=1
	s_and_not1_saveexec_b32 s2, s2
	s_cbranch_execz .LBB392_3
; %bb.35:                               ;   in Loop: Header=BB392_4 Depth=1
	v_cmp_lt_u32_e32 vcc_lo, 0x7f800000, v12
	v_cndmask_b32_e32 v11, 0x7c, v3, vcc_lo
	s_branch .LBB392_3
.LBB392_36:
	s_or_b32 exec_lo, exec_lo, s15
	s_mov_b32 s2, 0
.LBB392_37:
	s_delay_alu instid0(SALU_CYCLE_1)
	s_and_not1_b32 vcc_lo, exec_lo, s2
	s_cbranch_vccnz .LBB392_89
; %bb.38:
	v_cmp_lt_i64_e64 s2, s[4:5], 1
	s_delay_alu instid0(VALU_DEP_1)
	s_and_b32 vcc_lo, exec_lo, s2
	s_cbranch_vccnz .LBB392_89
; %bb.39:
	s_load_b32 s0, s[0:1], 0xc5c
	v_add_co_u32 v1, s1, s10, v0
	s_delay_alu instid0(VALU_DEP_1) | instskip(SKIP_1) | instid1(VALU_DEP_3)
	v_add_co_ci_u32_e64 v2, null, s11, 0, s1
	v_cmp_gt_u64_e64 s1, 0x10000, s[4:5]
	v_add_co_u32 v9, vcc_lo, s6, v1
	s_delay_alu instid0(VALU_DEP_3)
	v_add_co_ci_u32_e32 v10, vcc_lo, s7, v2, vcc_lo
	v_add_co_u32 v11, vcc_lo, s8, v1
	v_add_co_ci_u32_e32 v12, vcc_lo, s9, v2, vcc_lo
	v_mov_b32_e32 v31, 0x7f
                                        ; implicit-def: $vgpr32
                                        ; implicit-def: $vgpr33
                                        ; implicit-def: $vgpr34
                                        ; implicit-def: $vgpr35
	s_waitcnt lgkmcnt(0)
	s_and_b32 s0, s0, 0xffff
	s_and_b32 s1, s1, exec_lo
	s_mul_i32 s13, s0, 3
	s_cselect_b32 s3, s5, 0
	s_cselect_b32 s2, s4, 0x10000
	s_lshl_b32 s12, s0, 1
	s_lshl_b32 s1, s0, 2
	s_add_u32 s14, s10, s13
	s_addc_u32 s15, s11, 0
	v_add_co_u32 v3, s14, s14, v0
	s_delay_alu instid0(VALU_DEP_1) | instskip(SKIP_1) | instid1(VALU_DEP_2)
	v_add_co_ci_u32_e64 v4, null, s15, 0, s14
	s_add_u32 s10, s10, s12
	v_add_co_u32 v13, vcc_lo, s6, v3
	s_delay_alu instid0(VALU_DEP_2)
	v_add_co_ci_u32_e32 v14, vcc_lo, s7, v4, vcc_lo
	v_add_co_u32 v15, vcc_lo, s8, v3
	s_addc_u32 s11, s11, 0
	v_add_co_u32 v3, s10, s10, v0
	v_add_co_ci_u32_e32 v16, vcc_lo, s9, v4, vcc_lo
	v_add_co_ci_u32_e64 v4, null, s11, 0, s10
	s_delay_alu instid0(VALU_DEP_3) | instskip(SKIP_1) | instid1(VALU_DEP_3)
	v_add_co_u32 v19, vcc_lo, s6, v3
	v_add_co_u32 v17, s10, s13, v0
	v_add_co_ci_u32_e32 v20, vcc_lo, s7, v4, vcc_lo
	v_add_co_u32 v21, vcc_lo, s8, v3
	v_add_co_ci_u32_e32 v22, vcc_lo, s9, v4, vcc_lo
	v_add_co_u32 v1, vcc_lo, v1, s0
	v_add_co_ci_u32_e32 v2, vcc_lo, 0, v2, vcc_lo
	v_add_co_ci_u32_e64 v18, null, 0, 0, s10
	s_delay_alu instid0(VALU_DEP_3) | instskip(NEXT) | instid1(VALU_DEP_3)
	v_add_co_u32 v25, vcc_lo, s6, v1
	v_add_co_ci_u32_e32 v26, vcc_lo, s7, v2, vcc_lo
	v_add_co_u32 v23, s10, s12, v0
	v_add_co_u32 v27, vcc_lo, s8, v1
	v_add_co_u32 v29, s0, v0, s0
	v_add_co_ci_u32_e64 v24, null, 0, 0, s10
	v_add_co_ci_u32_e32 v28, vcc_lo, s9, v2, vcc_lo
	v_add_co_ci_u32_e64 v30, null, 0, 0, s0
	s_mov_b64 s[6:7], 0
	s_branch .LBB392_41
.LBB392_40:                             ;   in Loop: Header=BB392_41 Depth=1
	s_or_b32 exec_lo, exec_lo, s0
	s_add_u32 s6, s6, s1
	s_addc_u32 s7, s7, 0
	s_delay_alu instid0(SALU_CYCLE_1) | instskip(SKIP_1) | instid1(VALU_DEP_1)
	v_cmp_ge_i64_e64 s0, s[6:7], s[4:5]
	v_cmp_lt_u64_e64 s8, 0xffff, s[6:7]
	s_or_b32 s0, s0, s8
	s_delay_alu instid0(SALU_CYCLE_1)
	s_and_b32 vcc_lo, exec_lo, s0
	s_cbranch_vccnz .LBB392_89
.LBB392_41:                             ; =>This Inner Loop Header: Depth=1
	v_add_co_u32 v1, s0, v0, s6
	s_delay_alu instid0(VALU_DEP_1) | instskip(NEXT) | instid1(VALU_DEP_1)
	v_add_co_ci_u32_e64 v2, null, 0, s7, s0
	v_cmp_gt_i64_e32 vcc_lo, s[4:5], v[1:2]
	v_cmp_gt_u64_e64 s0, 0x10000, v[1:2]
	s_delay_alu instid0(VALU_DEP_1) | instskip(NEXT) | instid1(SALU_CYCLE_1)
	s_and_b32 s8, vcc_lo, s0
	s_and_saveexec_b32 s0, s8
	s_cbranch_execz .LBB392_43
; %bb.42:                               ;   in Loop: Header=BB392_41 Depth=1
	v_add_co_u32 v3, vcc_lo, v9, s6
	v_add_co_ci_u32_e32 v4, vcc_lo, s7, v10, vcc_lo
	global_load_u8 v35, v[3:4], off
.LBB392_43:                             ;   in Loop: Header=BB392_41 Depth=1
	s_or_b32 exec_lo, exec_lo, s0
	v_add_co_u32 v3, vcc_lo, v29, s6
	v_add_co_ci_u32_e32 v4, vcc_lo, s7, v30, vcc_lo
	s_delay_alu instid0(VALU_DEP_1) | instskip(SKIP_1) | instid1(VALU_DEP_1)
	v_cmp_gt_i64_e32 vcc_lo, s[4:5], v[3:4]
	v_cmp_gt_u64_e64 s0, 0x10000, v[3:4]
	s_and_b32 s8, vcc_lo, s0
	s_delay_alu instid0(SALU_CYCLE_1)
	s_and_saveexec_b32 s0, s8
	s_cbranch_execz .LBB392_45
; %bb.44:                               ;   in Loop: Header=BB392_41 Depth=1
	v_add_co_u32 v5, vcc_lo, v25, s6
	v_add_co_ci_u32_e32 v6, vcc_lo, s7, v26, vcc_lo
	global_load_u8 v34, v[5:6], off
.LBB392_45:                             ;   in Loop: Header=BB392_41 Depth=1
	s_or_b32 exec_lo, exec_lo, s0
	v_add_co_u32 v5, vcc_lo, v23, s6
	v_add_co_ci_u32_e32 v6, vcc_lo, s7, v24, vcc_lo
	s_delay_alu instid0(VALU_DEP_1) | instskip(SKIP_1) | instid1(VALU_DEP_1)
	v_cmp_gt_i64_e32 vcc_lo, s[4:5], v[5:6]
	v_cmp_gt_u64_e64 s0, 0x10000, v[5:6]
	s_and_b32 s8, vcc_lo, s0
	s_delay_alu instid0(SALU_CYCLE_1)
	;; [unrolled: 15-line block ×3, first 2 shown]
	s_and_saveexec_b32 s0, s8
	s_cbranch_execz .LBB392_49
; %bb.48:                               ;   in Loop: Header=BB392_41 Depth=1
	v_add_co_u32 v36, vcc_lo, v13, s6
	v_add_co_ci_u32_e32 v37, vcc_lo, s7, v14, vcc_lo
	global_load_u8 v32, v[36:37], off
.LBB392_49:                             ;   in Loop: Header=BB392_41 Depth=1
	s_or_b32 exec_lo, exec_lo, s0
	s_waitcnt vmcnt(0)
	v_lshlrev_b32_e32 v36, 24, v35
	s_mov_b32 s0, exec_lo
	s_delay_alu instid0(VALU_DEP_1) | instskip(NEXT) | instid1(VALU_DEP_1)
	v_and_b32_e32 v37, 0x7f000000, v36
	v_clz_i32_u32_e32 v38, v37
	v_add_nc_u32_e32 v40, 0x1000000, v37
	v_cmp_ne_u32_e32 vcc_lo, 0, v37
	s_delay_alu instid0(VALU_DEP_3) | instskip(NEXT) | instid1(VALU_DEP_1)
	v_min_u32_e32 v38, 32, v38
	v_sub_nc_u32_e64 v38, v38, 4 clamp
	s_delay_alu instid0(VALU_DEP_1) | instskip(SKIP_1) | instid1(VALU_DEP_2)
	v_lshlrev_b32_e32 v39, v38, v37
	v_lshlrev_b32_e32 v38, 23, v38
                                        ; implicit-def: $vgpr37
	v_lshrrev_b32_e32 v39, 4, v39
	s_delay_alu instid0(VALU_DEP_1) | instskip(SKIP_1) | instid1(VALU_DEP_2)
	v_sub_nc_u32_e32 v38, v39, v38
	v_ashrrev_i32_e32 v39, 8, v40
	v_add_nc_u32_e32 v38, 0x3c000000, v38
	s_delay_alu instid0(VALU_DEP_1) | instskip(NEXT) | instid1(VALU_DEP_1)
	v_and_or_b32 v38, 0x7f800000, v39, v38
	v_cndmask_b32_e32 v39, 0, v38, vcc_lo
	s_delay_alu instid0(VALU_DEP_1) | instskip(NEXT) | instid1(VALU_DEP_1)
	v_and_or_b32 v36, 0x80000000, v36, v39
	v_and_b32_e32 v38, 0x7fffffff, v36
	s_delay_alu instid0(VALU_DEP_1)
	v_cmpx_gt_u32_e32 0x47800000, v38
	s_xor_b32 s0, exec_lo, s0
	s_cbranch_execz .LBB392_55
; %bb.50:                               ;   in Loop: Header=BB392_41 Depth=1
	s_mov_b32 s8, exec_lo
                                        ; implicit-def: $vgpr37
	v_cmpx_lt_u32_e32 0x387fffff, v38
	s_xor_b32 s8, exec_lo, s8
; %bb.51:                               ;   in Loop: Header=BB392_41 Depth=1
	v_bfe_u32 v37, v39, 21, 1
	s_delay_alu instid0(VALU_DEP_1) | instskip(NEXT) | instid1(VALU_DEP_1)
	v_add3_u32 v37, v36, v37, 0x80fffff
	v_lshrrev_b32_e32 v37, 21, v37
; %bb.52:                               ;   in Loop: Header=BB392_41 Depth=1
	s_and_not1_saveexec_b32 s8, s8
; %bb.53:                               ;   in Loop: Header=BB392_41 Depth=1
	v_add_f32_e64 v37, 0x43000000, |v36|
; %bb.54:                               ;   in Loop: Header=BB392_41 Depth=1
	s_or_b32 exec_lo, exec_lo, s8
                                        ; implicit-def: $vgpr38
.LBB392_55:                             ;   in Loop: Header=BB392_41 Depth=1
	s_and_not1_saveexec_b32 s0, s0
; %bb.56:                               ;   in Loop: Header=BB392_41 Depth=1
	v_cmp_lt_u32_e32 vcc_lo, 0x7f800000, v38
	v_cndmask_b32_e32 v37, 0x7c, v31, vcc_lo
; %bb.57:                               ;   in Loop: Header=BB392_41 Depth=1
	s_or_b32 exec_lo, exec_lo, s0
	v_lshlrev_b32_e32 v38, 24, v34
	s_mov_b32 s0, exec_lo
	s_delay_alu instid0(VALU_DEP_1) | instskip(NEXT) | instid1(VALU_DEP_1)
	v_and_b32_e32 v39, 0x7f000000, v38
	v_clz_i32_u32_e32 v40, v39
	v_add_nc_u32_e32 v42, 0x1000000, v39
	v_cmp_ne_u32_e32 vcc_lo, 0, v39
	s_delay_alu instid0(VALU_DEP_3) | instskip(NEXT) | instid1(VALU_DEP_1)
	v_min_u32_e32 v40, 32, v40
	v_sub_nc_u32_e64 v40, v40, 4 clamp
	s_delay_alu instid0(VALU_DEP_1) | instskip(SKIP_1) | instid1(VALU_DEP_2)
	v_lshlrev_b32_e32 v41, v40, v39
	v_lshlrev_b32_e32 v40, 23, v40
                                        ; implicit-def: $vgpr39
	v_lshrrev_b32_e32 v41, 4, v41
	s_delay_alu instid0(VALU_DEP_1) | instskip(SKIP_1) | instid1(VALU_DEP_2)
	v_sub_nc_u32_e32 v40, v41, v40
	v_ashrrev_i32_e32 v41, 8, v42
	v_add_nc_u32_e32 v40, 0x3c000000, v40
	s_delay_alu instid0(VALU_DEP_1) | instskip(NEXT) | instid1(VALU_DEP_1)
	v_and_or_b32 v40, 0x7f800000, v41, v40
	v_cndmask_b32_e32 v41, 0, v40, vcc_lo
	s_delay_alu instid0(VALU_DEP_1) | instskip(NEXT) | instid1(VALU_DEP_1)
	v_and_or_b32 v38, 0x80000000, v38, v41
	v_and_b32_e32 v40, 0x7fffffff, v38
	s_delay_alu instid0(VALU_DEP_1)
	v_cmpx_gt_u32_e32 0x47800000, v40
	s_xor_b32 s0, exec_lo, s0
	s_cbranch_execz .LBB392_63
; %bb.58:                               ;   in Loop: Header=BB392_41 Depth=1
	s_mov_b32 s8, exec_lo
                                        ; implicit-def: $vgpr39
	v_cmpx_lt_u32_e32 0x387fffff, v40
	s_xor_b32 s8, exec_lo, s8
; %bb.59:                               ;   in Loop: Header=BB392_41 Depth=1
	v_bfe_u32 v39, v41, 21, 1
	s_delay_alu instid0(VALU_DEP_1) | instskip(NEXT) | instid1(VALU_DEP_1)
	v_add3_u32 v39, v38, v39, 0x80fffff
	v_lshrrev_b32_e32 v39, 21, v39
; %bb.60:                               ;   in Loop: Header=BB392_41 Depth=1
	s_and_not1_saveexec_b32 s8, s8
; %bb.61:                               ;   in Loop: Header=BB392_41 Depth=1
	v_add_f32_e64 v39, 0x43000000, |v38|
; %bb.62:                               ;   in Loop: Header=BB392_41 Depth=1
	s_or_b32 exec_lo, exec_lo, s8
                                        ; implicit-def: $vgpr40
.LBB392_63:                             ;   in Loop: Header=BB392_41 Depth=1
	s_and_not1_saveexec_b32 s0, s0
; %bb.64:                               ;   in Loop: Header=BB392_41 Depth=1
	v_cmp_lt_u32_e32 vcc_lo, 0x7f800000, v40
	v_cndmask_b32_e32 v39, 0x7c, v31, vcc_lo
; %bb.65:                               ;   in Loop: Header=BB392_41 Depth=1
	s_or_b32 exec_lo, exec_lo, s0
	v_lshlrev_b32_e32 v40, 24, v33
	s_mov_b32 s0, exec_lo
	s_delay_alu instid0(VALU_DEP_1) | instskip(NEXT) | instid1(VALU_DEP_1)
	v_and_b32_e32 v41, 0x7f000000, v40
	v_clz_i32_u32_e32 v42, v41
	v_add_nc_u32_e32 v44, 0x1000000, v41
	v_cmp_ne_u32_e32 vcc_lo, 0, v41
	s_delay_alu instid0(VALU_DEP_3) | instskip(NEXT) | instid1(VALU_DEP_1)
	v_min_u32_e32 v42, 32, v42
	v_sub_nc_u32_e64 v42, v42, 4 clamp
	s_delay_alu instid0(VALU_DEP_1) | instskip(SKIP_1) | instid1(VALU_DEP_2)
	v_lshlrev_b32_e32 v43, v42, v41
	v_lshlrev_b32_e32 v42, 23, v42
                                        ; implicit-def: $vgpr41
	v_lshrrev_b32_e32 v43, 4, v43
	s_delay_alu instid0(VALU_DEP_1) | instskip(SKIP_1) | instid1(VALU_DEP_2)
	v_sub_nc_u32_e32 v42, v43, v42
	v_ashrrev_i32_e32 v43, 8, v44
	v_add_nc_u32_e32 v42, 0x3c000000, v42
	s_delay_alu instid0(VALU_DEP_1) | instskip(NEXT) | instid1(VALU_DEP_1)
	v_and_or_b32 v42, 0x7f800000, v43, v42
	v_cndmask_b32_e32 v43, 0, v42, vcc_lo
	s_delay_alu instid0(VALU_DEP_1) | instskip(NEXT) | instid1(VALU_DEP_1)
	v_and_or_b32 v40, 0x80000000, v40, v43
	v_and_b32_e32 v42, 0x7fffffff, v40
	s_delay_alu instid0(VALU_DEP_1)
	v_cmpx_gt_u32_e32 0x47800000, v42
	s_xor_b32 s0, exec_lo, s0
	s_cbranch_execz .LBB392_71
; %bb.66:                               ;   in Loop: Header=BB392_41 Depth=1
	s_mov_b32 s8, exec_lo
                                        ; implicit-def: $vgpr41
	v_cmpx_lt_u32_e32 0x387fffff, v42
	s_xor_b32 s8, exec_lo, s8
; %bb.67:                               ;   in Loop: Header=BB392_41 Depth=1
	v_bfe_u32 v41, v43, 21, 1
	s_delay_alu instid0(VALU_DEP_1) | instskip(NEXT) | instid1(VALU_DEP_1)
	v_add3_u32 v41, v40, v41, 0x80fffff
	v_lshrrev_b32_e32 v41, 21, v41
; %bb.68:                               ;   in Loop: Header=BB392_41 Depth=1
	s_and_not1_saveexec_b32 s8, s8
; %bb.69:                               ;   in Loop: Header=BB392_41 Depth=1
	v_add_f32_e64 v41, 0x43000000, |v40|
; %bb.70:                               ;   in Loop: Header=BB392_41 Depth=1
	s_or_b32 exec_lo, exec_lo, s8
                                        ; implicit-def: $vgpr42
.LBB392_71:                             ;   in Loop: Header=BB392_41 Depth=1
	s_and_not1_saveexec_b32 s0, s0
; %bb.72:                               ;   in Loop: Header=BB392_41 Depth=1
	v_cmp_lt_u32_e32 vcc_lo, 0x7f800000, v42
	v_cndmask_b32_e32 v41, 0x7c, v31, vcc_lo
; %bb.73:                               ;   in Loop: Header=BB392_41 Depth=1
	s_or_b32 exec_lo, exec_lo, s0
	v_lshlrev_b32_e32 v42, 24, v32
	s_mov_b32 s0, exec_lo
	s_delay_alu instid0(VALU_DEP_1) | instskip(NEXT) | instid1(VALU_DEP_1)
	v_and_b32_e32 v43, 0x7f000000, v42
	v_clz_i32_u32_e32 v44, v43
	v_cmp_ne_u32_e32 vcc_lo, 0, v43
	v_add_nc_u32_e32 v46, 0x1000000, v43
	s_delay_alu instid0(VALU_DEP_3) | instskip(NEXT) | instid1(VALU_DEP_1)
	v_min_u32_e32 v44, 32, v44
	v_sub_nc_u32_e64 v44, v44, 4 clamp
	s_delay_alu instid0(VALU_DEP_1) | instskip(SKIP_1) | instid1(VALU_DEP_2)
	v_lshlrev_b32_e32 v45, v44, v43
	v_lshlrev_b32_e32 v44, 23, v44
                                        ; implicit-def: $vgpr43
	v_lshrrev_b32_e32 v45, 4, v45
	s_delay_alu instid0(VALU_DEP_1) | instskip(SKIP_1) | instid1(VALU_DEP_2)
	v_sub_nc_u32_e32 v44, v45, v44
	v_ashrrev_i32_e32 v45, 8, v46
	v_add_nc_u32_e32 v44, 0x3c000000, v44
	s_delay_alu instid0(VALU_DEP_1) | instskip(NEXT) | instid1(VALU_DEP_1)
	v_and_or_b32 v44, 0x7f800000, v45, v44
	v_cndmask_b32_e32 v45, 0, v44, vcc_lo
	s_delay_alu instid0(VALU_DEP_1) | instskip(NEXT) | instid1(VALU_DEP_1)
	v_and_or_b32 v42, 0x80000000, v42, v45
	v_and_b32_e32 v44, 0x7fffffff, v42
	s_delay_alu instid0(VALU_DEP_1)
	v_cmpx_gt_u32_e32 0x47800000, v44
	s_xor_b32 s0, exec_lo, s0
	s_cbranch_execz .LBB392_79
; %bb.74:                               ;   in Loop: Header=BB392_41 Depth=1
	s_mov_b32 s8, exec_lo
                                        ; implicit-def: $vgpr43
	v_cmpx_lt_u32_e32 0x387fffff, v44
	s_xor_b32 s8, exec_lo, s8
; %bb.75:                               ;   in Loop: Header=BB392_41 Depth=1
	v_bfe_u32 v43, v45, 21, 1
	s_delay_alu instid0(VALU_DEP_1) | instskip(NEXT) | instid1(VALU_DEP_1)
	v_add3_u32 v43, v42, v43, 0x80fffff
	v_lshrrev_b32_e32 v43, 21, v43
; %bb.76:                               ;   in Loop: Header=BB392_41 Depth=1
	s_and_not1_saveexec_b32 s8, s8
; %bb.77:                               ;   in Loop: Header=BB392_41 Depth=1
	v_add_f32_e64 v43, 0x43000000, |v42|
; %bb.78:                               ;   in Loop: Header=BB392_41 Depth=1
	s_or_b32 exec_lo, exec_lo, s8
                                        ; implicit-def: $vgpr44
.LBB392_79:                             ;   in Loop: Header=BB392_41 Depth=1
	s_and_not1_saveexec_b32 s0, s0
; %bb.80:                               ;   in Loop: Header=BB392_41 Depth=1
	v_cmp_lt_u32_e32 vcc_lo, 0x7f800000, v44
	v_cndmask_b32_e32 v43, 0x7c, v31, vcc_lo
; %bb.81:                               ;   in Loop: Header=BB392_41 Depth=1
	s_or_b32 exec_lo, exec_lo, s0
	s_delay_alu instid0(SALU_CYCLE_1)
	s_mov_b32 s0, exec_lo
	v_cmpx_gt_u64_e64 s[2:3], v[1:2]
	s_xor_b32 s0, exec_lo, s0
	s_cbranch_execnz .LBB392_85
; %bb.82:                               ;   in Loop: Header=BB392_41 Depth=1
	s_or_b32 exec_lo, exec_lo, s0
	s_delay_alu instid0(SALU_CYCLE_1)
	s_mov_b32 s0, exec_lo
	v_cmpx_gt_u64_e64 s[2:3], v[3:4]
	s_cbranch_execnz .LBB392_86
.LBB392_83:                             ;   in Loop: Header=BB392_41 Depth=1
	s_or_b32 exec_lo, exec_lo, s0
	s_delay_alu instid0(SALU_CYCLE_1)
	s_mov_b32 s0, exec_lo
	v_cmpx_gt_u64_e64 s[2:3], v[5:6]
	s_cbranch_execnz .LBB392_87
.LBB392_84:                             ;   in Loop: Header=BB392_41 Depth=1
	s_or_b32 exec_lo, exec_lo, s0
	s_delay_alu instid0(SALU_CYCLE_1)
	s_mov_b32 s0, exec_lo
	v_cmpx_gt_u64_e64 s[2:3], v[7:8]
	s_cbranch_execz .LBB392_40
	s_branch .LBB392_88
.LBB392_85:                             ;   in Loop: Header=BB392_41 Depth=1
	v_lshrrev_b32_e32 v1, 24, v36
	s_delay_alu instid0(VALU_DEP_1) | instskip(SKIP_4) | instid1(SALU_CYCLE_1)
	v_and_or_b32 v36, 0x80, v1, v37
	v_add_co_u32 v1, vcc_lo, v11, s6
	v_add_co_ci_u32_e32 v2, vcc_lo, s7, v12, vcc_lo
	global_store_b8 v[1:2], v36, off
	s_or_b32 exec_lo, exec_lo, s0
	s_mov_b32 s0, exec_lo
	v_cmpx_gt_u64_e64 s[2:3], v[3:4]
	s_cbranch_execz .LBB392_83
.LBB392_86:                             ;   in Loop: Header=BB392_41 Depth=1
	v_lshrrev_b32_e32 v1, 24, v38
	s_delay_alu instid0(VALU_DEP_1) | instskip(SKIP_4) | instid1(SALU_CYCLE_1)
	v_and_or_b32 v3, 0x80, v1, v39
	v_add_co_u32 v1, vcc_lo, v27, s6
	v_add_co_ci_u32_e32 v2, vcc_lo, s7, v28, vcc_lo
	global_store_b8 v[1:2], v3, off
	s_or_b32 exec_lo, exec_lo, s0
	s_mov_b32 s0, exec_lo
	v_cmpx_gt_u64_e64 s[2:3], v[5:6]
	s_cbranch_execz .LBB392_84
.LBB392_87:                             ;   in Loop: Header=BB392_41 Depth=1
	v_lshrrev_b32_e32 v1, 24, v40
	s_delay_alu instid0(VALU_DEP_1) | instskip(SKIP_4) | instid1(SALU_CYCLE_1)
	v_and_or_b32 v3, 0x80, v1, v41
	v_add_co_u32 v1, vcc_lo, v21, s6
	v_add_co_ci_u32_e32 v2, vcc_lo, s7, v22, vcc_lo
	global_store_b8 v[1:2], v3, off
	s_or_b32 exec_lo, exec_lo, s0
	s_mov_b32 s0, exec_lo
	v_cmpx_gt_u64_e64 s[2:3], v[7:8]
	s_cbranch_execz .LBB392_40
.LBB392_88:                             ;   in Loop: Header=BB392_41 Depth=1
	v_lshrrev_b32_e32 v1, 24, v42
	s_delay_alu instid0(VALU_DEP_1)
	v_and_or_b32 v3, 0x80, v1, v43
	v_add_co_u32 v1, vcc_lo, v15, s6
	v_add_co_ci_u32_e32 v2, vcc_lo, s7, v16, vcc_lo
	global_store_b8 v[1:2], v3, off
	s_branch .LBB392_40
.LBB392_89:
	s_nop 0
	s_sendmsg sendmsg(MSG_DEALLOC_VGPRS)
	s_endpgm
	.section	.rodata,"a",@progbits
	.p2align	6, 0x0
	.amdhsa_kernel _ZN2at6native12_GLOBAL__N_125multi_tensor_apply_kernelINS1_18TensorListMetadataILi2EEENS1_11CopyFunctorIN3c1011Float8_e5m2ENS6_13Float8_e4m3fnELi2ELi1ELi1EEEJNS0_4CopyIS7_S8_EEEEEvT_T0_DpT1_
		.amdhsa_group_segment_fixed_size 0
		.amdhsa_private_segment_fixed_size 0
		.amdhsa_kernarg_size 3408
		.amdhsa_user_sgpr_count 15
		.amdhsa_user_sgpr_dispatch_ptr 0
		.amdhsa_user_sgpr_queue_ptr 0
		.amdhsa_user_sgpr_kernarg_segment_ptr 1
		.amdhsa_user_sgpr_dispatch_id 0
		.amdhsa_user_sgpr_private_segment_size 0
		.amdhsa_wavefront_size32 1
		.amdhsa_uses_dynamic_stack 0
		.amdhsa_enable_private_segment 0
		.amdhsa_system_sgpr_workgroup_id_x 1
		.amdhsa_system_sgpr_workgroup_id_y 0
		.amdhsa_system_sgpr_workgroup_id_z 0
		.amdhsa_system_sgpr_workgroup_info 0
		.amdhsa_system_vgpr_workitem_id 0
		.amdhsa_next_free_vgpr 47
		.amdhsa_next_free_sgpr 19
		.amdhsa_reserve_vcc 1
		.amdhsa_float_round_mode_32 0
		.amdhsa_float_round_mode_16_64 0
		.amdhsa_float_denorm_mode_32 3
		.amdhsa_float_denorm_mode_16_64 3
		.amdhsa_dx10_clamp 1
		.amdhsa_ieee_mode 1
		.amdhsa_fp16_overflow 0
		.amdhsa_workgroup_processor_mode 1
		.amdhsa_memory_ordered 1
		.amdhsa_forward_progress 0
		.amdhsa_shared_vgpr_count 0
		.amdhsa_exception_fp_ieee_invalid_op 0
		.amdhsa_exception_fp_denorm_src 0
		.amdhsa_exception_fp_ieee_div_zero 0
		.amdhsa_exception_fp_ieee_overflow 0
		.amdhsa_exception_fp_ieee_underflow 0
		.amdhsa_exception_fp_ieee_inexact 0
		.amdhsa_exception_int_div_zero 0
	.end_amdhsa_kernel
	.section	.text._ZN2at6native12_GLOBAL__N_125multi_tensor_apply_kernelINS1_18TensorListMetadataILi2EEENS1_11CopyFunctorIN3c1011Float8_e5m2ENS6_13Float8_e4m3fnELi2ELi1ELi1EEEJNS0_4CopyIS7_S8_EEEEEvT_T0_DpT1_,"axG",@progbits,_ZN2at6native12_GLOBAL__N_125multi_tensor_apply_kernelINS1_18TensorListMetadataILi2EEENS1_11CopyFunctorIN3c1011Float8_e5m2ENS6_13Float8_e4m3fnELi2ELi1ELi1EEEJNS0_4CopyIS7_S8_EEEEEvT_T0_DpT1_,comdat
.Lfunc_end392:
	.size	_ZN2at6native12_GLOBAL__N_125multi_tensor_apply_kernelINS1_18TensorListMetadataILi2EEENS1_11CopyFunctorIN3c1011Float8_e5m2ENS6_13Float8_e4m3fnELi2ELi1ELi1EEEJNS0_4CopyIS7_S8_EEEEEvT_T0_DpT1_, .Lfunc_end392-_ZN2at6native12_GLOBAL__N_125multi_tensor_apply_kernelINS1_18TensorListMetadataILi2EEENS1_11CopyFunctorIN3c1011Float8_e5m2ENS6_13Float8_e4m3fnELi2ELi1ELi1EEEJNS0_4CopyIS7_S8_EEEEEvT_T0_DpT1_
                                        ; -- End function
	.section	.AMDGPU.csdata,"",@progbits
; Kernel info:
; codeLenInByte = 3412
; NumSgprs: 21
; NumVgprs: 47
; ScratchSize: 0
; MemoryBound: 0
; FloatMode: 240
; IeeeMode: 1
; LDSByteSize: 0 bytes/workgroup (compile time only)
; SGPRBlocks: 2
; VGPRBlocks: 5
; NumSGPRsForWavesPerEU: 21
; NumVGPRsForWavesPerEU: 47
; Occupancy: 16
; WaveLimiterHint : 0
; COMPUTE_PGM_RSRC2:SCRATCH_EN: 0
; COMPUTE_PGM_RSRC2:USER_SGPR: 15
; COMPUTE_PGM_RSRC2:TRAP_HANDLER: 0
; COMPUTE_PGM_RSRC2:TGID_X_EN: 1
; COMPUTE_PGM_RSRC2:TGID_Y_EN: 0
; COMPUTE_PGM_RSRC2:TGID_Z_EN: 0
; COMPUTE_PGM_RSRC2:TIDIG_COMP_CNT: 0
	.section	.text._ZN2at6native12_GLOBAL__N_125multi_tensor_apply_kernelINS1_18TensorListMetadataILi2EEENS1_11CopyFunctorIN3c1011Float8_e5m2ENS6_15Float8_e4m3fnuzELi2ELi1ELi1EEEJNS0_4CopyIS7_S8_EEEEEvT_T0_DpT1_,"axG",@progbits,_ZN2at6native12_GLOBAL__N_125multi_tensor_apply_kernelINS1_18TensorListMetadataILi2EEENS1_11CopyFunctorIN3c1011Float8_e5m2ENS6_15Float8_e4m3fnuzELi2ELi1ELi1EEEJNS0_4CopyIS7_S8_EEEEEvT_T0_DpT1_,comdat
	.globl	_ZN2at6native12_GLOBAL__N_125multi_tensor_apply_kernelINS1_18TensorListMetadataILi2EEENS1_11CopyFunctorIN3c1011Float8_e5m2ENS6_15Float8_e4m3fnuzELi2ELi1ELi1EEEJNS0_4CopyIS7_S8_EEEEEvT_T0_DpT1_ ; -- Begin function _ZN2at6native12_GLOBAL__N_125multi_tensor_apply_kernelINS1_18TensorListMetadataILi2EEENS1_11CopyFunctorIN3c1011Float8_e5m2ENS6_15Float8_e4m3fnuzELi2ELi1ELi1EEEJNS0_4CopyIS7_S8_EEEEEvT_T0_DpT1_
	.p2align	8
	.type	_ZN2at6native12_GLOBAL__N_125multi_tensor_apply_kernelINS1_18TensorListMetadataILi2EEENS1_11CopyFunctorIN3c1011Float8_e5m2ENS6_15Float8_e4m3fnuzELi2ELi1ELi1EEEJNS0_4CopyIS7_S8_EEEEEvT_T0_DpT1_,@function
_ZN2at6native12_GLOBAL__N_125multi_tensor_apply_kernelINS1_18TensorListMetadataILi2EEENS1_11CopyFunctorIN3c1011Float8_e5m2ENS6_15Float8_e4m3fnuzELi2ELi1ELi1EEEJNS0_4CopyIS7_S8_EEEEEvT_T0_DpT1_: ; @_ZN2at6native12_GLOBAL__N_125multi_tensor_apply_kernelINS1_18TensorListMetadataILi2EEENS1_11CopyFunctorIN3c1011Float8_e5m2ENS6_15Float8_e4m3fnuzELi2ELi1ELi1EEEJNS0_4CopyIS7_S8_EEEEEvT_T0_DpT1_
; %bb.0:
	v_mov_b32_e32 v1, s15
	s_add_u32 s2, s0, s15
	s_mul_i32 s4, s15, 3
	s_addc_u32 s3, s1, 0
	s_mul_hi_u32 s5, s15, 3
	global_load_u8 v1, v1, s[0:1] offset:1536
	s_add_u32 s2, s2, s4
	s_addc_u32 s3, s3, s5
	s_load_b32 s2, s[2:3], 0x740
	s_waitcnt vmcnt(0)
	v_readfirstlane_b32 s4, v1
	s_delay_alu instid0(VALU_DEP_1)
	s_lshl_b32 s3, s4, 3
	s_clause 0x2
	s_load_b64 s[6:7], s[0:1], s3 offset:0x0
	s_load_b64 s[8:9], s[0:1], s3 offset:0x200
	;; [unrolled: 1-line block ×3, first 2 shown]
	s_waitcnt lgkmcnt(0)
	s_ashr_i32 s3, s2, 31
	s_delay_alu instid0(SALU_CYCLE_1) | instskip(NEXT) | instid1(SALU_CYCLE_1)
	s_lshl_b64 s[10:11], s[2:3], 16
	s_add_u32 s3, s6, s10
	s_addc_u32 s14, s7, s11
	s_add_u32 s12, s8, s10
	s_addc_u32 s13, s9, s11
	s_delay_alu instid0(SALU_CYCLE_1) | instskip(NEXT) | instid1(SALU_CYCLE_1)
	s_or_b64 s[16:17], s[4:5], s[12:13]
	s_or_b32 s2, s3, s16
	s_delay_alu instid0(SALU_CYCLE_1)
	s_and_b32 s2, s2, 3
	s_sub_u32 s4, s4, s10
	s_subb_u32 s5, s5, s11
	s_cmp_eq_u32 s2, 0
	s_mov_b32 s2, -1
	s_cbranch_scc0 .LBB393_69
; %bb.1:
	v_dual_mov_b32 v2, 0 :: v_dual_lshlrev_b32 v1, 2, v0
	s_mov_b32 s15, exec_lo
	s_delay_alu instid0(VALU_DEP_1)
	v_cmpx_gt_i64_e64 s[4:5], v[1:2]
	s_cbranch_execz .LBB393_68
; %bb.2:
	s_load_b32 s2, s[0:1], 0xc5c
	v_mov_b32_e32 v3, 0x7f
	s_mov_b32 s17, 0
	s_waitcnt lgkmcnt(0)
	s_and_b32 s2, s2, 0xffff
	s_delay_alu instid0(SALU_CYCLE_1)
	s_lshl_b32 s16, s2, 2
	s_branch .LBB393_4
.LBB393_3:                              ;   in Loop: Header=BB393_4 Depth=1
	s_or_b32 exec_lo, exec_lo, s2
	v_lshrrev_b32_e32 v9, 24, v9
	v_lshrrev_b32_e32 v7, 24, v7
	v_add_co_u32 v12, vcc_lo, s12, v1
	v_add_co_ci_u32_e32 v13, vcc_lo, s13, v2, vcc_lo
	s_delay_alu instid0(VALU_DEP_4) | instskip(NEXT) | instid1(VALU_DEP_4)
	v_and_b32_e32 v9, 0x80, v9
	v_and_b32_e32 v7, 0x80, v7
	v_add_co_u32 v1, vcc_lo, s16, v1
	v_add_co_ci_u32_e32 v2, vcc_lo, 0, v2, vcc_lo
	s_delay_alu instid0(VALU_DEP_4)
	v_and_or_b32 v9, 0xff, v10, v9
	v_lshlrev_b32_e32 v5, 24, v5
	v_and_b32_e32 v11, 0x80000000, v11
	v_lshrrev_b32_e32 v4, 24, v4
	v_and_or_b32 v7, 0xff, v8, v7
	v_lshlrev_b32_e32 v9, 16, v9
	v_and_b32_e32 v6, 0xff, v6
	v_cmp_le_i64_e32 vcc_lo, s[4:5], v[1:2]
	v_cmp_lt_u64_e64 s2, 0xffff, v[1:2]
	v_lshlrev_b32_e32 v7, 8, v7
	v_or3_b32 v5, v11, v5, v9
	v_and_or_b32 v4, 0x80, v4, v6
	s_delay_alu instid0(VALU_DEP_4) | instskip(NEXT) | instid1(VALU_DEP_1)
	s_or_b32 s2, vcc_lo, s2
	v_or3_b32 v4, v5, v7, v4
	s_and_b32 s2, exec_lo, s2
	s_delay_alu instid0(SALU_CYCLE_1)
	s_or_b32 s17, s2, s17
	global_store_b32 v[12:13], v4, off
	s_and_not1_b32 exec_lo, exec_lo, s17
	s_cbranch_execz .LBB393_68
.LBB393_4:                              ; =>This Inner Loop Header: Depth=1
	v_add_co_u32 v4, vcc_lo, s3, v1
	v_add_co_ci_u32_e32 v5, vcc_lo, s14, v2, vcc_lo
	s_mov_b32 s2, 0
	s_mov_b32 s19, exec_lo
                                        ; implicit-def: $sgpr18
	global_load_b32 v5, v[4:5], off
	s_waitcnt vmcnt(0)
	v_and_b32_e32 v6, 0xff, v5
	s_delay_alu instid0(VALU_DEP_1)
	v_cmpx_lt_i16_e32 0x7f, v6
	s_xor_b32 s19, exec_lo, s19
	s_cbranch_execnz .LBB393_52
; %bb.5:                                ;   in Loop: Header=BB393_4 Depth=1
	s_or_saveexec_b32 s19, s19
	v_mov_b32_e32 v4, s18
	s_xor_b32 exec_lo, exec_lo, s19
	s_cbranch_execnz .LBB393_55
.LBB393_6:                              ;   in Loop: Header=BB393_4 Depth=1
	s_or_b32 exec_lo, exec_lo, s19
	s_and_saveexec_b32 s18, s2
	s_cbranch_execz .LBB393_8
.LBB393_7:                              ;   in Loop: Header=BB393_4 Depth=1
	v_and_b32_e32 v4, 7, v5
	v_bfe_u32 v8, v5, 3, 4
	s_delay_alu instid0(VALU_DEP_2) | instskip(NEXT) | instid1(VALU_DEP_2)
	v_clz_i32_u32_e32 v6, v4
	v_cmp_eq_u32_e32 vcc_lo, 0, v8
	s_delay_alu instid0(VALU_DEP_2) | instskip(NEXT) | instid1(VALU_DEP_1)
	v_min_u32_e32 v6, 32, v6
	v_subrev_nc_u32_e32 v7, 28, v6
	v_sub_nc_u32_e32 v6, 29, v6
	s_delay_alu instid0(VALU_DEP_1) | instskip(NEXT) | instid1(VALU_DEP_1)
	v_dual_cndmask_b32 v6, v8, v6 :: v_dual_lshlrev_b32 v7, v7, v5
	v_and_b32_e32 v7, 7, v7
	v_lshlrev_b32_e32 v9, 24, v5
	s_delay_alu instid0(VALU_DEP_3) | instskip(NEXT) | instid1(VALU_DEP_2)
	v_lshl_add_u32 v6, v6, 23, 0x3b800000
	v_dual_cndmask_b32 v4, v4, v7 :: v_dual_and_b32 v7, 0x80000000, v9
	s_delay_alu instid0(VALU_DEP_1) | instskip(NEXT) | instid1(VALU_DEP_1)
	v_lshlrev_b32_e32 v4, 20, v4
	v_or3_b32 v4, v7, v6, v4
.LBB393_8:                              ;   in Loop: Header=BB393_4 Depth=1
	s_or_b32 exec_lo, exec_lo, s18
	s_delay_alu instid0(VALU_DEP_1) | instskip(SKIP_1) | instid1(VALU_DEP_1)
	v_and_b32_e32 v7, 0x7fffffff, v4
	s_mov_b32 s2, exec_lo
                                        ; implicit-def: $vgpr6
	v_cmpx_gt_u32_e32 0x47800000, v7
	s_xor_b32 s2, exec_lo, s2
	s_cbranch_execz .LBB393_14
; %bb.9:                                ;   in Loop: Header=BB393_4 Depth=1
	s_mov_b32 s18, exec_lo
                                        ; implicit-def: $vgpr6
	v_cmpx_lt_u32_e32 0x387fffff, v7
	s_xor_b32 s18, exec_lo, s18
; %bb.10:                               ;   in Loop: Header=BB393_4 Depth=1
	v_bfe_u32 v6, v4, 21, 1
	s_delay_alu instid0(VALU_DEP_1) | instskip(NEXT) | instid1(VALU_DEP_1)
	v_add3_u32 v6, v4, v6, 0x80fffff
	v_lshrrev_b32_e32 v6, 21, v6
; %bb.11:                               ;   in Loop: Header=BB393_4 Depth=1
	s_and_not1_saveexec_b32 s18, s18
; %bb.12:                               ;   in Loop: Header=BB393_4 Depth=1
	v_add_f32_e64 v6, 0x43000000, |v4|
; %bb.13:                               ;   in Loop: Header=BB393_4 Depth=1
	s_or_b32 exec_lo, exec_lo, s18
                                        ; implicit-def: $vgpr7
.LBB393_14:                             ;   in Loop: Header=BB393_4 Depth=1
	s_and_not1_saveexec_b32 s2, s2
; %bb.15:                               ;   in Loop: Header=BB393_4 Depth=1
	v_cmp_lt_u32_e32 vcc_lo, 0x7f800000, v7
	v_cndmask_b32_e32 v6, 0x7c, v3, vcc_lo
; %bb.16:                               ;   in Loop: Header=BB393_4 Depth=1
	s_or_b32 exec_lo, exec_lo, s2
	v_lshrrev_b32_e32 v8, 8, v5
	s_mov_b32 s2, 0
	s_mov_b32 s19, exec_lo
                                        ; implicit-def: $sgpr18
	s_delay_alu instid0(VALU_DEP_1) | instskip(NEXT) | instid1(VALU_DEP_1)
	v_and_b32_e32 v9, 0xff, v8
	v_cmpx_lt_i16_e32 0x7f, v9
	s_xor_b32 s19, exec_lo, s19
	s_cbranch_execnz .LBB393_56
; %bb.17:                               ;   in Loop: Header=BB393_4 Depth=1
	s_or_saveexec_b32 s19, s19
	v_mov_b32_e32 v7, s18
	s_xor_b32 exec_lo, exec_lo, s19
	s_cbranch_execnz .LBB393_59
.LBB393_18:                             ;   in Loop: Header=BB393_4 Depth=1
	s_or_b32 exec_lo, exec_lo, s19
	s_and_saveexec_b32 s18, s2
	s_cbranch_execz .LBB393_20
.LBB393_19:                             ;   in Loop: Header=BB393_4 Depth=1
	v_bfe_u32 v7, v5, 8, 3
	v_bfe_u32 v11, v5, 11, 4
	s_delay_alu instid0(VALU_DEP_2) | instskip(NEXT) | instid1(VALU_DEP_2)
	v_clz_i32_u32_e32 v9, v7
	v_cmp_eq_u32_e32 vcc_lo, 0, v11
	s_delay_alu instid0(VALU_DEP_2) | instskip(NEXT) | instid1(VALU_DEP_1)
	v_min_u32_e32 v9, 32, v9
	v_subrev_nc_u32_e32 v10, 28, v9
	v_sub_nc_u32_e32 v9, 29, v9
	s_delay_alu instid0(VALU_DEP_1) | instskip(NEXT) | instid1(VALU_DEP_1)
	v_dual_cndmask_b32 v9, v11, v9 :: v_dual_lshlrev_b32 v10, v10, v8
	v_and_b32_e32 v10, 7, v10
	v_lshlrev_b32_e32 v8, 24, v8
	s_delay_alu instid0(VALU_DEP_3) | instskip(NEXT) | instid1(VALU_DEP_2)
	v_lshl_add_u32 v9, v9, 23, 0x3b800000
	v_dual_cndmask_b32 v7, v7, v10 :: v_dual_and_b32 v8, 0x80000000, v8
	s_delay_alu instid0(VALU_DEP_1) | instskip(NEXT) | instid1(VALU_DEP_1)
	v_lshlrev_b32_e32 v7, 20, v7
	v_or3_b32 v7, v8, v9, v7
.LBB393_20:                             ;   in Loop: Header=BB393_4 Depth=1
	s_or_b32 exec_lo, exec_lo, s18
	s_delay_alu instid0(VALU_DEP_1) | instskip(SKIP_1) | instid1(VALU_DEP_1)
	v_and_b32_e32 v9, 0x7fffffff, v7
	s_mov_b32 s2, exec_lo
                                        ; implicit-def: $vgpr8
	v_cmpx_gt_u32_e32 0x47800000, v9
	s_xor_b32 s2, exec_lo, s2
	s_cbranch_execz .LBB393_26
; %bb.21:                               ;   in Loop: Header=BB393_4 Depth=1
	s_mov_b32 s18, exec_lo
                                        ; implicit-def: $vgpr8
	v_cmpx_lt_u32_e32 0x387fffff, v9
	s_xor_b32 s18, exec_lo, s18
; %bb.22:                               ;   in Loop: Header=BB393_4 Depth=1
	v_bfe_u32 v8, v7, 21, 1
	s_delay_alu instid0(VALU_DEP_1) | instskip(NEXT) | instid1(VALU_DEP_1)
	v_add3_u32 v8, v7, v8, 0x80fffff
	v_lshrrev_b32_e32 v8, 21, v8
; %bb.23:                               ;   in Loop: Header=BB393_4 Depth=1
	s_and_not1_saveexec_b32 s18, s18
; %bb.24:                               ;   in Loop: Header=BB393_4 Depth=1
	v_add_f32_e64 v8, 0x43000000, |v7|
; %bb.25:                               ;   in Loop: Header=BB393_4 Depth=1
	s_or_b32 exec_lo, exec_lo, s18
                                        ; implicit-def: $vgpr9
.LBB393_26:                             ;   in Loop: Header=BB393_4 Depth=1
	s_and_not1_saveexec_b32 s2, s2
; %bb.27:                               ;   in Loop: Header=BB393_4 Depth=1
	v_cmp_lt_u32_e32 vcc_lo, 0x7f800000, v9
	v_cndmask_b32_e32 v8, 0x7c, v3, vcc_lo
; %bb.28:                               ;   in Loop: Header=BB393_4 Depth=1
	s_or_b32 exec_lo, exec_lo, s2
	v_lshrrev_b32_e32 v10, 16, v5
	s_mov_b32 s2, 0
	s_mov_b32 s19, exec_lo
                                        ; implicit-def: $sgpr18
	s_delay_alu instid0(VALU_DEP_1) | instskip(NEXT) | instid1(VALU_DEP_1)
	v_and_b32_e32 v11, 0xff, v10
	v_cmpx_lt_i16_e32 0x7f, v11
	s_xor_b32 s19, exec_lo, s19
	s_cbranch_execnz .LBB393_60
; %bb.29:                               ;   in Loop: Header=BB393_4 Depth=1
	s_or_saveexec_b32 s19, s19
	v_mov_b32_e32 v9, s18
	s_xor_b32 exec_lo, exec_lo, s19
	s_cbranch_execnz .LBB393_63
.LBB393_30:                             ;   in Loop: Header=BB393_4 Depth=1
	s_or_b32 exec_lo, exec_lo, s19
	s_and_saveexec_b32 s18, s2
	s_cbranch_execz .LBB393_32
.LBB393_31:                             ;   in Loop: Header=BB393_4 Depth=1
	v_bfe_u32 v9, v5, 16, 3
	v_bfe_u32 v13, v5, 19, 4
	s_delay_alu instid0(VALU_DEP_2) | instskip(NEXT) | instid1(VALU_DEP_2)
	v_clz_i32_u32_e32 v11, v9
	v_cmp_eq_u32_e32 vcc_lo, 0, v13
	s_delay_alu instid0(VALU_DEP_2) | instskip(NEXT) | instid1(VALU_DEP_1)
	v_min_u32_e32 v11, 32, v11
	v_subrev_nc_u32_e32 v12, 28, v11
	v_sub_nc_u32_e32 v11, 29, v11
	s_delay_alu instid0(VALU_DEP_1) | instskip(NEXT) | instid1(VALU_DEP_1)
	v_dual_cndmask_b32 v11, v13, v11 :: v_dual_lshlrev_b32 v12, v12, v10
	v_and_b32_e32 v12, 7, v12
	v_lshlrev_b32_e32 v10, 24, v10
	s_delay_alu instid0(VALU_DEP_3) | instskip(NEXT) | instid1(VALU_DEP_2)
	v_lshl_add_u32 v11, v11, 23, 0x3b800000
	v_dual_cndmask_b32 v9, v9, v12 :: v_dual_and_b32 v10, 0x80000000, v10
	s_delay_alu instid0(VALU_DEP_1) | instskip(NEXT) | instid1(VALU_DEP_1)
	v_lshlrev_b32_e32 v9, 20, v9
	v_or3_b32 v9, v10, v11, v9
.LBB393_32:                             ;   in Loop: Header=BB393_4 Depth=1
	s_or_b32 exec_lo, exec_lo, s18
	s_delay_alu instid0(VALU_DEP_1) | instskip(SKIP_1) | instid1(VALU_DEP_1)
	v_and_b32_e32 v11, 0x7fffffff, v9
	s_mov_b32 s2, exec_lo
                                        ; implicit-def: $vgpr10
	v_cmpx_gt_u32_e32 0x47800000, v11
	s_xor_b32 s2, exec_lo, s2
	s_cbranch_execz .LBB393_38
; %bb.33:                               ;   in Loop: Header=BB393_4 Depth=1
	s_mov_b32 s18, exec_lo
                                        ; implicit-def: $vgpr10
	v_cmpx_lt_u32_e32 0x387fffff, v11
	s_xor_b32 s18, exec_lo, s18
; %bb.34:                               ;   in Loop: Header=BB393_4 Depth=1
	v_bfe_u32 v10, v9, 21, 1
	s_delay_alu instid0(VALU_DEP_1) | instskip(NEXT) | instid1(VALU_DEP_1)
	v_add3_u32 v10, v9, v10, 0x80fffff
	v_lshrrev_b32_e32 v10, 21, v10
; %bb.35:                               ;   in Loop: Header=BB393_4 Depth=1
	s_and_not1_saveexec_b32 s18, s18
; %bb.36:                               ;   in Loop: Header=BB393_4 Depth=1
	v_add_f32_e64 v10, 0x43000000, |v9|
; %bb.37:                               ;   in Loop: Header=BB393_4 Depth=1
	s_or_b32 exec_lo, exec_lo, s18
                                        ; implicit-def: $vgpr11
.LBB393_38:                             ;   in Loop: Header=BB393_4 Depth=1
	s_and_not1_saveexec_b32 s2, s2
; %bb.39:                               ;   in Loop: Header=BB393_4 Depth=1
	v_cmp_lt_u32_e32 vcc_lo, 0x7f800000, v11
	v_cndmask_b32_e32 v10, 0x7c, v3, vcc_lo
; %bb.40:                               ;   in Loop: Header=BB393_4 Depth=1
	s_or_b32 exec_lo, exec_lo, s2
	v_lshrrev_b32_e32 v12, 24, v5
	s_mov_b32 s2, 0
	s_mov_b32 s19, exec_lo
                                        ; implicit-def: $sgpr18
	s_delay_alu instid0(VALU_DEP_1)
	v_cmpx_lt_i16_e32 0x7f, v12
	s_xor_b32 s19, exec_lo, s19
	s_cbranch_execnz .LBB393_64
; %bb.41:                               ;   in Loop: Header=BB393_4 Depth=1
	s_or_saveexec_b32 s19, s19
	v_mov_b32_e32 v11, s18
	s_xor_b32 exec_lo, exec_lo, s19
	s_cbranch_execnz .LBB393_67
.LBB393_42:                             ;   in Loop: Header=BB393_4 Depth=1
	s_or_b32 exec_lo, exec_lo, s19
	s_and_saveexec_b32 s18, s2
	s_cbranch_execz .LBB393_44
.LBB393_43:                             ;   in Loop: Header=BB393_4 Depth=1
	v_bfe_u32 v11, v5, 24, 3
	s_delay_alu instid0(VALU_DEP_1) | instskip(NEXT) | instid1(VALU_DEP_1)
	v_clz_i32_u32_e32 v13, v11
	v_min_u32_e32 v13, 32, v13
	s_delay_alu instid0(VALU_DEP_1) | instskip(SKIP_1) | instid1(VALU_DEP_2)
	v_subrev_nc_u32_e32 v14, 28, v13
	v_sub_nc_u32_e32 v13, 29, v13
	v_lshlrev_b32_e32 v12, v14, v12
	v_bfe_u32 v14, v5, 27, 4
	v_and_b32_e32 v5, 0x80000000, v5
	s_delay_alu instid0(VALU_DEP_2) | instskip(NEXT) | instid1(VALU_DEP_4)
	v_cmp_eq_u32_e32 vcc_lo, 0, v14
	v_dual_cndmask_b32 v13, v14, v13 :: v_dual_and_b32 v12, 7, v12
	s_delay_alu instid0(VALU_DEP_1) | instskip(NEXT) | instid1(VALU_DEP_2)
	v_cndmask_b32_e32 v11, v11, v12, vcc_lo
	v_lshl_add_u32 v12, v13, 23, 0x3b800000
	s_delay_alu instid0(VALU_DEP_2) | instskip(NEXT) | instid1(VALU_DEP_1)
	v_lshlrev_b32_e32 v11, 20, v11
	v_or3_b32 v11, v5, v12, v11
.LBB393_44:                             ;   in Loop: Header=BB393_4 Depth=1
	s_or_b32 exec_lo, exec_lo, s18
	s_delay_alu instid0(VALU_DEP_1) | instskip(SKIP_1) | instid1(VALU_DEP_1)
	v_and_b32_e32 v12, 0x7fffffff, v11
	s_mov_b32 s2, exec_lo
                                        ; implicit-def: $vgpr5
	v_cmpx_gt_u32_e32 0x47800000, v12
	s_xor_b32 s2, exec_lo, s2
	s_cbranch_execz .LBB393_50
; %bb.45:                               ;   in Loop: Header=BB393_4 Depth=1
	s_mov_b32 s18, exec_lo
                                        ; implicit-def: $vgpr5
	v_cmpx_lt_u32_e32 0x387fffff, v12
	s_xor_b32 s18, exec_lo, s18
; %bb.46:                               ;   in Loop: Header=BB393_4 Depth=1
	v_bfe_u32 v5, v11, 21, 1
	s_delay_alu instid0(VALU_DEP_1) | instskip(NEXT) | instid1(VALU_DEP_1)
	v_add3_u32 v5, v11, v5, 0x80fffff
	v_lshrrev_b32_e32 v5, 21, v5
; %bb.47:                               ;   in Loop: Header=BB393_4 Depth=1
	s_and_not1_saveexec_b32 s18, s18
; %bb.48:                               ;   in Loop: Header=BB393_4 Depth=1
	v_add_f32_e64 v5, 0x43000000, |v11|
; %bb.49:                               ;   in Loop: Header=BB393_4 Depth=1
	s_or_b32 exec_lo, exec_lo, s18
                                        ; implicit-def: $vgpr12
.LBB393_50:                             ;   in Loop: Header=BB393_4 Depth=1
	s_and_not1_saveexec_b32 s2, s2
	s_cbranch_execz .LBB393_3
; %bb.51:                               ;   in Loop: Header=BB393_4 Depth=1
	v_cmp_lt_u32_e32 vcc_lo, 0x7f800000, v12
	v_cndmask_b32_e32 v5, 0x7c, v3, vcc_lo
	s_branch .LBB393_3
.LBB393_52:                             ;   in Loop: Header=BB393_4 Depth=1
	s_mov_b32 s2, -1
	s_mov_b32 s20, exec_lo
                                        ; implicit-def: $sgpr18
	v_cmpx_eq_u16_e32 0x80, v6
; %bb.53:                               ;   in Loop: Header=BB393_4 Depth=1
	s_mov_b32 s18, 0x7f800001
	s_xor_b32 s2, exec_lo, -1
; %bb.54:                               ;   in Loop: Header=BB393_4 Depth=1
	s_or_b32 exec_lo, exec_lo, s20
	s_delay_alu instid0(SALU_CYCLE_1)
	s_and_b32 s2, s2, exec_lo
                                        ; implicit-def: $vgpr6
	s_or_saveexec_b32 s19, s19
	v_mov_b32_e32 v4, s18
	s_xor_b32 exec_lo, exec_lo, s19
	s_cbranch_execz .LBB393_6
.LBB393_55:                             ;   in Loop: Header=BB393_4 Depth=1
	v_cmp_ne_u16_e32 vcc_lo, 0, v6
	v_mov_b32_e32 v4, 0
	s_and_not1_b32 s2, s2, exec_lo
	s_and_b32 s18, vcc_lo, exec_lo
	s_delay_alu instid0(SALU_CYCLE_1)
	s_or_b32 s2, s2, s18
	s_or_b32 exec_lo, exec_lo, s19
	s_and_saveexec_b32 s18, s2
	s_cbranch_execnz .LBB393_7
	s_branch .LBB393_8
.LBB393_56:                             ;   in Loop: Header=BB393_4 Depth=1
	s_mov_b32 s2, -1
	s_mov_b32 s20, exec_lo
                                        ; implicit-def: $sgpr18
	v_cmpx_eq_u16_e32 0x80, v9
; %bb.57:                               ;   in Loop: Header=BB393_4 Depth=1
	s_mov_b32 s18, 0x7f800001
	s_xor_b32 s2, exec_lo, -1
; %bb.58:                               ;   in Loop: Header=BB393_4 Depth=1
	s_or_b32 exec_lo, exec_lo, s20
	s_delay_alu instid0(SALU_CYCLE_1)
	s_and_b32 s2, s2, exec_lo
                                        ; implicit-def: $vgpr9
	s_or_saveexec_b32 s19, s19
	v_mov_b32_e32 v7, s18
	s_xor_b32 exec_lo, exec_lo, s19
	s_cbranch_execz .LBB393_18
.LBB393_59:                             ;   in Loop: Header=BB393_4 Depth=1
	v_cmp_ne_u16_e32 vcc_lo, 0, v9
	v_mov_b32_e32 v7, 0
	s_and_not1_b32 s2, s2, exec_lo
	s_and_b32 s18, vcc_lo, exec_lo
	s_delay_alu instid0(SALU_CYCLE_1)
	s_or_b32 s2, s2, s18
	s_or_b32 exec_lo, exec_lo, s19
	s_and_saveexec_b32 s18, s2
	s_cbranch_execnz .LBB393_19
	s_branch .LBB393_20
.LBB393_60:                             ;   in Loop: Header=BB393_4 Depth=1
	s_mov_b32 s2, -1
	s_mov_b32 s20, exec_lo
                                        ; implicit-def: $sgpr18
	v_cmpx_eq_u16_e32 0x80, v11
; %bb.61:                               ;   in Loop: Header=BB393_4 Depth=1
	s_mov_b32 s18, 0x7f800001
	s_xor_b32 s2, exec_lo, -1
; %bb.62:                               ;   in Loop: Header=BB393_4 Depth=1
	s_or_b32 exec_lo, exec_lo, s20
	s_delay_alu instid0(SALU_CYCLE_1)
	s_and_b32 s2, s2, exec_lo
                                        ; implicit-def: $vgpr11
	s_or_saveexec_b32 s19, s19
	v_mov_b32_e32 v9, s18
	s_xor_b32 exec_lo, exec_lo, s19
	s_cbranch_execz .LBB393_30
.LBB393_63:                             ;   in Loop: Header=BB393_4 Depth=1
	v_cmp_ne_u16_e32 vcc_lo, 0, v11
	v_mov_b32_e32 v9, 0
	s_and_not1_b32 s2, s2, exec_lo
	s_and_b32 s18, vcc_lo, exec_lo
	s_delay_alu instid0(SALU_CYCLE_1)
	s_or_b32 s2, s2, s18
	s_or_b32 exec_lo, exec_lo, s19
	s_and_saveexec_b32 s18, s2
	s_cbranch_execnz .LBB393_31
	s_branch .LBB393_32
.LBB393_64:                             ;   in Loop: Header=BB393_4 Depth=1
	s_mov_b32 s2, -1
	s_mov_b32 s20, exec_lo
                                        ; implicit-def: $sgpr18
	v_cmpx_eq_u16_e32 0x80, v12
; %bb.65:                               ;   in Loop: Header=BB393_4 Depth=1
	s_mov_b32 s18, 0x7f800001
	s_xor_b32 s2, exec_lo, -1
; %bb.66:                               ;   in Loop: Header=BB393_4 Depth=1
	s_or_b32 exec_lo, exec_lo, s20
	s_delay_alu instid0(SALU_CYCLE_1)
	s_and_b32 s2, s2, exec_lo
	s_or_saveexec_b32 s19, s19
	v_mov_b32_e32 v11, s18
	s_xor_b32 exec_lo, exec_lo, s19
	s_cbranch_execz .LBB393_42
.LBB393_67:                             ;   in Loop: Header=BB393_4 Depth=1
	v_cmp_ne_u16_e32 vcc_lo, 0, v12
	v_mov_b32_e32 v11, 0
	s_and_not1_b32 s2, s2, exec_lo
	s_and_b32 s18, vcc_lo, exec_lo
	s_delay_alu instid0(SALU_CYCLE_1)
	s_or_b32 s2, s2, s18
	s_or_b32 exec_lo, exec_lo, s19
	s_and_saveexec_b32 s18, s2
	s_cbranch_execnz .LBB393_43
	s_branch .LBB393_44
.LBB393_68:
	s_or_b32 exec_lo, exec_lo, s15
	s_mov_b32 s2, 0
.LBB393_69:
	s_delay_alu instid0(SALU_CYCLE_1)
	s_and_not1_b32 vcc_lo, exec_lo, s2
	s_cbranch_vccnz .LBB393_153
; %bb.70:
	v_cmp_lt_i64_e64 s2, s[4:5], 1
	s_delay_alu instid0(VALU_DEP_1)
	s_and_b32 vcc_lo, exec_lo, s2
	s_cbranch_vccnz .LBB393_153
; %bb.71:
	s_load_b32 s0, s[0:1], 0xc5c
	v_add_co_u32 v1, s1, s10, v0
	s_delay_alu instid0(VALU_DEP_1) | instskip(SKIP_1) | instid1(VALU_DEP_3)
	v_add_co_ci_u32_e64 v2, null, s11, 0, s1
	v_cmp_gt_u64_e64 s1, 0x10000, s[4:5]
	v_add_co_u32 v9, vcc_lo, s6, v1
	s_delay_alu instid0(VALU_DEP_3)
	v_add_co_ci_u32_e32 v10, vcc_lo, s7, v2, vcc_lo
	v_add_co_u32 v11, vcc_lo, s8, v1
	v_add_co_ci_u32_e32 v12, vcc_lo, s9, v2, vcc_lo
	v_mov_b32_e32 v31, 0x7f
                                        ; implicit-def: $vgpr32
                                        ; implicit-def: $vgpr33
                                        ; implicit-def: $vgpr34
                                        ; implicit-def: $vgpr35
	s_waitcnt lgkmcnt(0)
	s_and_b32 s0, s0, 0xffff
	s_and_b32 s1, s1, exec_lo
	s_mul_i32 s13, s0, 3
	s_cselect_b32 s3, s5, 0
	s_cselect_b32 s2, s4, 0x10000
	s_lshl_b32 s12, s0, 1
	s_lshl_b32 s1, s0, 2
	s_add_u32 s14, s10, s13
	s_addc_u32 s15, s11, 0
	v_add_co_u32 v3, s14, s14, v0
	s_delay_alu instid0(VALU_DEP_1) | instskip(SKIP_1) | instid1(VALU_DEP_2)
	v_add_co_ci_u32_e64 v4, null, s15, 0, s14
	s_add_u32 s10, s10, s12
	v_add_co_u32 v13, vcc_lo, s6, v3
	s_delay_alu instid0(VALU_DEP_2)
	v_add_co_ci_u32_e32 v14, vcc_lo, s7, v4, vcc_lo
	v_add_co_u32 v15, vcc_lo, s8, v3
	s_addc_u32 s11, s11, 0
	v_add_co_u32 v3, s10, s10, v0
	v_add_co_ci_u32_e32 v16, vcc_lo, s9, v4, vcc_lo
	v_add_co_ci_u32_e64 v4, null, s11, 0, s10
	s_delay_alu instid0(VALU_DEP_3) | instskip(SKIP_1) | instid1(VALU_DEP_3)
	v_add_co_u32 v19, vcc_lo, s6, v3
	v_add_co_u32 v17, s10, s13, v0
	v_add_co_ci_u32_e32 v20, vcc_lo, s7, v4, vcc_lo
	v_add_co_u32 v21, vcc_lo, s8, v3
	v_add_co_ci_u32_e32 v22, vcc_lo, s9, v4, vcc_lo
	v_add_co_u32 v1, vcc_lo, v1, s0
	v_add_co_ci_u32_e32 v2, vcc_lo, 0, v2, vcc_lo
	v_add_co_ci_u32_e64 v18, null, 0, 0, s10
	s_delay_alu instid0(VALU_DEP_3) | instskip(NEXT) | instid1(VALU_DEP_3)
	v_add_co_u32 v25, vcc_lo, s6, v1
	v_add_co_ci_u32_e32 v26, vcc_lo, s7, v2, vcc_lo
	v_add_co_u32 v23, s10, s12, v0
	v_add_co_u32 v27, vcc_lo, s8, v1
	v_add_co_u32 v29, s0, v0, s0
	v_add_co_ci_u32_e64 v24, null, 0, 0, s10
	v_add_co_ci_u32_e32 v28, vcc_lo, s9, v2, vcc_lo
	v_add_co_ci_u32_e64 v30, null, 0, 0, s0
	s_mov_b64 s[6:7], 0
	s_branch .LBB393_73
.LBB393_72:                             ;   in Loop: Header=BB393_73 Depth=1
	s_or_b32 exec_lo, exec_lo, s0
	s_add_u32 s6, s6, s1
	s_addc_u32 s7, s7, 0
	s_delay_alu instid0(SALU_CYCLE_1) | instskip(SKIP_1) | instid1(VALU_DEP_1)
	v_cmp_ge_i64_e64 s0, s[6:7], s[4:5]
	v_cmp_lt_u64_e64 s8, 0xffff, s[6:7]
	s_or_b32 s0, s0, s8
	s_delay_alu instid0(SALU_CYCLE_1)
	s_and_b32 vcc_lo, exec_lo, s0
	s_cbranch_vccnz .LBB393_153
.LBB393_73:                             ; =>This Inner Loop Header: Depth=1
	v_add_co_u32 v1, s0, v0, s6
	s_delay_alu instid0(VALU_DEP_1) | instskip(NEXT) | instid1(VALU_DEP_1)
	v_add_co_ci_u32_e64 v2, null, 0, s7, s0
	v_cmp_gt_i64_e32 vcc_lo, s[4:5], v[1:2]
	v_cmp_gt_u64_e64 s0, 0x10000, v[1:2]
	s_delay_alu instid0(VALU_DEP_1) | instskip(NEXT) | instid1(SALU_CYCLE_1)
	s_and_b32 s8, vcc_lo, s0
	s_and_saveexec_b32 s0, s8
	s_cbranch_execz .LBB393_75
; %bb.74:                               ;   in Loop: Header=BB393_73 Depth=1
	v_add_co_u32 v3, vcc_lo, v9, s6
	v_add_co_ci_u32_e32 v4, vcc_lo, s7, v10, vcc_lo
	global_load_u8 v35, v[3:4], off
.LBB393_75:                             ;   in Loop: Header=BB393_73 Depth=1
	s_or_b32 exec_lo, exec_lo, s0
	v_add_co_u32 v3, vcc_lo, v29, s6
	v_add_co_ci_u32_e32 v4, vcc_lo, s7, v30, vcc_lo
	s_delay_alu instid0(VALU_DEP_1) | instskip(SKIP_1) | instid1(VALU_DEP_1)
	v_cmp_gt_i64_e32 vcc_lo, s[4:5], v[3:4]
	v_cmp_gt_u64_e64 s0, 0x10000, v[3:4]
	s_and_b32 s8, vcc_lo, s0
	s_delay_alu instid0(SALU_CYCLE_1)
	s_and_saveexec_b32 s0, s8
	s_cbranch_execz .LBB393_77
; %bb.76:                               ;   in Loop: Header=BB393_73 Depth=1
	v_add_co_u32 v5, vcc_lo, v25, s6
	v_add_co_ci_u32_e32 v6, vcc_lo, s7, v26, vcc_lo
	global_load_u8 v34, v[5:6], off
.LBB393_77:                             ;   in Loop: Header=BB393_73 Depth=1
	s_or_b32 exec_lo, exec_lo, s0
	v_add_co_u32 v5, vcc_lo, v23, s6
	v_add_co_ci_u32_e32 v6, vcc_lo, s7, v24, vcc_lo
	s_delay_alu instid0(VALU_DEP_1) | instskip(SKIP_1) | instid1(VALU_DEP_1)
	v_cmp_gt_i64_e32 vcc_lo, s[4:5], v[5:6]
	v_cmp_gt_u64_e64 s0, 0x10000, v[5:6]
	s_and_b32 s8, vcc_lo, s0
	s_delay_alu instid0(SALU_CYCLE_1)
	;; [unrolled: 15-line block ×3, first 2 shown]
	s_and_saveexec_b32 s0, s8
	s_cbranch_execz .LBB393_81
; %bb.80:                               ;   in Loop: Header=BB393_73 Depth=1
	v_add_co_u32 v36, vcc_lo, v13, s6
	v_add_co_ci_u32_e32 v37, vcc_lo, s7, v14, vcc_lo
	global_load_u8 v32, v[36:37], off
.LBB393_81:                             ;   in Loop: Header=BB393_73 Depth=1
	s_or_b32 exec_lo, exec_lo, s0
	s_waitcnt vmcnt(0)
	v_and_b32_e32 v37, 0xff, v35
	s_mov_b32 s0, 0
	s_mov_b32 s9, exec_lo
                                        ; implicit-def: $sgpr8
	s_delay_alu instid0(VALU_DEP_1)
	v_cmpx_lt_i16_e32 0x7f, v37
	s_xor_b32 s9, exec_lo, s9
	s_cbranch_execnz .LBB393_133
; %bb.82:                               ;   in Loop: Header=BB393_73 Depth=1
	s_or_saveexec_b32 s9, s9
	v_mov_b32_e32 v36, s8
	s_xor_b32 exec_lo, exec_lo, s9
	s_cbranch_execnz .LBB393_136
.LBB393_83:                             ;   in Loop: Header=BB393_73 Depth=1
	s_or_b32 exec_lo, exec_lo, s9
	s_and_saveexec_b32 s8, s0
	s_cbranch_execz .LBB393_85
.LBB393_84:                             ;   in Loop: Header=BB393_73 Depth=1
	v_lshrrev_b16 v39, 3, v35
	v_lshlrev_b32_e32 v40, 24, v35
	s_delay_alu instid0(VALU_DEP_2) | instskip(NEXT) | instid1(VALU_DEP_1)
	v_and_b32_e32 v39, 15, v39
	v_cmp_eq_u32_e32 vcc_lo, 0, v39
	v_and_b32_e32 v36, 7, v35
	s_delay_alu instid0(VALU_DEP_1) | instskip(NEXT) | instid1(VALU_DEP_1)
	v_clz_i32_u32_e32 v37, v36
	v_min_u32_e32 v37, 32, v37
	s_delay_alu instid0(VALU_DEP_1) | instskip(SKIP_1) | instid1(VALU_DEP_1)
	v_subrev_nc_u32_e32 v38, 28, v37
	v_sub_nc_u32_e32 v37, 29, v37
	v_dual_cndmask_b32 v37, v39, v37 :: v_dual_lshlrev_b32 v38, v38, v35
	s_delay_alu instid0(VALU_DEP_1) | instskip(NEXT) | instid1(VALU_DEP_2)
	v_and_b32_e32 v38, 7, v38
	v_lshl_add_u32 v37, v37, 23, 0x3b800000
	s_delay_alu instid0(VALU_DEP_2) | instskip(SKIP_1) | instid1(VALU_DEP_2)
	v_cndmask_b32_e32 v36, v36, v38, vcc_lo
	v_and_b32_e32 v38, 0x80000000, v40
	v_lshlrev_b32_e32 v36, 20, v36
	s_delay_alu instid0(VALU_DEP_1)
	v_or3_b32 v36, v38, v37, v36
.LBB393_85:                             ;   in Loop: Header=BB393_73 Depth=1
	s_or_b32 exec_lo, exec_lo, s8
	s_delay_alu instid0(VALU_DEP_1) | instskip(SKIP_1) | instid1(VALU_DEP_1)
	v_and_b32_e32 v38, 0x7fffffff, v36
	s_mov_b32 s0, exec_lo
                                        ; implicit-def: $vgpr37
	v_cmpx_gt_u32_e32 0x47800000, v38
	s_xor_b32 s0, exec_lo, s0
	s_cbranch_execz .LBB393_91
; %bb.86:                               ;   in Loop: Header=BB393_73 Depth=1
	s_mov_b32 s8, exec_lo
                                        ; implicit-def: $vgpr37
	v_cmpx_lt_u32_e32 0x387fffff, v38
	s_xor_b32 s8, exec_lo, s8
; %bb.87:                               ;   in Loop: Header=BB393_73 Depth=1
	v_bfe_u32 v37, v36, 21, 1
	s_delay_alu instid0(VALU_DEP_1) | instskip(NEXT) | instid1(VALU_DEP_1)
	v_add3_u32 v37, v36, v37, 0x80fffff
	v_lshrrev_b32_e32 v37, 21, v37
; %bb.88:                               ;   in Loop: Header=BB393_73 Depth=1
	s_and_not1_saveexec_b32 s8, s8
; %bb.89:                               ;   in Loop: Header=BB393_73 Depth=1
	v_add_f32_e64 v37, 0x43000000, |v36|
; %bb.90:                               ;   in Loop: Header=BB393_73 Depth=1
	s_or_b32 exec_lo, exec_lo, s8
                                        ; implicit-def: $vgpr38
.LBB393_91:                             ;   in Loop: Header=BB393_73 Depth=1
	s_and_not1_saveexec_b32 s0, s0
; %bb.92:                               ;   in Loop: Header=BB393_73 Depth=1
	v_cmp_lt_u32_e32 vcc_lo, 0x7f800000, v38
	v_cndmask_b32_e32 v37, 0x7c, v31, vcc_lo
; %bb.93:                               ;   in Loop: Header=BB393_73 Depth=1
	s_or_b32 exec_lo, exec_lo, s0
	v_and_b32_e32 v39, 0xff, v34
	s_mov_b32 s0, 0
	s_mov_b32 s9, exec_lo
                                        ; implicit-def: $sgpr8
	s_delay_alu instid0(VALU_DEP_1)
	v_cmpx_lt_i16_e32 0x7f, v39
	s_xor_b32 s9, exec_lo, s9
	s_cbranch_execnz .LBB393_137
; %bb.94:                               ;   in Loop: Header=BB393_73 Depth=1
	s_or_saveexec_b32 s9, s9
	v_mov_b32_e32 v38, s8
	s_xor_b32 exec_lo, exec_lo, s9
	s_cbranch_execnz .LBB393_140
.LBB393_95:                             ;   in Loop: Header=BB393_73 Depth=1
	s_or_b32 exec_lo, exec_lo, s9
	s_and_saveexec_b32 s8, s0
	s_cbranch_execz .LBB393_97
.LBB393_96:                             ;   in Loop: Header=BB393_73 Depth=1
	v_lshrrev_b16 v41, 3, v34
	v_lshlrev_b32_e32 v42, 24, v34
	s_delay_alu instid0(VALU_DEP_2) | instskip(NEXT) | instid1(VALU_DEP_1)
	v_and_b32_e32 v41, 15, v41
	v_cmp_eq_u32_e32 vcc_lo, 0, v41
	v_and_b32_e32 v38, 7, v34
	s_delay_alu instid0(VALU_DEP_1) | instskip(NEXT) | instid1(VALU_DEP_1)
	v_clz_i32_u32_e32 v39, v38
	v_min_u32_e32 v39, 32, v39
	s_delay_alu instid0(VALU_DEP_1) | instskip(SKIP_1) | instid1(VALU_DEP_1)
	v_subrev_nc_u32_e32 v40, 28, v39
	v_sub_nc_u32_e32 v39, 29, v39
	v_dual_cndmask_b32 v39, v41, v39 :: v_dual_lshlrev_b32 v40, v40, v34
	s_delay_alu instid0(VALU_DEP_1) | instskip(NEXT) | instid1(VALU_DEP_2)
	v_and_b32_e32 v40, 7, v40
	v_lshl_add_u32 v39, v39, 23, 0x3b800000
	s_delay_alu instid0(VALU_DEP_2) | instskip(SKIP_1) | instid1(VALU_DEP_2)
	v_cndmask_b32_e32 v38, v38, v40, vcc_lo
	v_and_b32_e32 v40, 0x80000000, v42
	v_lshlrev_b32_e32 v38, 20, v38
	s_delay_alu instid0(VALU_DEP_1)
	v_or3_b32 v38, v40, v39, v38
.LBB393_97:                             ;   in Loop: Header=BB393_73 Depth=1
	s_or_b32 exec_lo, exec_lo, s8
	s_delay_alu instid0(VALU_DEP_1) | instskip(SKIP_1) | instid1(VALU_DEP_1)
	v_and_b32_e32 v40, 0x7fffffff, v38
	s_mov_b32 s0, exec_lo
                                        ; implicit-def: $vgpr39
	v_cmpx_gt_u32_e32 0x47800000, v40
	s_xor_b32 s0, exec_lo, s0
	s_cbranch_execz .LBB393_103
; %bb.98:                               ;   in Loop: Header=BB393_73 Depth=1
	s_mov_b32 s8, exec_lo
                                        ; implicit-def: $vgpr39
	v_cmpx_lt_u32_e32 0x387fffff, v40
	s_xor_b32 s8, exec_lo, s8
; %bb.99:                               ;   in Loop: Header=BB393_73 Depth=1
	v_bfe_u32 v39, v38, 21, 1
	s_delay_alu instid0(VALU_DEP_1) | instskip(NEXT) | instid1(VALU_DEP_1)
	v_add3_u32 v39, v38, v39, 0x80fffff
	v_lshrrev_b32_e32 v39, 21, v39
; %bb.100:                              ;   in Loop: Header=BB393_73 Depth=1
	s_and_not1_saveexec_b32 s8, s8
; %bb.101:                              ;   in Loop: Header=BB393_73 Depth=1
	v_add_f32_e64 v39, 0x43000000, |v38|
; %bb.102:                              ;   in Loop: Header=BB393_73 Depth=1
	s_or_b32 exec_lo, exec_lo, s8
                                        ; implicit-def: $vgpr40
.LBB393_103:                            ;   in Loop: Header=BB393_73 Depth=1
	s_and_not1_saveexec_b32 s0, s0
; %bb.104:                              ;   in Loop: Header=BB393_73 Depth=1
	v_cmp_lt_u32_e32 vcc_lo, 0x7f800000, v40
	v_cndmask_b32_e32 v39, 0x7c, v31, vcc_lo
; %bb.105:                              ;   in Loop: Header=BB393_73 Depth=1
	s_or_b32 exec_lo, exec_lo, s0
	v_and_b32_e32 v41, 0xff, v33
	s_mov_b32 s0, 0
	s_mov_b32 s9, exec_lo
                                        ; implicit-def: $sgpr8
	s_delay_alu instid0(VALU_DEP_1)
	v_cmpx_lt_i16_e32 0x7f, v41
	s_xor_b32 s9, exec_lo, s9
	s_cbranch_execnz .LBB393_141
; %bb.106:                              ;   in Loop: Header=BB393_73 Depth=1
	s_or_saveexec_b32 s9, s9
	v_mov_b32_e32 v40, s8
	s_xor_b32 exec_lo, exec_lo, s9
	s_cbranch_execnz .LBB393_144
.LBB393_107:                            ;   in Loop: Header=BB393_73 Depth=1
	s_or_b32 exec_lo, exec_lo, s9
	s_and_saveexec_b32 s8, s0
	s_cbranch_execz .LBB393_109
.LBB393_108:                            ;   in Loop: Header=BB393_73 Depth=1
	v_and_b32_e32 v40, 7, v33
	v_lshrrev_b16 v43, 3, v33
	v_lshlrev_b32_e32 v44, 24, v33
	s_delay_alu instid0(VALU_DEP_3) | instskip(NEXT) | instid1(VALU_DEP_1)
	v_clz_i32_u32_e32 v41, v40
	v_min_u32_e32 v41, 32, v41
	s_delay_alu instid0(VALU_DEP_1) | instskip(SKIP_1) | instid1(VALU_DEP_2)
	v_subrev_nc_u32_e32 v42, 28, v41
	v_sub_nc_u32_e32 v41, 29, v41
	v_lshlrev_b32_e32 v42, v42, v33
	s_delay_alu instid0(VALU_DEP_1) | instskip(SKIP_1) | instid1(VALU_DEP_1)
	v_and_b32_e32 v42, 7, v42
	v_and_b32_e32 v43, 15, v43
	v_cmp_eq_u32_e32 vcc_lo, 0, v43
	s_delay_alu instid0(VALU_DEP_3) | instskip(SKIP_1) | instid1(VALU_DEP_2)
	v_dual_cndmask_b32 v40, v40, v42 :: v_dual_cndmask_b32 v41, v43, v41
	v_and_b32_e32 v42, 0x80000000, v44
	v_lshlrev_b32_e32 v40, 20, v40
	s_delay_alu instid0(VALU_DEP_3) | instskip(NEXT) | instid1(VALU_DEP_1)
	v_lshl_add_u32 v41, v41, 23, 0x3b800000
	v_or3_b32 v40, v42, v41, v40
.LBB393_109:                            ;   in Loop: Header=BB393_73 Depth=1
	s_or_b32 exec_lo, exec_lo, s8
	s_delay_alu instid0(VALU_DEP_1) | instskip(SKIP_1) | instid1(VALU_DEP_1)
	v_and_b32_e32 v42, 0x7fffffff, v40
	s_mov_b32 s0, exec_lo
                                        ; implicit-def: $vgpr41
	v_cmpx_gt_u32_e32 0x47800000, v42
	s_xor_b32 s0, exec_lo, s0
	s_cbranch_execz .LBB393_115
; %bb.110:                              ;   in Loop: Header=BB393_73 Depth=1
	s_mov_b32 s8, exec_lo
                                        ; implicit-def: $vgpr41
	v_cmpx_lt_u32_e32 0x387fffff, v42
	s_xor_b32 s8, exec_lo, s8
; %bb.111:                              ;   in Loop: Header=BB393_73 Depth=1
	v_bfe_u32 v41, v40, 21, 1
	s_delay_alu instid0(VALU_DEP_1) | instskip(NEXT) | instid1(VALU_DEP_1)
	v_add3_u32 v41, v40, v41, 0x80fffff
	v_lshrrev_b32_e32 v41, 21, v41
; %bb.112:                              ;   in Loop: Header=BB393_73 Depth=1
	s_and_not1_saveexec_b32 s8, s8
; %bb.113:                              ;   in Loop: Header=BB393_73 Depth=1
	v_add_f32_e64 v41, 0x43000000, |v40|
; %bb.114:                              ;   in Loop: Header=BB393_73 Depth=1
	s_or_b32 exec_lo, exec_lo, s8
                                        ; implicit-def: $vgpr42
.LBB393_115:                            ;   in Loop: Header=BB393_73 Depth=1
	s_and_not1_saveexec_b32 s0, s0
; %bb.116:                              ;   in Loop: Header=BB393_73 Depth=1
	v_cmp_lt_u32_e32 vcc_lo, 0x7f800000, v42
	v_cndmask_b32_e32 v41, 0x7c, v31, vcc_lo
; %bb.117:                              ;   in Loop: Header=BB393_73 Depth=1
	s_or_b32 exec_lo, exec_lo, s0
	v_and_b32_e32 v43, 0xff, v32
	s_mov_b32 s0, 0
	s_mov_b32 s9, exec_lo
                                        ; implicit-def: $sgpr8
	s_delay_alu instid0(VALU_DEP_1)
	v_cmpx_lt_i16_e32 0x7f, v43
	s_xor_b32 s9, exec_lo, s9
	s_cbranch_execnz .LBB393_145
; %bb.118:                              ;   in Loop: Header=BB393_73 Depth=1
	s_or_saveexec_b32 s9, s9
	v_mov_b32_e32 v42, s8
	s_xor_b32 exec_lo, exec_lo, s9
	s_cbranch_execnz .LBB393_148
.LBB393_119:                            ;   in Loop: Header=BB393_73 Depth=1
	s_or_b32 exec_lo, exec_lo, s9
	s_and_saveexec_b32 s8, s0
	s_cbranch_execz .LBB393_121
.LBB393_120:                            ;   in Loop: Header=BB393_73 Depth=1
	v_lshrrev_b16 v45, 3, v32
	v_lshlrev_b32_e32 v46, 24, v32
	s_delay_alu instid0(VALU_DEP_2) | instskip(NEXT) | instid1(VALU_DEP_1)
	v_and_b32_e32 v45, 15, v45
	v_cmp_eq_u32_e32 vcc_lo, 0, v45
	v_and_b32_e32 v42, 7, v32
	s_delay_alu instid0(VALU_DEP_1) | instskip(NEXT) | instid1(VALU_DEP_1)
	v_clz_i32_u32_e32 v43, v42
	v_min_u32_e32 v43, 32, v43
	s_delay_alu instid0(VALU_DEP_1) | instskip(SKIP_1) | instid1(VALU_DEP_1)
	v_subrev_nc_u32_e32 v44, 28, v43
	v_sub_nc_u32_e32 v43, 29, v43
	v_dual_cndmask_b32 v43, v45, v43 :: v_dual_lshlrev_b32 v44, v44, v32
	s_delay_alu instid0(VALU_DEP_1) | instskip(NEXT) | instid1(VALU_DEP_2)
	v_and_b32_e32 v44, 7, v44
	v_lshl_add_u32 v43, v43, 23, 0x3b800000
	s_delay_alu instid0(VALU_DEP_2) | instskip(SKIP_1) | instid1(VALU_DEP_2)
	v_cndmask_b32_e32 v42, v42, v44, vcc_lo
	v_and_b32_e32 v44, 0x80000000, v46
	v_lshlrev_b32_e32 v42, 20, v42
	s_delay_alu instid0(VALU_DEP_1)
	v_or3_b32 v42, v44, v43, v42
.LBB393_121:                            ;   in Loop: Header=BB393_73 Depth=1
	s_or_b32 exec_lo, exec_lo, s8
	s_delay_alu instid0(VALU_DEP_1) | instskip(SKIP_1) | instid1(VALU_DEP_1)
	v_and_b32_e32 v44, 0x7fffffff, v42
	s_mov_b32 s0, exec_lo
                                        ; implicit-def: $vgpr43
	v_cmpx_gt_u32_e32 0x47800000, v44
	s_xor_b32 s0, exec_lo, s0
	s_cbranch_execz .LBB393_127
; %bb.122:                              ;   in Loop: Header=BB393_73 Depth=1
	s_mov_b32 s8, exec_lo
                                        ; implicit-def: $vgpr43
	v_cmpx_lt_u32_e32 0x387fffff, v44
	s_xor_b32 s8, exec_lo, s8
; %bb.123:                              ;   in Loop: Header=BB393_73 Depth=1
	v_bfe_u32 v43, v42, 21, 1
	s_delay_alu instid0(VALU_DEP_1) | instskip(NEXT) | instid1(VALU_DEP_1)
	v_add3_u32 v43, v42, v43, 0x80fffff
	v_lshrrev_b32_e32 v43, 21, v43
; %bb.124:                              ;   in Loop: Header=BB393_73 Depth=1
	s_and_not1_saveexec_b32 s8, s8
; %bb.125:                              ;   in Loop: Header=BB393_73 Depth=1
	v_add_f32_e64 v43, 0x43000000, |v42|
; %bb.126:                              ;   in Loop: Header=BB393_73 Depth=1
	s_or_b32 exec_lo, exec_lo, s8
                                        ; implicit-def: $vgpr44
.LBB393_127:                            ;   in Loop: Header=BB393_73 Depth=1
	s_and_not1_saveexec_b32 s0, s0
; %bb.128:                              ;   in Loop: Header=BB393_73 Depth=1
	v_cmp_lt_u32_e32 vcc_lo, 0x7f800000, v44
	v_cndmask_b32_e32 v43, 0x7c, v31, vcc_lo
; %bb.129:                              ;   in Loop: Header=BB393_73 Depth=1
	s_or_b32 exec_lo, exec_lo, s0
	s_delay_alu instid0(SALU_CYCLE_1)
	s_mov_b32 s0, exec_lo
	v_cmpx_gt_u64_e64 s[2:3], v[1:2]
	s_xor_b32 s0, exec_lo, s0
	s_cbranch_execnz .LBB393_149
; %bb.130:                              ;   in Loop: Header=BB393_73 Depth=1
	s_or_b32 exec_lo, exec_lo, s0
	s_delay_alu instid0(SALU_CYCLE_1)
	s_mov_b32 s0, exec_lo
	v_cmpx_gt_u64_e64 s[2:3], v[3:4]
	s_cbranch_execnz .LBB393_150
.LBB393_131:                            ;   in Loop: Header=BB393_73 Depth=1
	s_or_b32 exec_lo, exec_lo, s0
	s_delay_alu instid0(SALU_CYCLE_1)
	s_mov_b32 s0, exec_lo
	v_cmpx_gt_u64_e64 s[2:3], v[5:6]
	s_cbranch_execnz .LBB393_151
.LBB393_132:                            ;   in Loop: Header=BB393_73 Depth=1
	s_or_b32 exec_lo, exec_lo, s0
	s_delay_alu instid0(SALU_CYCLE_1)
	s_mov_b32 s0, exec_lo
	v_cmpx_gt_u64_e64 s[2:3], v[7:8]
	s_cbranch_execz .LBB393_72
	s_branch .LBB393_152
.LBB393_133:                            ;   in Loop: Header=BB393_73 Depth=1
	s_mov_b32 s0, -1
	s_mov_b32 s10, exec_lo
                                        ; implicit-def: $sgpr8
	v_cmpx_eq_u16_e32 0x80, v37
; %bb.134:                              ;   in Loop: Header=BB393_73 Depth=1
	s_mov_b32 s8, 0x7f800001
	s_xor_b32 s0, exec_lo, -1
; %bb.135:                              ;   in Loop: Header=BB393_73 Depth=1
	s_or_b32 exec_lo, exec_lo, s10
	s_delay_alu instid0(SALU_CYCLE_1)
	s_and_b32 s0, s0, exec_lo
                                        ; implicit-def: $vgpr37
	s_or_saveexec_b32 s9, s9
	v_mov_b32_e32 v36, s8
	s_xor_b32 exec_lo, exec_lo, s9
	s_cbranch_execz .LBB393_83
.LBB393_136:                            ;   in Loop: Header=BB393_73 Depth=1
	v_cmp_ne_u16_e32 vcc_lo, 0, v37
	v_mov_b32_e32 v36, 0
	s_and_not1_b32 s0, s0, exec_lo
	s_and_b32 s8, vcc_lo, exec_lo
	s_delay_alu instid0(SALU_CYCLE_1)
	s_or_b32 s0, s0, s8
	s_or_b32 exec_lo, exec_lo, s9
	s_and_saveexec_b32 s8, s0
	s_cbranch_execnz .LBB393_84
	s_branch .LBB393_85
.LBB393_137:                            ;   in Loop: Header=BB393_73 Depth=1
	s_mov_b32 s0, -1
	s_mov_b32 s10, exec_lo
                                        ; implicit-def: $sgpr8
	v_cmpx_eq_u16_e32 0x80, v39
; %bb.138:                              ;   in Loop: Header=BB393_73 Depth=1
	s_mov_b32 s8, 0x7f800001
	s_xor_b32 s0, exec_lo, -1
; %bb.139:                              ;   in Loop: Header=BB393_73 Depth=1
	s_or_b32 exec_lo, exec_lo, s10
	s_delay_alu instid0(SALU_CYCLE_1)
	s_and_b32 s0, s0, exec_lo
                                        ; implicit-def: $vgpr39
	s_or_saveexec_b32 s9, s9
	v_mov_b32_e32 v38, s8
	s_xor_b32 exec_lo, exec_lo, s9
	s_cbranch_execz .LBB393_95
.LBB393_140:                            ;   in Loop: Header=BB393_73 Depth=1
	v_cmp_ne_u16_e32 vcc_lo, 0, v39
	v_mov_b32_e32 v38, 0
	s_and_not1_b32 s0, s0, exec_lo
	s_and_b32 s8, vcc_lo, exec_lo
	s_delay_alu instid0(SALU_CYCLE_1)
	s_or_b32 s0, s0, s8
	s_or_b32 exec_lo, exec_lo, s9
	s_and_saveexec_b32 s8, s0
	s_cbranch_execnz .LBB393_96
	s_branch .LBB393_97
.LBB393_141:                            ;   in Loop: Header=BB393_73 Depth=1
	s_mov_b32 s0, -1
	s_mov_b32 s10, exec_lo
                                        ; implicit-def: $sgpr8
	v_cmpx_eq_u16_e32 0x80, v41
; %bb.142:                              ;   in Loop: Header=BB393_73 Depth=1
	s_mov_b32 s8, 0x7f800001
	s_xor_b32 s0, exec_lo, -1
; %bb.143:                              ;   in Loop: Header=BB393_73 Depth=1
	s_or_b32 exec_lo, exec_lo, s10
	s_delay_alu instid0(SALU_CYCLE_1)
	s_and_b32 s0, s0, exec_lo
                                        ; implicit-def: $vgpr41
	s_or_saveexec_b32 s9, s9
	v_mov_b32_e32 v40, s8
	s_xor_b32 exec_lo, exec_lo, s9
	s_cbranch_execz .LBB393_107
.LBB393_144:                            ;   in Loop: Header=BB393_73 Depth=1
	v_cmp_ne_u16_e32 vcc_lo, 0, v41
	v_mov_b32_e32 v40, 0
	s_and_not1_b32 s0, s0, exec_lo
	s_and_b32 s8, vcc_lo, exec_lo
	s_delay_alu instid0(SALU_CYCLE_1)
	s_or_b32 s0, s0, s8
	s_or_b32 exec_lo, exec_lo, s9
	s_and_saveexec_b32 s8, s0
	s_cbranch_execnz .LBB393_108
	s_branch .LBB393_109
.LBB393_145:                            ;   in Loop: Header=BB393_73 Depth=1
	s_mov_b32 s0, -1
	s_mov_b32 s10, exec_lo
                                        ; implicit-def: $sgpr8
	v_cmpx_eq_u16_e32 0x80, v43
; %bb.146:                              ;   in Loop: Header=BB393_73 Depth=1
	s_mov_b32 s8, 0x7f800001
	s_xor_b32 s0, exec_lo, -1
; %bb.147:                              ;   in Loop: Header=BB393_73 Depth=1
	s_or_b32 exec_lo, exec_lo, s10
	s_delay_alu instid0(SALU_CYCLE_1)
	s_and_b32 s0, s0, exec_lo
                                        ; implicit-def: $vgpr43
	s_or_saveexec_b32 s9, s9
	v_mov_b32_e32 v42, s8
	s_xor_b32 exec_lo, exec_lo, s9
	s_cbranch_execz .LBB393_119
.LBB393_148:                            ;   in Loop: Header=BB393_73 Depth=1
	v_cmp_ne_u16_e32 vcc_lo, 0, v43
	v_mov_b32_e32 v42, 0
	s_and_not1_b32 s0, s0, exec_lo
	s_and_b32 s8, vcc_lo, exec_lo
	s_delay_alu instid0(SALU_CYCLE_1)
	s_or_b32 s0, s0, s8
	s_or_b32 exec_lo, exec_lo, s9
	s_and_saveexec_b32 s8, s0
	s_cbranch_execnz .LBB393_120
	s_branch .LBB393_121
.LBB393_149:                            ;   in Loop: Header=BB393_73 Depth=1
	v_lshrrev_b32_e32 v1, 24, v36
	s_delay_alu instid0(VALU_DEP_1) | instskip(SKIP_4) | instid1(SALU_CYCLE_1)
	v_and_or_b32 v36, 0x80, v1, v37
	v_add_co_u32 v1, vcc_lo, v11, s6
	v_add_co_ci_u32_e32 v2, vcc_lo, s7, v12, vcc_lo
	global_store_b8 v[1:2], v36, off
	s_or_b32 exec_lo, exec_lo, s0
	s_mov_b32 s0, exec_lo
	v_cmpx_gt_u64_e64 s[2:3], v[3:4]
	s_cbranch_execz .LBB393_131
.LBB393_150:                            ;   in Loop: Header=BB393_73 Depth=1
	v_lshrrev_b32_e32 v1, 24, v38
	s_delay_alu instid0(VALU_DEP_1) | instskip(SKIP_4) | instid1(SALU_CYCLE_1)
	v_and_or_b32 v3, 0x80, v1, v39
	v_add_co_u32 v1, vcc_lo, v27, s6
	v_add_co_ci_u32_e32 v2, vcc_lo, s7, v28, vcc_lo
	global_store_b8 v[1:2], v3, off
	s_or_b32 exec_lo, exec_lo, s0
	s_mov_b32 s0, exec_lo
	v_cmpx_gt_u64_e64 s[2:3], v[5:6]
	s_cbranch_execz .LBB393_132
.LBB393_151:                            ;   in Loop: Header=BB393_73 Depth=1
	v_lshrrev_b32_e32 v1, 24, v40
	s_delay_alu instid0(VALU_DEP_1) | instskip(SKIP_4) | instid1(SALU_CYCLE_1)
	v_and_or_b32 v3, 0x80, v1, v41
	v_add_co_u32 v1, vcc_lo, v21, s6
	v_add_co_ci_u32_e32 v2, vcc_lo, s7, v22, vcc_lo
	global_store_b8 v[1:2], v3, off
	s_or_b32 exec_lo, exec_lo, s0
	s_mov_b32 s0, exec_lo
	v_cmpx_gt_u64_e64 s[2:3], v[7:8]
	s_cbranch_execz .LBB393_72
.LBB393_152:                            ;   in Loop: Header=BB393_73 Depth=1
	v_lshrrev_b32_e32 v1, 24, v42
	s_delay_alu instid0(VALU_DEP_1)
	v_and_or_b32 v3, 0x80, v1, v43
	v_add_co_u32 v1, vcc_lo, v15, s6
	v_add_co_ci_u32_e32 v2, vcc_lo, s7, v16, vcc_lo
	global_store_b8 v[1:2], v3, off
	s_branch .LBB393_72
.LBB393_153:
	s_nop 0
	s_sendmsg sendmsg(MSG_DEALLOC_VGPRS)
	s_endpgm
	.section	.rodata,"a",@progbits
	.p2align	6, 0x0
	.amdhsa_kernel _ZN2at6native12_GLOBAL__N_125multi_tensor_apply_kernelINS1_18TensorListMetadataILi2EEENS1_11CopyFunctorIN3c1011Float8_e5m2ENS6_15Float8_e4m3fnuzELi2ELi1ELi1EEEJNS0_4CopyIS7_S8_EEEEEvT_T0_DpT1_
		.amdhsa_group_segment_fixed_size 0
		.amdhsa_private_segment_fixed_size 0
		.amdhsa_kernarg_size 3408
		.amdhsa_user_sgpr_count 15
		.amdhsa_user_sgpr_dispatch_ptr 0
		.amdhsa_user_sgpr_queue_ptr 0
		.amdhsa_user_sgpr_kernarg_segment_ptr 1
		.amdhsa_user_sgpr_dispatch_id 0
		.amdhsa_user_sgpr_private_segment_size 0
		.amdhsa_wavefront_size32 1
		.amdhsa_uses_dynamic_stack 0
		.amdhsa_enable_private_segment 0
		.amdhsa_system_sgpr_workgroup_id_x 1
		.amdhsa_system_sgpr_workgroup_id_y 0
		.amdhsa_system_sgpr_workgroup_id_z 0
		.amdhsa_system_sgpr_workgroup_info 0
		.amdhsa_system_vgpr_workitem_id 0
		.amdhsa_next_free_vgpr 47
		.amdhsa_next_free_sgpr 21
		.amdhsa_reserve_vcc 1
		.amdhsa_float_round_mode_32 0
		.amdhsa_float_round_mode_16_64 0
		.amdhsa_float_denorm_mode_32 3
		.amdhsa_float_denorm_mode_16_64 3
		.amdhsa_dx10_clamp 1
		.amdhsa_ieee_mode 1
		.amdhsa_fp16_overflow 0
		.amdhsa_workgroup_processor_mode 1
		.amdhsa_memory_ordered 1
		.amdhsa_forward_progress 0
		.amdhsa_shared_vgpr_count 0
		.amdhsa_exception_fp_ieee_invalid_op 0
		.amdhsa_exception_fp_denorm_src 0
		.amdhsa_exception_fp_ieee_div_zero 0
		.amdhsa_exception_fp_ieee_overflow 0
		.amdhsa_exception_fp_ieee_underflow 0
		.amdhsa_exception_fp_ieee_inexact 0
		.amdhsa_exception_int_div_zero 0
	.end_amdhsa_kernel
	.section	.text._ZN2at6native12_GLOBAL__N_125multi_tensor_apply_kernelINS1_18TensorListMetadataILi2EEENS1_11CopyFunctorIN3c1011Float8_e5m2ENS6_15Float8_e4m3fnuzELi2ELi1ELi1EEEJNS0_4CopyIS7_S8_EEEEEvT_T0_DpT1_,"axG",@progbits,_ZN2at6native12_GLOBAL__N_125multi_tensor_apply_kernelINS1_18TensorListMetadataILi2EEENS1_11CopyFunctorIN3c1011Float8_e5m2ENS6_15Float8_e4m3fnuzELi2ELi1ELi1EEEJNS0_4CopyIS7_S8_EEEEEvT_T0_DpT1_,comdat
.Lfunc_end393:
	.size	_ZN2at6native12_GLOBAL__N_125multi_tensor_apply_kernelINS1_18TensorListMetadataILi2EEENS1_11CopyFunctorIN3c1011Float8_e5m2ENS6_15Float8_e4m3fnuzELi2ELi1ELi1EEEJNS0_4CopyIS7_S8_EEEEEvT_T0_DpT1_, .Lfunc_end393-_ZN2at6native12_GLOBAL__N_125multi_tensor_apply_kernelINS1_18TensorListMetadataILi2EEENS1_11CopyFunctorIN3c1011Float8_e5m2ENS6_15Float8_e4m3fnuzELi2ELi1ELi1EEEJNS0_4CopyIS7_S8_EEEEEvT_T0_DpT1_
                                        ; -- End function
	.section	.AMDGPU.csdata,"",@progbits
; Kernel info:
; codeLenInByte = 4644
; NumSgprs: 23
; NumVgprs: 47
; ScratchSize: 0
; MemoryBound: 0
; FloatMode: 240
; IeeeMode: 1
; LDSByteSize: 0 bytes/workgroup (compile time only)
; SGPRBlocks: 2
; VGPRBlocks: 5
; NumSGPRsForWavesPerEU: 23
; NumVGPRsForWavesPerEU: 47
; Occupancy: 16
; WaveLimiterHint : 0
; COMPUTE_PGM_RSRC2:SCRATCH_EN: 0
; COMPUTE_PGM_RSRC2:USER_SGPR: 15
; COMPUTE_PGM_RSRC2:TRAP_HANDLER: 0
; COMPUTE_PGM_RSRC2:TGID_X_EN: 1
; COMPUTE_PGM_RSRC2:TGID_Y_EN: 0
; COMPUTE_PGM_RSRC2:TGID_Z_EN: 0
; COMPUTE_PGM_RSRC2:TIDIG_COMP_CNT: 0
	.section	.text._ZN2at6native12_GLOBAL__N_125multi_tensor_apply_kernelINS1_18TensorListMetadataILi2EEENS1_14UnaryOpFunctorIN3c1011Float8_e5m2ELi2ELi1ELi1EEEJNS0_4CopyIS7_S7_EEEEEvT_T0_DpT1_,"axG",@progbits,_ZN2at6native12_GLOBAL__N_125multi_tensor_apply_kernelINS1_18TensorListMetadataILi2EEENS1_14UnaryOpFunctorIN3c1011Float8_e5m2ELi2ELi1ELi1EEEJNS0_4CopyIS7_S7_EEEEEvT_T0_DpT1_,comdat
	.globl	_ZN2at6native12_GLOBAL__N_125multi_tensor_apply_kernelINS1_18TensorListMetadataILi2EEENS1_14UnaryOpFunctorIN3c1011Float8_e5m2ELi2ELi1ELi1EEEJNS0_4CopyIS7_S7_EEEEEvT_T0_DpT1_ ; -- Begin function _ZN2at6native12_GLOBAL__N_125multi_tensor_apply_kernelINS1_18TensorListMetadataILi2EEENS1_14UnaryOpFunctorIN3c1011Float8_e5m2ELi2ELi1ELi1EEEJNS0_4CopyIS7_S7_EEEEEvT_T0_DpT1_
	.p2align	8
	.type	_ZN2at6native12_GLOBAL__N_125multi_tensor_apply_kernelINS1_18TensorListMetadataILi2EEENS1_14UnaryOpFunctorIN3c1011Float8_e5m2ELi2ELi1ELi1EEEJNS0_4CopyIS7_S7_EEEEEvT_T0_DpT1_,@function
_ZN2at6native12_GLOBAL__N_125multi_tensor_apply_kernelINS1_18TensorListMetadataILi2EEENS1_14UnaryOpFunctorIN3c1011Float8_e5m2ELi2ELi1ELi1EEEJNS0_4CopyIS7_S7_EEEEEvT_T0_DpT1_: ; @_ZN2at6native12_GLOBAL__N_125multi_tensor_apply_kernelINS1_18TensorListMetadataILi2EEENS1_14UnaryOpFunctorIN3c1011Float8_e5m2ELi2ELi1ELi1EEEJNS0_4CopyIS7_S7_EEEEEvT_T0_DpT1_
; %bb.0:
	v_mov_b32_e32 v1, s15
	s_add_u32 s2, s0, s15
	s_mul_hi_u32 s3, s15, 3
	s_mul_i32 s15, s15, 3
	s_addc_u32 s4, s1, 0
	global_load_u8 v1, v1, s[0:1] offset:1536
	s_add_u32 s2, s2, s15
	s_addc_u32 s3, s4, s3
	s_load_b32 s2, s[2:3], 0x740
	s_waitcnt vmcnt(0)
	v_readfirstlane_b32 s5, v1
	s_delay_alu instid0(VALU_DEP_1)
	s_lshl_b32 s3, s5, 3
	s_clause 0x2
	s_load_b64 s[8:9], s[0:1], s3 offset:0x0
	s_load_b64 s[10:11], s[0:1], s3 offset:0x200
	;; [unrolled: 1-line block ×3, first 2 shown]
	s_waitcnt lgkmcnt(0)
	s_ashr_i32 s3, s2, 31
	s_delay_alu instid0(SALU_CYCLE_1) | instskip(NEXT) | instid1(SALU_CYCLE_1)
	s_lshl_b64 s[12:13], s[2:3], 16
	s_add_u32 s6, s8, s12
	s_addc_u32 s7, s9, s13
	s_add_u32 s3, s10, s12
	s_addc_u32 s14, s11, s13
	s_or_b64 s[16:17], s[4:5], s[6:7]
	s_delay_alu instid0(SALU_CYCLE_1) | instskip(NEXT) | instid1(SALU_CYCLE_1)
	s_or_b32 s2, s3, s16
	s_and_b32 s2, s2, 3
	s_sub_u32 s4, s4, s12
	s_subb_u32 s5, s5, s13
	s_cmp_eq_u32 s2, 0
	s_mov_b32 s2, -1
	s_cbranch_scc0 .LBB394_37
; %bb.1:
	v_dual_mov_b32 v2, 0 :: v_dual_lshlrev_b32 v1, 2, v0
	s_mov_b32 s15, exec_lo
	s_delay_alu instid0(VALU_DEP_1)
	v_cmpx_gt_i64_e64 s[4:5], v[1:2]
	s_cbranch_execz .LBB394_36
; %bb.2:
	s_load_b32 s2, s[0:1], 0xc5c
	v_mov_b32_e32 v3, 0x7f
	s_mov_b32 s16, 0
	s_mov_b32 s18, 0xfe00000
	s_waitcnt lgkmcnt(0)
	s_and_b32 s2, s2, 0xffff
	s_delay_alu instid0(SALU_CYCLE_1)
	s_lshl_b32 s17, s2, 2
	s_branch .LBB394_4
.LBB394_3:                              ;   in Loop: Header=BB394_4 Depth=1
	s_or_b32 exec_lo, exec_lo, s2
	v_lshrrev_b32_e32 v10, 24, v10
	v_lshrrev_b32_e32 v8, 24, v8
	v_add_co_u32 v12, vcc_lo, s3, v1
	v_add_co_ci_u32_e32 v13, vcc_lo, s14, v2, vcc_lo
	s_delay_alu instid0(VALU_DEP_4) | instskip(NEXT) | instid1(VALU_DEP_4)
	v_and_b32_e32 v10, 0x80, v10
	v_and_b32_e32 v8, 0x80, v8
	v_add_co_u32 v1, vcc_lo, s17, v1
	v_add_co_ci_u32_e32 v2, vcc_lo, 0, v2, vcc_lo
	s_delay_alu instid0(VALU_DEP_4)
	v_and_or_b32 v9, 0xff, v9, v10
	v_lshlrev_b32_e32 v11, 24, v11
	v_and_b32_e32 v6, 0x80000000, v6
	v_lshrrev_b32_e32 v4, 24, v4
	v_and_or_b32 v7, 0xff, v7, v8
	v_lshlrev_b32_e32 v9, 16, v9
	v_and_b32_e32 v5, 0xff, v5
	v_cmp_le_i64_e32 vcc_lo, s[4:5], v[1:2]
	v_cmp_lt_u64_e64 s2, 0xffff, v[1:2]
	v_lshlrev_b32_e32 v7, 8, v7
	v_or3_b32 v6, v6, v11, v9
	v_and_or_b32 v4, 0x80, v4, v5
	s_delay_alu instid0(VALU_DEP_4) | instskip(NEXT) | instid1(VALU_DEP_1)
	s_or_b32 s2, vcc_lo, s2
	v_or3_b32 v4, v6, v7, v4
	s_and_b32 s2, exec_lo, s2
	s_delay_alu instid0(SALU_CYCLE_1)
	s_or_b32 s16, s2, s16
	global_store_b32 v[12:13], v4, off
	s_and_not1_b32 exec_lo, exec_lo, s16
	s_cbranch_execz .LBB394_36
.LBB394_4:                              ; =>This Inner Loop Header: Depth=1
	v_add_co_u32 v4, vcc_lo, s6, v1
	v_add_co_ci_u32_e32 v5, vcc_lo, s7, v2, vcc_lo
	s_mov_b32 s2, exec_lo
	global_load_b32 v6, v[4:5], off
	s_waitcnt vmcnt(0)
	v_lshlrev_b32_e32 v4, 25, v6
	v_lshlrev_b16 v5, 8, v6
	s_delay_alu instid0(VALU_DEP_2) | instskip(NEXT) | instid1(VALU_DEP_2)
	v_lshrrev_b32_e32 v7, 4, v4
	v_and_or_b32 v8, 0x7f00, v5, 0.5
	s_delay_alu instid0(VALU_DEP_2) | instskip(NEXT) | instid1(VALU_DEP_1)
	v_or_b32_e32 v7, 0x70000000, v7
	v_dual_add_f32 v8, -0.5, v8 :: v_dual_mul_f32 v7, 0x7800000, v7
	v_cmp_gt_u32_e32 vcc_lo, 0x8000000, v4
	v_bfe_i32 v4, v5, 0, 16
                                        ; implicit-def: $vgpr5
	s_delay_alu instid0(VALU_DEP_3) | instskip(NEXT) | instid1(VALU_DEP_1)
	v_cndmask_b32_e32 v7, v7, v8, vcc_lo
	v_and_or_b32 v4, 0x80000000, v4, v7
	s_delay_alu instid0(VALU_DEP_1) | instskip(NEXT) | instid1(VALU_DEP_1)
	v_and_b32_e32 v8, 0x7fffffff, v4
	v_cmpx_gt_u32_e32 0x47800000, v8
	s_xor_b32 s2, exec_lo, s2
	s_cbranch_execz .LBB394_10
; %bb.5:                                ;   in Loop: Header=BB394_4 Depth=1
	s_mov_b32 s19, exec_lo
                                        ; implicit-def: $vgpr5
	v_cmpx_lt_u32_e32 0x387fffff, v8
	s_xor_b32 s19, exec_lo, s19
; %bb.6:                                ;   in Loop: Header=BB394_4 Depth=1
	v_bfe_u32 v5, v7, 21, 1
	s_delay_alu instid0(VALU_DEP_1) | instskip(NEXT) | instid1(VALU_DEP_1)
	v_add3_u32 v5, v4, v5, 0x80fffff
	v_lshrrev_b32_e32 v5, 21, v5
; %bb.7:                                ;   in Loop: Header=BB394_4 Depth=1
	s_and_not1_saveexec_b32 s19, s19
; %bb.8:                                ;   in Loop: Header=BB394_4 Depth=1
	v_add_f32_e64 v5, 0x43000000, |v4|
; %bb.9:                                ;   in Loop: Header=BB394_4 Depth=1
	s_or_b32 exec_lo, exec_lo, s19
                                        ; implicit-def: $vgpr8
.LBB394_10:                             ;   in Loop: Header=BB394_4 Depth=1
	s_and_not1_saveexec_b32 s2, s2
; %bb.11:                               ;   in Loop: Header=BB394_4 Depth=1
	v_cmp_lt_u32_e32 vcc_lo, 0x7f800000, v8
	v_cndmask_b32_e32 v5, 0x7c, v3, vcc_lo
; %bb.12:                               ;   in Loop: Header=BB394_4 Depth=1
	s_or_b32 exec_lo, exec_lo, s2
	v_and_or_b32 v8, 0x7f00, v6, 0.5
	v_lshlrev_b32_e32 v7, 13, v6
	v_lshlrev_b32_e32 v9, 17, v6
	s_mov_b32 s2, exec_lo
	s_delay_alu instid0(VALU_DEP_3) | instskip(NEXT) | instid1(VALU_DEP_3)
	v_add_f32_e32 v8, -0.5, v8
	v_and_or_b32 v7, v7, s18, 0x70000000
	s_delay_alu instid0(VALU_DEP_3) | instskip(NEXT) | instid1(VALU_DEP_2)
	v_cmp_gt_u32_e32 vcc_lo, 0x8000000, v9
	v_mul_f32_e32 v7, 0x7800000, v7
	s_delay_alu instid0(VALU_DEP_1) | instskip(SKIP_1) | instid1(VALU_DEP_1)
	v_cndmask_b32_e32 v9, v7, v8, vcc_lo
	v_lshlrev_b32_e32 v7, 16, v6
	v_and_or_b32 v8, 0x80000000, v7, v9
                                        ; implicit-def: $vgpr7
	s_delay_alu instid0(VALU_DEP_1) | instskip(NEXT) | instid1(VALU_DEP_1)
	v_and_b32_e32 v10, 0x7fffffff, v8
	v_cmpx_gt_u32_e32 0x47800000, v10
	s_xor_b32 s2, exec_lo, s2
	s_cbranch_execz .LBB394_18
; %bb.13:                               ;   in Loop: Header=BB394_4 Depth=1
	s_mov_b32 s19, exec_lo
                                        ; implicit-def: $vgpr7
	v_cmpx_lt_u32_e32 0x387fffff, v10
	s_xor_b32 s19, exec_lo, s19
; %bb.14:                               ;   in Loop: Header=BB394_4 Depth=1
	v_bfe_u32 v7, v9, 21, 1
	s_delay_alu instid0(VALU_DEP_1) | instskip(NEXT) | instid1(VALU_DEP_1)
	v_add3_u32 v7, v8, v7, 0x80fffff
	v_lshrrev_b32_e32 v7, 21, v7
; %bb.15:                               ;   in Loop: Header=BB394_4 Depth=1
	s_and_not1_saveexec_b32 s19, s19
; %bb.16:                               ;   in Loop: Header=BB394_4 Depth=1
	v_add_f32_e64 v7, 0x43000000, |v8|
; %bb.17:                               ;   in Loop: Header=BB394_4 Depth=1
	s_or_b32 exec_lo, exec_lo, s19
                                        ; implicit-def: $vgpr10
.LBB394_18:                             ;   in Loop: Header=BB394_4 Depth=1
	s_and_not1_saveexec_b32 s2, s2
; %bb.19:                               ;   in Loop: Header=BB394_4 Depth=1
	v_cmp_lt_u32_e32 vcc_lo, 0x7f800000, v10
	v_cndmask_b32_e32 v7, 0x7c, v3, vcc_lo
; %bb.20:                               ;   in Loop: Header=BB394_4 Depth=1
	s_or_b32 exec_lo, exec_lo, s2
	v_lshrrev_b32_e32 v9, 8, v6
	s_mov_b32 s2, exec_lo
	s_delay_alu instid0(VALU_DEP_1) | instskip(NEXT) | instid1(VALU_DEP_1)
	v_and_or_b32 v11, 0x7f00, v9, 0.5
	v_dual_add_f32 v11, -0.5, v11 :: v_dual_lshlrev_b32 v10, 5, v6
	s_delay_alu instid0(VALU_DEP_1) | instskip(NEXT) | instid1(VALU_DEP_1)
	v_and_or_b32 v10, v10, s18, 0x70000000
	v_dual_mul_f32 v10, 0x7800000, v10 :: v_dual_lshlrev_b32 v9, 17, v9
	s_delay_alu instid0(VALU_DEP_1) | instskip(SKIP_1) | instid1(VALU_DEP_3)
	v_cmp_gt_u32_e32 vcc_lo, 0x8000000, v9
	v_lshlrev_b32_e32 v9, 8, v6
	v_cndmask_b32_e32 v11, v10, v11, vcc_lo
	s_delay_alu instid0(VALU_DEP_1) | instskip(NEXT) | instid1(VALU_DEP_1)
	v_and_or_b32 v10, 0x80000000, v9, v11
                                        ; implicit-def: $vgpr9
	v_and_b32_e32 v12, 0x7fffffff, v10
	s_delay_alu instid0(VALU_DEP_1)
	v_cmpx_gt_u32_e32 0x47800000, v12
	s_xor_b32 s2, exec_lo, s2
	s_cbranch_execz .LBB394_26
; %bb.21:                               ;   in Loop: Header=BB394_4 Depth=1
	s_mov_b32 s19, exec_lo
                                        ; implicit-def: $vgpr9
	v_cmpx_lt_u32_e32 0x387fffff, v12
	s_xor_b32 s19, exec_lo, s19
; %bb.22:                               ;   in Loop: Header=BB394_4 Depth=1
	v_bfe_u32 v9, v11, 21, 1
	s_delay_alu instid0(VALU_DEP_1) | instskip(NEXT) | instid1(VALU_DEP_1)
	v_add3_u32 v9, v10, v9, 0x80fffff
	v_lshrrev_b32_e32 v9, 21, v9
; %bb.23:                               ;   in Loop: Header=BB394_4 Depth=1
	s_and_not1_saveexec_b32 s19, s19
; %bb.24:                               ;   in Loop: Header=BB394_4 Depth=1
	v_add_f32_e64 v9, 0x43000000, |v10|
; %bb.25:                               ;   in Loop: Header=BB394_4 Depth=1
	s_or_b32 exec_lo, exec_lo, s19
                                        ; implicit-def: $vgpr12
.LBB394_26:                             ;   in Loop: Header=BB394_4 Depth=1
	s_and_not1_saveexec_b32 s2, s2
; %bb.27:                               ;   in Loop: Header=BB394_4 Depth=1
	v_cmp_lt_u32_e32 vcc_lo, 0x7f800000, v12
	v_cndmask_b32_e32 v9, 0x7c, v3, vcc_lo
; %bb.28:                               ;   in Loop: Header=BB394_4 Depth=1
	s_or_b32 exec_lo, exec_lo, s2
	v_lshrrev_b32_e32 v11, 16, v6
	v_lshrrev_b32_e32 v12, 3, v6
	s_mov_b32 s2, exec_lo
	s_delay_alu instid0(VALU_DEP_2) | instskip(NEXT) | instid1(VALU_DEP_2)
	v_and_or_b32 v13, 0x7f00, v11, 0.5
	v_and_or_b32 v12, v12, s18, 0x70000000
	v_lshlrev_b32_e32 v11, 17, v11
	s_delay_alu instid0(VALU_DEP_2) | instskip(NEXT) | instid1(VALU_DEP_2)
	v_dual_add_f32 v13, -0.5, v13 :: v_dual_mul_f32 v12, 0x7800000, v12
	v_cmp_gt_u32_e32 vcc_lo, 0x8000000, v11
                                        ; implicit-def: $vgpr11
	s_delay_alu instid0(VALU_DEP_2) | instskip(NEXT) | instid1(VALU_DEP_1)
	v_cndmask_b32_e32 v13, v12, v13, vcc_lo
	v_and_or_b32 v6, 0x80000000, v6, v13
	s_delay_alu instid0(VALU_DEP_1) | instskip(NEXT) | instid1(VALU_DEP_1)
	v_and_b32_e32 v12, 0x7fffffff, v6
	v_cmpx_gt_u32_e32 0x47800000, v12
	s_xor_b32 s2, exec_lo, s2
	s_cbranch_execz .LBB394_34
; %bb.29:                               ;   in Loop: Header=BB394_4 Depth=1
	s_mov_b32 s19, exec_lo
                                        ; implicit-def: $vgpr11
	v_cmpx_lt_u32_e32 0x387fffff, v12
	s_xor_b32 s19, exec_lo, s19
; %bb.30:                               ;   in Loop: Header=BB394_4 Depth=1
	v_bfe_u32 v11, v13, 21, 1
	s_delay_alu instid0(VALU_DEP_1) | instskip(NEXT) | instid1(VALU_DEP_1)
	v_add3_u32 v11, v6, v11, 0x80fffff
	v_lshrrev_b32_e32 v11, 21, v11
; %bb.31:                               ;   in Loop: Header=BB394_4 Depth=1
	s_and_not1_saveexec_b32 s19, s19
; %bb.32:                               ;   in Loop: Header=BB394_4 Depth=1
	v_add_f32_e64 v11, 0x43000000, |v6|
; %bb.33:                               ;   in Loop: Header=BB394_4 Depth=1
	s_or_b32 exec_lo, exec_lo, s19
                                        ; implicit-def: $vgpr12
.LBB394_34:                             ;   in Loop: Header=BB394_4 Depth=1
	s_and_not1_saveexec_b32 s2, s2
	s_cbranch_execz .LBB394_3
; %bb.35:                               ;   in Loop: Header=BB394_4 Depth=1
	v_cmp_lt_u32_e32 vcc_lo, 0x7f800000, v12
	v_cndmask_b32_e32 v11, 0x7c, v3, vcc_lo
	s_branch .LBB394_3
.LBB394_36:
	s_or_b32 exec_lo, exec_lo, s15
	s_mov_b32 s2, 0
.LBB394_37:
	s_delay_alu instid0(SALU_CYCLE_1)
	s_and_not1_b32 vcc_lo, exec_lo, s2
	s_cbranch_vccnz .LBB394_89
; %bb.38:
	v_cmp_lt_i64_e64 s2, s[4:5], 1
	s_delay_alu instid0(VALU_DEP_1)
	s_and_b32 vcc_lo, exec_lo, s2
	s_cbranch_vccnz .LBB394_89
; %bb.39:
	s_load_b32 s0, s[0:1], 0xc5c
	v_add_co_u32 v15, s1, s12, v0
	s_delay_alu instid0(VALU_DEP_1) | instskip(SKIP_1) | instid1(VALU_DEP_3)
	v_add_co_ci_u32_e64 v16, null, s13, 0, s1
	v_cmp_gt_u64_e64 s1, 0x10000, s[4:5]
	v_add_co_u32 v1, vcc_lo, s8, v15
	s_delay_alu instid0(VALU_DEP_3)
	v_add_co_ci_u32_e32 v2, vcc_lo, s9, v16, vcc_lo
	v_add_co_u32 v3, vcc_lo, s10, v15
	v_add_co_ci_u32_e32 v4, vcc_lo, s11, v16, vcc_lo
	v_mov_b32_e32 v23, 0x7f
	s_waitcnt lgkmcnt(0)
	s_and_b32 s0, s0, 0xffff
	s_and_b32 s1, s1, exec_lo
	s_mul_i32 s2, s0, 3
	s_cselect_b32 s7, s5, 0
	s_cselect_b32 s6, s4, 0x10000
	s_lshl_b32 s1, s0, 1
	s_lshl_b32 s14, s0, 2
	s_add_u32 s3, s12, s2
	s_addc_u32 s15, s13, 0
	v_add_co_u32 v7, s3, s3, v0
	s_delay_alu instid0(VALU_DEP_1) | instskip(SKIP_1) | instid1(VALU_DEP_2)
	v_add_co_ci_u32_e64 v8, null, s15, 0, s3
	s_add_u32 s3, s12, s1
	v_add_co_u32 v5, vcc_lo, s8, v7
	s_addc_u32 s12, s13, 0
	v_add_co_u32 v13, s3, s3, v0
	v_add_co_ci_u32_e32 v6, vcc_lo, s9, v8, vcc_lo
	v_add_co_u32 v7, vcc_lo, s10, v7
	v_add_co_ci_u32_e64 v14, null, s12, 0, s3
	v_add_co_ci_u32_e32 v8, vcc_lo, s11, v8, vcc_lo
	v_add_co_u32 v11, vcc_lo, s8, v13
	s_delay_alu instid0(VALU_DEP_3)
	v_add_co_ci_u32_e32 v12, vcc_lo, s9, v14, vcc_lo
	v_add_co_u32 v13, vcc_lo, s10, v13
	v_add_co_ci_u32_e32 v14, vcc_lo, s11, v14, vcc_lo
	v_add_co_u32 v19, vcc_lo, v15, s0
	v_add_co_ci_u32_e32 v20, vcc_lo, 0, v16, vcc_lo
	v_add_co_u32 v9, s2, s2, v0
	s_delay_alu instid0(VALU_DEP_3) | instskip(NEXT) | instid1(VALU_DEP_3)
	v_add_co_u32 v17, vcc_lo, s8, v19
	v_add_co_ci_u32_e32 v18, vcc_lo, s9, v20, vcc_lo
	v_add_co_u32 v15, s1, s1, v0
	v_add_co_u32 v19, vcc_lo, s10, v19
	v_add_co_u32 v21, s0, v0, s0
	v_add_co_ci_u32_e64 v10, null, 0, 0, s2
	v_add_co_ci_u32_e64 v16, null, 0, 0, s1
	v_add_co_ci_u32_e32 v20, vcc_lo, s11, v20, vcc_lo
	v_add_co_ci_u32_e64 v22, null, 0, 0, s0
	s_mov_b64 s[8:9], 0
	s_branch .LBB394_41
.LBB394_40:                             ;   in Loop: Header=BB394_41 Depth=1
	s_or_b32 exec_lo, exec_lo, s0
	s_add_u32 s8, s8, s14
	s_addc_u32 s9, s9, 0
	s_delay_alu instid0(SALU_CYCLE_1) | instskip(SKIP_1) | instid1(VALU_DEP_1)
	v_cmp_ge_i64_e64 s0, s[8:9], s[4:5]
	v_cmp_lt_u64_e64 s1, 0xffff, s[8:9]
	s_or_b32 s0, s0, s1
	s_delay_alu instid0(SALU_CYCLE_1)
	s_and_b32 vcc_lo, exec_lo, s0
	s_cbranch_vccnz .LBB394_89
.LBB394_41:                             ; =>This Inner Loop Header: Depth=1
	v_add_co_u32 v24, s0, v0, s8
	s_delay_alu instid0(VALU_DEP_1) | instskip(NEXT) | instid1(VALU_DEP_1)
	v_add_co_ci_u32_e64 v25, null, 0, s9, s0
	v_cmp_gt_u64_e32 vcc_lo, s[6:7], v[24:25]
	v_mov_b32_e32 v24, 0
	s_and_saveexec_b32 s1, vcc_lo
	s_cbranch_execz .LBB394_43
; %bb.42:                               ;   in Loop: Header=BB394_41 Depth=1
	v_add_co_u32 v24, s0, v1, s8
	s_delay_alu instid0(VALU_DEP_1)
	v_add_co_ci_u32_e64 v25, s0, s9, v2, s0
	global_load_u8 v24, v[24:25], off
.LBB394_43:                             ;   in Loop: Header=BB394_41 Depth=1
	s_or_b32 exec_lo, exec_lo, s1
	v_add_co_u32 v25, s0, v21, s8
	s_delay_alu instid0(VALU_DEP_1) | instskip(SKIP_1) | instid1(VALU_DEP_2)
	v_add_co_ci_u32_e64 v26, s0, s9, v22, s0
	v_mov_b32_e32 v27, 0
	v_cmp_gt_u64_e64 s0, s[6:7], v[25:26]
	s_delay_alu instid0(VALU_DEP_1)
	s_and_saveexec_b32 s2, s0
	s_cbranch_execz .LBB394_45
; %bb.44:                               ;   in Loop: Header=BB394_41 Depth=1
	v_add_co_u32 v25, s1, v17, s8
	s_delay_alu instid0(VALU_DEP_1)
	v_add_co_ci_u32_e64 v26, s1, s9, v18, s1
	global_load_u8 v27, v[25:26], off
.LBB394_45:                             ;   in Loop: Header=BB394_41 Depth=1
	s_or_b32 exec_lo, exec_lo, s2
	v_add_co_u32 v25, s1, v15, s8
	s_delay_alu instid0(VALU_DEP_1) | instskip(SKIP_1) | instid1(VALU_DEP_2)
	v_add_co_ci_u32_e64 v26, s1, s9, v16, s1
	v_mov_b32_e32 v29, 0
	v_cmp_gt_u64_e64 s1, s[6:7], v[25:26]
	v_mov_b32_e32 v26, 0
	s_delay_alu instid0(VALU_DEP_2)
	s_and_saveexec_b32 s3, s1
	s_cbranch_execz .LBB394_47
; %bb.46:                               ;   in Loop: Header=BB394_41 Depth=1
	v_add_co_u32 v28, s2, v11, s8
	s_delay_alu instid0(VALU_DEP_1)
	v_add_co_ci_u32_e64 v29, s2, s9, v12, s2
	global_load_u8 v29, v[28:29], off
.LBB394_47:                             ;   in Loop: Header=BB394_41 Depth=1
	s_or_b32 exec_lo, exec_lo, s3
	v_add_co_u32 v30, s2, v9, s8
	s_delay_alu instid0(VALU_DEP_1) | instskip(NEXT) | instid1(VALU_DEP_1)
	v_add_co_ci_u32_e64 v31, s2, s9, v10, s2
	v_cmp_gt_u64_e64 s2, s[6:7], v[30:31]
	s_delay_alu instid0(VALU_DEP_1)
	s_and_saveexec_b32 s10, s2
	s_cbranch_execz .LBB394_49
; %bb.48:                               ;   in Loop: Header=BB394_41 Depth=1
	v_add_co_u32 v25, s3, v5, s8
	s_delay_alu instid0(VALU_DEP_1)
	v_add_co_ci_u32_e64 v26, s3, s9, v6, s3
	global_load_u8 v26, v[25:26], off
.LBB394_49:                             ;   in Loop: Header=BB394_41 Depth=1
	s_or_b32 exec_lo, exec_lo, s10
	s_waitcnt vmcnt(0)
	v_lshlrev_b32_e32 v25, 25, v24
	v_lshlrev_b16 v24, 8, v24
	s_mov_b32 s10, exec_lo
	s_delay_alu instid0(VALU_DEP_1) | instskip(SKIP_1) | instid1(VALU_DEP_2)
	v_and_or_b32 v30, 0x7f00, v24, 0.5
	v_bfe_i32 v24, v24, 0, 16
	v_add_f32_e32 v30, -0.5, v30
	v_lshrrev_b32_e32 v28, 4, v25
	v_cmp_gt_u32_e64 s3, 0x8000000, v25
                                        ; implicit-def: $vgpr25
	s_delay_alu instid0(VALU_DEP_2) | instskip(NEXT) | instid1(VALU_DEP_1)
	v_or_b32_e32 v28, 0x70000000, v28
	v_mul_f32_e32 v28, 0x7800000, v28
	s_delay_alu instid0(VALU_DEP_1) | instskip(NEXT) | instid1(VALU_DEP_1)
	v_cndmask_b32_e64 v28, v28, v30, s3
	v_and_or_b32 v24, 0x80000000, v24, v28
	s_delay_alu instid0(VALU_DEP_1) | instskip(NEXT) | instid1(VALU_DEP_1)
	v_and_b32_e32 v30, 0x7fffffff, v24
	v_cmpx_gt_u32_e32 0x47800000, v30
	s_xor_b32 s10, exec_lo, s10
	s_cbranch_execz .LBB394_55
; %bb.50:                               ;   in Loop: Header=BB394_41 Depth=1
	v_cmp_lt_u32_e64 s3, 0x387fffff, v30
                                        ; implicit-def: $vgpr25
	s_delay_alu instid0(VALU_DEP_1) | instskip(NEXT) | instid1(SALU_CYCLE_1)
	s_and_saveexec_b32 s11, s3
	s_xor_b32 s3, exec_lo, s11
; %bb.51:                               ;   in Loop: Header=BB394_41 Depth=1
	v_bfe_u32 v25, v28, 21, 1
	s_delay_alu instid0(VALU_DEP_1) | instskip(NEXT) | instid1(VALU_DEP_1)
	v_add3_u32 v25, v24, v25, 0x80fffff
	v_lshrrev_b32_e32 v25, 21, v25
; %bb.52:                               ;   in Loop: Header=BB394_41 Depth=1
	s_and_not1_saveexec_b32 s3, s3
; %bb.53:                               ;   in Loop: Header=BB394_41 Depth=1
	v_add_f32_e64 v25, 0x43000000, |v24|
; %bb.54:                               ;   in Loop: Header=BB394_41 Depth=1
	s_or_b32 exec_lo, exec_lo, s3
                                        ; implicit-def: $vgpr30
.LBB394_55:                             ;   in Loop: Header=BB394_41 Depth=1
	s_and_not1_saveexec_b32 s10, s10
; %bb.56:                               ;   in Loop: Header=BB394_41 Depth=1
	v_cmp_lt_u32_e64 s3, 0x7f800000, v30
	s_delay_alu instid0(VALU_DEP_1)
	v_cndmask_b32_e64 v25, 0x7c, v23, s3
; %bb.57:                               ;   in Loop: Header=BB394_41 Depth=1
	s_or_b32 exec_lo, exec_lo, s10
	v_lshlrev_b32_e32 v28, 25, v27
	v_lshlrev_b16 v27, 8, v27
	s_mov_b32 s10, exec_lo
	s_delay_alu instid0(VALU_DEP_2) | instskip(NEXT) | instid1(VALU_DEP_2)
	v_lshrrev_b32_e32 v30, 4, v28
	v_and_or_b32 v31, 0x7f00, v27, 0.5
	v_cmp_gt_u32_e64 s3, 0x8000000, v28
	v_bfe_i32 v27, v27, 0, 16
                                        ; implicit-def: $vgpr28
	s_delay_alu instid0(VALU_DEP_4) | instskip(NEXT) | instid1(VALU_DEP_1)
	v_or_b32_e32 v30, 0x70000000, v30
	v_dual_add_f32 v31, -0.5, v31 :: v_dual_mul_f32 v30, 0x7800000, v30
	s_delay_alu instid0(VALU_DEP_1) | instskip(NEXT) | instid1(VALU_DEP_1)
	v_cndmask_b32_e64 v30, v30, v31, s3
	v_and_or_b32 v27, 0x80000000, v27, v30
	s_delay_alu instid0(VALU_DEP_1) | instskip(NEXT) | instid1(VALU_DEP_1)
	v_and_b32_e32 v31, 0x7fffffff, v27
	v_cmpx_gt_u32_e32 0x47800000, v31
	s_xor_b32 s10, exec_lo, s10
	s_cbranch_execz .LBB394_63
; %bb.58:                               ;   in Loop: Header=BB394_41 Depth=1
	v_cmp_lt_u32_e64 s3, 0x387fffff, v31
                                        ; implicit-def: $vgpr28
	s_delay_alu instid0(VALU_DEP_1) | instskip(NEXT) | instid1(SALU_CYCLE_1)
	s_and_saveexec_b32 s11, s3
	s_xor_b32 s3, exec_lo, s11
; %bb.59:                               ;   in Loop: Header=BB394_41 Depth=1
	v_bfe_u32 v28, v30, 21, 1
	s_delay_alu instid0(VALU_DEP_1) | instskip(NEXT) | instid1(VALU_DEP_1)
	v_add3_u32 v28, v27, v28, 0x80fffff
	v_lshrrev_b32_e32 v28, 21, v28
; %bb.60:                               ;   in Loop: Header=BB394_41 Depth=1
	s_and_not1_saveexec_b32 s3, s3
; %bb.61:                               ;   in Loop: Header=BB394_41 Depth=1
	v_add_f32_e64 v28, 0x43000000, |v27|
; %bb.62:                               ;   in Loop: Header=BB394_41 Depth=1
	s_or_b32 exec_lo, exec_lo, s3
                                        ; implicit-def: $vgpr31
.LBB394_63:                             ;   in Loop: Header=BB394_41 Depth=1
	s_and_not1_saveexec_b32 s10, s10
; %bb.64:                               ;   in Loop: Header=BB394_41 Depth=1
	v_cmp_lt_u32_e64 s3, 0x7f800000, v31
	s_delay_alu instid0(VALU_DEP_1)
	v_cndmask_b32_e64 v28, 0x7c, v23, s3
; %bb.65:                               ;   in Loop: Header=BB394_41 Depth=1
	s_or_b32 exec_lo, exec_lo, s10
	v_lshlrev_b32_e32 v30, 25, v29
	v_lshlrev_b16 v29, 8, v29
	s_mov_b32 s10, exec_lo
	s_delay_alu instid0(VALU_DEP_2) | instskip(NEXT) | instid1(VALU_DEP_2)
	v_lshrrev_b32_e32 v31, 4, v30
	v_and_or_b32 v32, 0x7f00, v29, 0.5
	v_bfe_i32 v29, v29, 0, 16
	s_delay_alu instid0(VALU_DEP_3) | instskip(NEXT) | instid1(VALU_DEP_1)
	v_or_b32_e32 v31, 0x70000000, v31
	v_dual_add_f32 v32, -0.5, v32 :: v_dual_mul_f32 v31, 0x7800000, v31
	v_cmp_gt_u32_e64 s3, 0x8000000, v30
                                        ; implicit-def: $vgpr30
	s_delay_alu instid0(VALU_DEP_1) | instskip(NEXT) | instid1(VALU_DEP_1)
	v_cndmask_b32_e64 v31, v31, v32, s3
	v_and_or_b32 v29, 0x80000000, v29, v31
	s_delay_alu instid0(VALU_DEP_1) | instskip(NEXT) | instid1(VALU_DEP_1)
	v_and_b32_e32 v32, 0x7fffffff, v29
	v_cmpx_gt_u32_e32 0x47800000, v32
	s_xor_b32 s10, exec_lo, s10
	s_cbranch_execz .LBB394_71
; %bb.66:                               ;   in Loop: Header=BB394_41 Depth=1
	v_cmp_lt_u32_e64 s3, 0x387fffff, v32
                                        ; implicit-def: $vgpr30
	s_delay_alu instid0(VALU_DEP_1) | instskip(NEXT) | instid1(SALU_CYCLE_1)
	s_and_saveexec_b32 s11, s3
	s_xor_b32 s3, exec_lo, s11
; %bb.67:                               ;   in Loop: Header=BB394_41 Depth=1
	v_bfe_u32 v30, v31, 21, 1
	s_delay_alu instid0(VALU_DEP_1) | instskip(NEXT) | instid1(VALU_DEP_1)
	v_add3_u32 v30, v29, v30, 0x80fffff
	v_lshrrev_b32_e32 v30, 21, v30
; %bb.68:                               ;   in Loop: Header=BB394_41 Depth=1
	s_and_not1_saveexec_b32 s3, s3
; %bb.69:                               ;   in Loop: Header=BB394_41 Depth=1
	v_add_f32_e64 v30, 0x43000000, |v29|
; %bb.70:                               ;   in Loop: Header=BB394_41 Depth=1
	s_or_b32 exec_lo, exec_lo, s3
                                        ; implicit-def: $vgpr32
.LBB394_71:                             ;   in Loop: Header=BB394_41 Depth=1
	s_and_not1_saveexec_b32 s10, s10
; %bb.72:                               ;   in Loop: Header=BB394_41 Depth=1
	v_cmp_lt_u32_e64 s3, 0x7f800000, v32
	s_delay_alu instid0(VALU_DEP_1)
	v_cndmask_b32_e64 v30, 0x7c, v23, s3
; %bb.73:                               ;   in Loop: Header=BB394_41 Depth=1
	s_or_b32 exec_lo, exec_lo, s10
	v_lshlrev_b32_e32 v31, 25, v26
	v_lshlrev_b16 v26, 8, v26
	s_mov_b32 s10, exec_lo
	s_delay_alu instid0(VALU_DEP_2) | instskip(NEXT) | instid1(VALU_DEP_2)
	v_lshrrev_b32_e32 v32, 4, v31
	v_and_or_b32 v33, 0x7f00, v26, 0.5
	v_bfe_i32 v26, v26, 0, 16
	s_delay_alu instid0(VALU_DEP_3) | instskip(NEXT) | instid1(VALU_DEP_1)
	v_or_b32_e32 v32, 0x70000000, v32
	v_dual_add_f32 v33, -0.5, v33 :: v_dual_mul_f32 v32, 0x7800000, v32
	v_cmp_gt_u32_e64 s3, 0x8000000, v31
                                        ; implicit-def: $vgpr31
	s_delay_alu instid0(VALU_DEP_1) | instskip(NEXT) | instid1(VALU_DEP_1)
	v_cndmask_b32_e64 v32, v32, v33, s3
	v_and_or_b32 v26, 0x80000000, v26, v32
	s_delay_alu instid0(VALU_DEP_1) | instskip(NEXT) | instid1(VALU_DEP_1)
	v_and_b32_e32 v33, 0x7fffffff, v26
	v_cmpx_gt_u32_e32 0x47800000, v33
	s_xor_b32 s10, exec_lo, s10
	s_cbranch_execnz .LBB394_79
; %bb.74:                               ;   in Loop: Header=BB394_41 Depth=1
	s_and_not1_saveexec_b32 s10, s10
	s_cbranch_execnz .LBB394_84
.LBB394_75:                             ;   in Loop: Header=BB394_41 Depth=1
	s_or_b32 exec_lo, exec_lo, s10
	s_and_saveexec_b32 s3, vcc_lo
	s_delay_alu instid0(SALU_CYCLE_1)
	s_xor_b32 s3, exec_lo, s3
	s_cbranch_execnz .LBB394_85
.LBB394_76:                             ;   in Loop: Header=BB394_41 Depth=1
	s_or_b32 exec_lo, exec_lo, s3
	s_and_saveexec_b32 s3, s0
	s_cbranch_execnz .LBB394_86
.LBB394_77:                             ;   in Loop: Header=BB394_41 Depth=1
	s_or_b32 exec_lo, exec_lo, s3
	s_and_saveexec_b32 s0, s1
	s_cbranch_execnz .LBB394_87
.LBB394_78:                             ;   in Loop: Header=BB394_41 Depth=1
	s_or_b32 exec_lo, exec_lo, s0
	s_and_saveexec_b32 s0, s2
	s_cbranch_execz .LBB394_40
	s_branch .LBB394_88
.LBB394_79:                             ;   in Loop: Header=BB394_41 Depth=1
	v_cmp_lt_u32_e64 s3, 0x387fffff, v33
                                        ; implicit-def: $vgpr31
	s_delay_alu instid0(VALU_DEP_1) | instskip(NEXT) | instid1(SALU_CYCLE_1)
	s_and_saveexec_b32 s11, s3
	s_xor_b32 s3, exec_lo, s11
; %bb.80:                               ;   in Loop: Header=BB394_41 Depth=1
	v_bfe_u32 v31, v32, 21, 1
	s_delay_alu instid0(VALU_DEP_1) | instskip(NEXT) | instid1(VALU_DEP_1)
	v_add3_u32 v31, v26, v31, 0x80fffff
	v_lshrrev_b32_e32 v31, 21, v31
; %bb.81:                               ;   in Loop: Header=BB394_41 Depth=1
	s_and_not1_saveexec_b32 s3, s3
; %bb.82:                               ;   in Loop: Header=BB394_41 Depth=1
	v_add_f32_e64 v31, 0x43000000, |v26|
; %bb.83:                               ;   in Loop: Header=BB394_41 Depth=1
	s_or_b32 exec_lo, exec_lo, s3
                                        ; implicit-def: $vgpr33
	s_and_not1_saveexec_b32 s10, s10
	s_cbranch_execz .LBB394_75
.LBB394_84:                             ;   in Loop: Header=BB394_41 Depth=1
	v_cmp_lt_u32_e64 s3, 0x7f800000, v33
	s_delay_alu instid0(VALU_DEP_1) | instskip(SKIP_2) | instid1(SALU_CYCLE_1)
	v_cndmask_b32_e64 v31, 0x7c, v23, s3
	s_or_b32 exec_lo, exec_lo, s10
	s_and_saveexec_b32 s3, vcc_lo
	s_xor_b32 s3, exec_lo, s3
	s_cbranch_execz .LBB394_76
.LBB394_85:                             ;   in Loop: Header=BB394_41 Depth=1
	v_lshrrev_b32_e32 v24, 24, v24
	s_delay_alu instid0(VALU_DEP_1)
	v_and_or_b32 v32, 0x80, v24, v25
	v_add_co_u32 v24, vcc_lo, v3, s8
	v_add_co_ci_u32_e32 v25, vcc_lo, s9, v4, vcc_lo
	global_store_b8 v[24:25], v32, off
	s_or_b32 exec_lo, exec_lo, s3
	s_and_saveexec_b32 s3, s0
	s_cbranch_execz .LBB394_77
.LBB394_86:                             ;   in Loop: Header=BB394_41 Depth=1
	v_lshrrev_b32_e32 v24, 24, v27
	s_delay_alu instid0(VALU_DEP_1)
	v_and_or_b32 v27, 0x80, v24, v28
	v_add_co_u32 v24, vcc_lo, v19, s8
	v_add_co_ci_u32_e32 v25, vcc_lo, s9, v20, vcc_lo
	global_store_b8 v[24:25], v27, off
	s_or_b32 exec_lo, exec_lo, s3
	s_and_saveexec_b32 s0, s1
	s_cbranch_execz .LBB394_78
.LBB394_87:                             ;   in Loop: Header=BB394_41 Depth=1
	v_lshrrev_b32_e32 v24, 24, v29
	s_delay_alu instid0(VALU_DEP_1)
	v_and_or_b32 v27, 0x80, v24, v30
	v_add_co_u32 v24, vcc_lo, v13, s8
	v_add_co_ci_u32_e32 v25, vcc_lo, s9, v14, vcc_lo
	global_store_b8 v[24:25], v27, off
	s_or_b32 exec_lo, exec_lo, s0
	s_and_saveexec_b32 s0, s2
	s_cbranch_execz .LBB394_40
.LBB394_88:                             ;   in Loop: Header=BB394_41 Depth=1
	v_lshrrev_b32_e32 v24, 24, v26
	s_delay_alu instid0(VALU_DEP_1)
	v_and_or_b32 v26, 0x80, v24, v31
	v_add_co_u32 v24, vcc_lo, v7, s8
	v_add_co_ci_u32_e32 v25, vcc_lo, s9, v8, vcc_lo
	global_store_b8 v[24:25], v26, off
	s_branch .LBB394_40
.LBB394_89:
	s_nop 0
	s_sendmsg sendmsg(MSG_DEALLOC_VGPRS)
	s_endpgm
	.section	.rodata,"a",@progbits
	.p2align	6, 0x0
	.amdhsa_kernel _ZN2at6native12_GLOBAL__N_125multi_tensor_apply_kernelINS1_18TensorListMetadataILi2EEENS1_14UnaryOpFunctorIN3c1011Float8_e5m2ELi2ELi1ELi1EEEJNS0_4CopyIS7_S7_EEEEEvT_T0_DpT1_
		.amdhsa_group_segment_fixed_size 0
		.amdhsa_private_segment_fixed_size 0
		.amdhsa_kernarg_size 3408
		.amdhsa_user_sgpr_count 15
		.amdhsa_user_sgpr_dispatch_ptr 0
		.amdhsa_user_sgpr_queue_ptr 0
		.amdhsa_user_sgpr_kernarg_segment_ptr 1
		.amdhsa_user_sgpr_dispatch_id 0
		.amdhsa_user_sgpr_private_segment_size 0
		.amdhsa_wavefront_size32 1
		.amdhsa_uses_dynamic_stack 0
		.amdhsa_enable_private_segment 0
		.amdhsa_system_sgpr_workgroup_id_x 1
		.amdhsa_system_sgpr_workgroup_id_y 0
		.amdhsa_system_sgpr_workgroup_id_z 0
		.amdhsa_system_sgpr_workgroup_info 0
		.amdhsa_system_vgpr_workitem_id 0
		.amdhsa_next_free_vgpr 34
		.amdhsa_next_free_sgpr 20
		.amdhsa_reserve_vcc 1
		.amdhsa_float_round_mode_32 0
		.amdhsa_float_round_mode_16_64 0
		.amdhsa_float_denorm_mode_32 3
		.amdhsa_float_denorm_mode_16_64 3
		.amdhsa_dx10_clamp 1
		.amdhsa_ieee_mode 1
		.amdhsa_fp16_overflow 0
		.amdhsa_workgroup_processor_mode 1
		.amdhsa_memory_ordered 1
		.amdhsa_forward_progress 0
		.amdhsa_shared_vgpr_count 0
		.amdhsa_exception_fp_ieee_invalid_op 0
		.amdhsa_exception_fp_denorm_src 0
		.amdhsa_exception_fp_ieee_div_zero 0
		.amdhsa_exception_fp_ieee_overflow 0
		.amdhsa_exception_fp_ieee_underflow 0
		.amdhsa_exception_fp_ieee_inexact 0
		.amdhsa_exception_int_div_zero 0
	.end_amdhsa_kernel
	.section	.text._ZN2at6native12_GLOBAL__N_125multi_tensor_apply_kernelINS1_18TensorListMetadataILi2EEENS1_14UnaryOpFunctorIN3c1011Float8_e5m2ELi2ELi1ELi1EEEJNS0_4CopyIS7_S7_EEEEEvT_T0_DpT1_,"axG",@progbits,_ZN2at6native12_GLOBAL__N_125multi_tensor_apply_kernelINS1_18TensorListMetadataILi2EEENS1_14UnaryOpFunctorIN3c1011Float8_e5m2ELi2ELi1ELi1EEEJNS0_4CopyIS7_S7_EEEEEvT_T0_DpT1_,comdat
.Lfunc_end394:
	.size	_ZN2at6native12_GLOBAL__N_125multi_tensor_apply_kernelINS1_18TensorListMetadataILi2EEENS1_14UnaryOpFunctorIN3c1011Float8_e5m2ELi2ELi1ELi1EEEJNS0_4CopyIS7_S7_EEEEEvT_T0_DpT1_, .Lfunc_end394-_ZN2at6native12_GLOBAL__N_125multi_tensor_apply_kernelINS1_18TensorListMetadataILi2EEENS1_14UnaryOpFunctorIN3c1011Float8_e5m2ELi2ELi1ELi1EEEJNS0_4CopyIS7_S7_EEEEEvT_T0_DpT1_
                                        ; -- End function
	.section	.AMDGPU.csdata,"",@progbits
; Kernel info:
; codeLenInByte = 3256
; NumSgprs: 22
; NumVgprs: 34
; ScratchSize: 0
; MemoryBound: 0
; FloatMode: 240
; IeeeMode: 1
; LDSByteSize: 0 bytes/workgroup (compile time only)
; SGPRBlocks: 2
; VGPRBlocks: 4
; NumSGPRsForWavesPerEU: 22
; NumVGPRsForWavesPerEU: 34
; Occupancy: 16
; WaveLimiterHint : 0
; COMPUTE_PGM_RSRC2:SCRATCH_EN: 0
; COMPUTE_PGM_RSRC2:USER_SGPR: 15
; COMPUTE_PGM_RSRC2:TRAP_HANDLER: 0
; COMPUTE_PGM_RSRC2:TGID_X_EN: 1
; COMPUTE_PGM_RSRC2:TGID_Y_EN: 0
; COMPUTE_PGM_RSRC2:TGID_Z_EN: 0
; COMPUTE_PGM_RSRC2:TIDIG_COMP_CNT: 0
	.section	.text._ZN2at6native12_GLOBAL__N_125multi_tensor_apply_kernelINS1_18TensorListMetadataILi2EEENS1_11CopyFunctorIN3c1011Float8_e5m2ENS6_15Float8_e5m2fnuzELi2ELi1ELi1EEEJNS0_4CopyIS7_S8_EEEEEvT_T0_DpT1_,"axG",@progbits,_ZN2at6native12_GLOBAL__N_125multi_tensor_apply_kernelINS1_18TensorListMetadataILi2EEENS1_11CopyFunctorIN3c1011Float8_e5m2ENS6_15Float8_e5m2fnuzELi2ELi1ELi1EEEJNS0_4CopyIS7_S8_EEEEEvT_T0_DpT1_,comdat
	.globl	_ZN2at6native12_GLOBAL__N_125multi_tensor_apply_kernelINS1_18TensorListMetadataILi2EEENS1_11CopyFunctorIN3c1011Float8_e5m2ENS6_15Float8_e5m2fnuzELi2ELi1ELi1EEEJNS0_4CopyIS7_S8_EEEEEvT_T0_DpT1_ ; -- Begin function _ZN2at6native12_GLOBAL__N_125multi_tensor_apply_kernelINS1_18TensorListMetadataILi2EEENS1_11CopyFunctorIN3c1011Float8_e5m2ENS6_15Float8_e5m2fnuzELi2ELi1ELi1EEEJNS0_4CopyIS7_S8_EEEEEvT_T0_DpT1_
	.p2align	8
	.type	_ZN2at6native12_GLOBAL__N_125multi_tensor_apply_kernelINS1_18TensorListMetadataILi2EEENS1_11CopyFunctorIN3c1011Float8_e5m2ENS6_15Float8_e5m2fnuzELi2ELi1ELi1EEEJNS0_4CopyIS7_S8_EEEEEvT_T0_DpT1_,@function
_ZN2at6native12_GLOBAL__N_125multi_tensor_apply_kernelINS1_18TensorListMetadataILi2EEENS1_11CopyFunctorIN3c1011Float8_e5m2ENS6_15Float8_e5m2fnuzELi2ELi1ELi1EEEJNS0_4CopyIS7_S8_EEEEEvT_T0_DpT1_: ; @_ZN2at6native12_GLOBAL__N_125multi_tensor_apply_kernelINS1_18TensorListMetadataILi2EEENS1_11CopyFunctorIN3c1011Float8_e5m2ENS6_15Float8_e5m2fnuzELi2ELi1ELi1EEEJNS0_4CopyIS7_S8_EEEEEvT_T0_DpT1_
; %bb.0:
	v_mov_b32_e32 v1, s15
	s_add_u32 s2, s0, s15
	s_mul_i32 s4, s15, 3
	s_addc_u32 s3, s1, 0
	s_mul_hi_u32 s5, s15, 3
	global_load_u8 v1, v1, s[0:1] offset:1536
	s_add_u32 s2, s2, s4
	s_addc_u32 s3, s3, s5
	s_load_b32 s2, s[2:3], 0x740
	s_waitcnt vmcnt(0)
	v_readfirstlane_b32 s4, v1
	s_delay_alu instid0(VALU_DEP_1)
	s_lshl_b32 s3, s4, 3
	s_clause 0x2
	s_load_b64 s[6:7], s[0:1], s3 offset:0x0
	s_load_b64 s[8:9], s[0:1], s3 offset:0x200
	;; [unrolled: 1-line block ×3, first 2 shown]
	s_waitcnt lgkmcnt(0)
	s_ashr_i32 s3, s2, 31
	s_delay_alu instid0(SALU_CYCLE_1) | instskip(NEXT) | instid1(SALU_CYCLE_1)
	s_lshl_b64 s[10:11], s[2:3], 16
	s_add_u32 s3, s6, s10
	s_addc_u32 s14, s7, s11
	s_add_u32 s12, s8, s10
	s_addc_u32 s13, s9, s11
	s_delay_alu instid0(SALU_CYCLE_1) | instskip(NEXT) | instid1(SALU_CYCLE_1)
	s_or_b64 s[16:17], s[4:5], s[12:13]
	s_or_b32 s2, s3, s16
	s_delay_alu instid0(SALU_CYCLE_1)
	s_and_b32 s2, s2, 3
	s_sub_u32 s4, s4, s10
	s_subb_u32 s5, s5, s11
	s_cmp_eq_u32 s2, 0
	s_mov_b32 s2, -1
	s_cbranch_scc0 .LBB395_69
; %bb.1:
	v_dual_mov_b32 v2, 0 :: v_dual_lshlrev_b32 v1, 2, v0
	s_mov_b32 s15, exec_lo
	s_delay_alu instid0(VALU_DEP_1)
	v_cmpx_gt_i64_e64 s[4:5], v[1:2]
	s_cbranch_execz .LBB395_68
; %bb.2:
	s_load_b32 s2, s[0:1], 0xc5c
	v_mov_b32_e32 v3, 0x7f
	s_mov_b32 s17, 0
	s_waitcnt lgkmcnt(0)
	s_and_b32 s2, s2, 0xffff
	s_delay_alu instid0(SALU_CYCLE_1)
	s_lshl_b32 s16, s2, 2
	s_branch .LBB395_4
.LBB395_3:                              ;   in Loop: Header=BB395_4 Depth=1
	s_or_b32 exec_lo, exec_lo, s2
	v_lshrrev_b32_e32 v9, 24, v9
	v_lshrrev_b32_e32 v7, 24, v7
	v_add_co_u32 v12, vcc_lo, s12, v1
	v_add_co_ci_u32_e32 v13, vcc_lo, s13, v2, vcc_lo
	s_delay_alu instid0(VALU_DEP_4) | instskip(NEXT) | instid1(VALU_DEP_4)
	v_and_b32_e32 v9, 0x80, v9
	v_and_b32_e32 v7, 0x80, v7
	v_add_co_u32 v1, vcc_lo, s16, v1
	v_add_co_ci_u32_e32 v2, vcc_lo, 0, v2, vcc_lo
	s_delay_alu instid0(VALU_DEP_4)
	v_and_or_b32 v9, 0xff, v10, v9
	v_lshlrev_b32_e32 v5, 24, v5
	v_and_b32_e32 v11, 0x80000000, v11
	v_lshrrev_b32_e32 v4, 24, v4
	v_and_or_b32 v7, 0xff, v8, v7
	v_lshlrev_b32_e32 v9, 16, v9
	v_and_b32_e32 v6, 0xff, v6
	v_cmp_le_i64_e32 vcc_lo, s[4:5], v[1:2]
	v_cmp_lt_u64_e64 s2, 0xffff, v[1:2]
	v_lshlrev_b32_e32 v7, 8, v7
	v_or3_b32 v5, v11, v5, v9
	v_and_or_b32 v4, 0x80, v4, v6
	s_delay_alu instid0(VALU_DEP_4) | instskip(NEXT) | instid1(VALU_DEP_1)
	s_or_b32 s2, vcc_lo, s2
	v_or3_b32 v4, v5, v7, v4
	s_and_b32 s2, exec_lo, s2
	s_delay_alu instid0(SALU_CYCLE_1)
	s_or_b32 s17, s2, s17
	global_store_b32 v[12:13], v4, off
	s_and_not1_b32 exec_lo, exec_lo, s17
	s_cbranch_execz .LBB395_68
.LBB395_4:                              ; =>This Inner Loop Header: Depth=1
	v_add_co_u32 v4, vcc_lo, s3, v1
	v_add_co_ci_u32_e32 v5, vcc_lo, s14, v2, vcc_lo
	s_mov_b32 s2, 0
	s_mov_b32 s19, exec_lo
                                        ; implicit-def: $sgpr18
	global_load_b32 v5, v[4:5], off
	s_waitcnt vmcnt(0)
	v_and_b32_e32 v6, 0xff, v5
	s_delay_alu instid0(VALU_DEP_1)
	v_cmpx_lt_i16_e32 0x7f, v6
	s_xor_b32 s19, exec_lo, s19
	s_cbranch_execnz .LBB395_52
; %bb.5:                                ;   in Loop: Header=BB395_4 Depth=1
	s_or_saveexec_b32 s19, s19
	v_mov_b32_e32 v4, s18
	s_xor_b32 exec_lo, exec_lo, s19
	s_cbranch_execnz .LBB395_55
.LBB395_6:                              ;   in Loop: Header=BB395_4 Depth=1
	s_or_b32 exec_lo, exec_lo, s19
	s_and_saveexec_b32 s18, s2
	s_cbranch_execz .LBB395_8
.LBB395_7:                              ;   in Loop: Header=BB395_4 Depth=1
	v_and_b32_e32 v4, 3, v5
	v_bfe_u32 v8, v5, 2, 5
	s_delay_alu instid0(VALU_DEP_2) | instskip(NEXT) | instid1(VALU_DEP_2)
	v_clz_i32_u32_e32 v6, v4
	v_cmp_eq_u32_e32 vcc_lo, 0, v8
	s_delay_alu instid0(VALU_DEP_2) | instskip(NEXT) | instid1(VALU_DEP_1)
	v_min_u32_e32 v6, 32, v6
	v_subrev_nc_u32_e32 v7, 29, v6
	v_sub_nc_u32_e32 v6, 30, v6
	s_delay_alu instid0(VALU_DEP_1) | instskip(NEXT) | instid1(VALU_DEP_1)
	v_dual_cndmask_b32 v6, v8, v6 :: v_dual_lshlrev_b32 v7, v7, v5
	v_and_b32_e32 v7, 3, v7
	v_lshlrev_b32_e32 v9, 24, v5
	s_delay_alu instid0(VALU_DEP_3) | instskip(NEXT) | instid1(VALU_DEP_2)
	v_lshl_add_u32 v6, v6, 23, 0x37800000
	v_dual_cndmask_b32 v4, v4, v7 :: v_dual_and_b32 v7, 0x80000000, v9
	s_delay_alu instid0(VALU_DEP_1) | instskip(NEXT) | instid1(VALU_DEP_1)
	v_lshlrev_b32_e32 v4, 21, v4
	v_or3_b32 v4, v7, v6, v4
.LBB395_8:                              ;   in Loop: Header=BB395_4 Depth=1
	s_or_b32 exec_lo, exec_lo, s18
	s_delay_alu instid0(VALU_DEP_1) | instskip(SKIP_1) | instid1(VALU_DEP_1)
	v_and_b32_e32 v7, 0x7fffffff, v4
	s_mov_b32 s2, exec_lo
                                        ; implicit-def: $vgpr6
	v_cmpx_gt_u32_e32 0x47800000, v7
	s_xor_b32 s2, exec_lo, s2
	s_cbranch_execz .LBB395_14
; %bb.9:                                ;   in Loop: Header=BB395_4 Depth=1
	s_mov_b32 s18, exec_lo
                                        ; implicit-def: $vgpr6
	v_cmpx_lt_u32_e32 0x387fffff, v7
	s_xor_b32 s18, exec_lo, s18
; %bb.10:                               ;   in Loop: Header=BB395_4 Depth=1
	v_bfe_u32 v6, v4, 21, 1
	s_delay_alu instid0(VALU_DEP_1) | instskip(NEXT) | instid1(VALU_DEP_1)
	v_add3_u32 v6, v4, v6, 0x80fffff
	v_lshrrev_b32_e32 v6, 21, v6
; %bb.11:                               ;   in Loop: Header=BB395_4 Depth=1
	s_and_not1_saveexec_b32 s18, s18
; %bb.12:                               ;   in Loop: Header=BB395_4 Depth=1
	v_add_f32_e64 v6, 0x43000000, |v4|
; %bb.13:                               ;   in Loop: Header=BB395_4 Depth=1
	s_or_b32 exec_lo, exec_lo, s18
                                        ; implicit-def: $vgpr7
.LBB395_14:                             ;   in Loop: Header=BB395_4 Depth=1
	s_and_not1_saveexec_b32 s2, s2
; %bb.15:                               ;   in Loop: Header=BB395_4 Depth=1
	v_cmp_lt_u32_e32 vcc_lo, 0x7f800000, v7
	v_cndmask_b32_e32 v6, 0x7c, v3, vcc_lo
; %bb.16:                               ;   in Loop: Header=BB395_4 Depth=1
	s_or_b32 exec_lo, exec_lo, s2
	v_lshrrev_b32_e32 v8, 8, v5
	s_mov_b32 s2, 0
	s_mov_b32 s19, exec_lo
                                        ; implicit-def: $sgpr18
	s_delay_alu instid0(VALU_DEP_1) | instskip(NEXT) | instid1(VALU_DEP_1)
	v_and_b32_e32 v9, 0xff, v8
	v_cmpx_lt_i16_e32 0x7f, v9
	s_xor_b32 s19, exec_lo, s19
	s_cbranch_execnz .LBB395_56
; %bb.17:                               ;   in Loop: Header=BB395_4 Depth=1
	s_or_saveexec_b32 s19, s19
	v_mov_b32_e32 v7, s18
	s_xor_b32 exec_lo, exec_lo, s19
	s_cbranch_execnz .LBB395_59
.LBB395_18:                             ;   in Loop: Header=BB395_4 Depth=1
	s_or_b32 exec_lo, exec_lo, s19
	s_and_saveexec_b32 s18, s2
	s_cbranch_execz .LBB395_20
.LBB395_19:                             ;   in Loop: Header=BB395_4 Depth=1
	v_bfe_u32 v7, v5, 8, 2
	v_bfe_u32 v11, v5, 10, 5
	s_delay_alu instid0(VALU_DEP_2) | instskip(NEXT) | instid1(VALU_DEP_2)
	v_clz_i32_u32_e32 v9, v7
	v_cmp_eq_u32_e32 vcc_lo, 0, v11
	s_delay_alu instid0(VALU_DEP_2) | instskip(NEXT) | instid1(VALU_DEP_1)
	v_min_u32_e32 v9, 32, v9
	v_subrev_nc_u32_e32 v10, 29, v9
	v_sub_nc_u32_e32 v9, 30, v9
	s_delay_alu instid0(VALU_DEP_1) | instskip(NEXT) | instid1(VALU_DEP_1)
	v_dual_cndmask_b32 v9, v11, v9 :: v_dual_lshlrev_b32 v10, v10, v8
	v_and_b32_e32 v10, 3, v10
	v_lshlrev_b32_e32 v8, 24, v8
	s_delay_alu instid0(VALU_DEP_3) | instskip(NEXT) | instid1(VALU_DEP_2)
	v_lshl_add_u32 v9, v9, 23, 0x37800000
	v_dual_cndmask_b32 v7, v7, v10 :: v_dual_and_b32 v8, 0x80000000, v8
	s_delay_alu instid0(VALU_DEP_1) | instskip(NEXT) | instid1(VALU_DEP_1)
	v_lshlrev_b32_e32 v7, 21, v7
	v_or3_b32 v7, v8, v9, v7
.LBB395_20:                             ;   in Loop: Header=BB395_4 Depth=1
	s_or_b32 exec_lo, exec_lo, s18
	s_delay_alu instid0(VALU_DEP_1) | instskip(SKIP_1) | instid1(VALU_DEP_1)
	v_and_b32_e32 v9, 0x7fffffff, v7
	s_mov_b32 s2, exec_lo
                                        ; implicit-def: $vgpr8
	v_cmpx_gt_u32_e32 0x47800000, v9
	s_xor_b32 s2, exec_lo, s2
	s_cbranch_execz .LBB395_26
; %bb.21:                               ;   in Loop: Header=BB395_4 Depth=1
	s_mov_b32 s18, exec_lo
                                        ; implicit-def: $vgpr8
	v_cmpx_lt_u32_e32 0x387fffff, v9
	s_xor_b32 s18, exec_lo, s18
; %bb.22:                               ;   in Loop: Header=BB395_4 Depth=1
	v_bfe_u32 v8, v7, 21, 1
	s_delay_alu instid0(VALU_DEP_1) | instskip(NEXT) | instid1(VALU_DEP_1)
	v_add3_u32 v8, v7, v8, 0x80fffff
	v_lshrrev_b32_e32 v8, 21, v8
; %bb.23:                               ;   in Loop: Header=BB395_4 Depth=1
	s_and_not1_saveexec_b32 s18, s18
; %bb.24:                               ;   in Loop: Header=BB395_4 Depth=1
	v_add_f32_e64 v8, 0x43000000, |v7|
; %bb.25:                               ;   in Loop: Header=BB395_4 Depth=1
	s_or_b32 exec_lo, exec_lo, s18
                                        ; implicit-def: $vgpr9
.LBB395_26:                             ;   in Loop: Header=BB395_4 Depth=1
	s_and_not1_saveexec_b32 s2, s2
; %bb.27:                               ;   in Loop: Header=BB395_4 Depth=1
	v_cmp_lt_u32_e32 vcc_lo, 0x7f800000, v9
	v_cndmask_b32_e32 v8, 0x7c, v3, vcc_lo
; %bb.28:                               ;   in Loop: Header=BB395_4 Depth=1
	s_or_b32 exec_lo, exec_lo, s2
	v_lshrrev_b32_e32 v10, 16, v5
	s_mov_b32 s2, 0
	s_mov_b32 s19, exec_lo
                                        ; implicit-def: $sgpr18
	s_delay_alu instid0(VALU_DEP_1) | instskip(NEXT) | instid1(VALU_DEP_1)
	v_and_b32_e32 v11, 0xff, v10
	v_cmpx_lt_i16_e32 0x7f, v11
	s_xor_b32 s19, exec_lo, s19
	s_cbranch_execnz .LBB395_60
; %bb.29:                               ;   in Loop: Header=BB395_4 Depth=1
	s_or_saveexec_b32 s19, s19
	v_mov_b32_e32 v9, s18
	s_xor_b32 exec_lo, exec_lo, s19
	s_cbranch_execnz .LBB395_63
.LBB395_30:                             ;   in Loop: Header=BB395_4 Depth=1
	s_or_b32 exec_lo, exec_lo, s19
	s_and_saveexec_b32 s18, s2
	s_cbranch_execz .LBB395_32
.LBB395_31:                             ;   in Loop: Header=BB395_4 Depth=1
	v_bfe_u32 v9, v5, 16, 2
	v_bfe_u32 v13, v5, 18, 5
	s_delay_alu instid0(VALU_DEP_2) | instskip(NEXT) | instid1(VALU_DEP_2)
	v_clz_i32_u32_e32 v11, v9
	v_cmp_eq_u32_e32 vcc_lo, 0, v13
	s_delay_alu instid0(VALU_DEP_2) | instskip(NEXT) | instid1(VALU_DEP_1)
	v_min_u32_e32 v11, 32, v11
	v_subrev_nc_u32_e32 v12, 29, v11
	v_sub_nc_u32_e32 v11, 30, v11
	s_delay_alu instid0(VALU_DEP_1) | instskip(NEXT) | instid1(VALU_DEP_1)
	v_dual_cndmask_b32 v11, v13, v11 :: v_dual_lshlrev_b32 v12, v12, v10
	v_and_b32_e32 v12, 3, v12
	v_lshlrev_b32_e32 v10, 24, v10
	s_delay_alu instid0(VALU_DEP_3) | instskip(NEXT) | instid1(VALU_DEP_2)
	v_lshl_add_u32 v11, v11, 23, 0x37800000
	v_dual_cndmask_b32 v9, v9, v12 :: v_dual_and_b32 v10, 0x80000000, v10
	s_delay_alu instid0(VALU_DEP_1) | instskip(NEXT) | instid1(VALU_DEP_1)
	v_lshlrev_b32_e32 v9, 21, v9
	v_or3_b32 v9, v10, v11, v9
.LBB395_32:                             ;   in Loop: Header=BB395_4 Depth=1
	s_or_b32 exec_lo, exec_lo, s18
	s_delay_alu instid0(VALU_DEP_1) | instskip(SKIP_1) | instid1(VALU_DEP_1)
	v_and_b32_e32 v11, 0x7fffffff, v9
	s_mov_b32 s2, exec_lo
                                        ; implicit-def: $vgpr10
	v_cmpx_gt_u32_e32 0x47800000, v11
	s_xor_b32 s2, exec_lo, s2
	s_cbranch_execz .LBB395_38
; %bb.33:                               ;   in Loop: Header=BB395_4 Depth=1
	s_mov_b32 s18, exec_lo
                                        ; implicit-def: $vgpr10
	v_cmpx_lt_u32_e32 0x387fffff, v11
	s_xor_b32 s18, exec_lo, s18
; %bb.34:                               ;   in Loop: Header=BB395_4 Depth=1
	v_bfe_u32 v10, v9, 21, 1
	s_delay_alu instid0(VALU_DEP_1) | instskip(NEXT) | instid1(VALU_DEP_1)
	v_add3_u32 v10, v9, v10, 0x80fffff
	v_lshrrev_b32_e32 v10, 21, v10
; %bb.35:                               ;   in Loop: Header=BB395_4 Depth=1
	s_and_not1_saveexec_b32 s18, s18
; %bb.36:                               ;   in Loop: Header=BB395_4 Depth=1
	v_add_f32_e64 v10, 0x43000000, |v9|
; %bb.37:                               ;   in Loop: Header=BB395_4 Depth=1
	s_or_b32 exec_lo, exec_lo, s18
                                        ; implicit-def: $vgpr11
.LBB395_38:                             ;   in Loop: Header=BB395_4 Depth=1
	s_and_not1_saveexec_b32 s2, s2
; %bb.39:                               ;   in Loop: Header=BB395_4 Depth=1
	v_cmp_lt_u32_e32 vcc_lo, 0x7f800000, v11
	v_cndmask_b32_e32 v10, 0x7c, v3, vcc_lo
; %bb.40:                               ;   in Loop: Header=BB395_4 Depth=1
	s_or_b32 exec_lo, exec_lo, s2
	v_lshrrev_b32_e32 v12, 24, v5
	s_mov_b32 s2, 0
	s_mov_b32 s19, exec_lo
                                        ; implicit-def: $sgpr18
	s_delay_alu instid0(VALU_DEP_1)
	v_cmpx_lt_i16_e32 0x7f, v12
	s_xor_b32 s19, exec_lo, s19
	s_cbranch_execnz .LBB395_64
; %bb.41:                               ;   in Loop: Header=BB395_4 Depth=1
	s_or_saveexec_b32 s19, s19
	v_mov_b32_e32 v11, s18
	s_xor_b32 exec_lo, exec_lo, s19
	s_cbranch_execnz .LBB395_67
.LBB395_42:                             ;   in Loop: Header=BB395_4 Depth=1
	s_or_b32 exec_lo, exec_lo, s19
	s_and_saveexec_b32 s18, s2
	s_cbranch_execz .LBB395_44
.LBB395_43:                             ;   in Loop: Header=BB395_4 Depth=1
	v_bfe_u32 v11, v5, 24, 2
	s_delay_alu instid0(VALU_DEP_1) | instskip(NEXT) | instid1(VALU_DEP_1)
	v_clz_i32_u32_e32 v13, v11
	v_min_u32_e32 v13, 32, v13
	s_delay_alu instid0(VALU_DEP_1) | instskip(SKIP_1) | instid1(VALU_DEP_2)
	v_subrev_nc_u32_e32 v14, 29, v13
	v_sub_nc_u32_e32 v13, 30, v13
	v_lshlrev_b32_e32 v12, v14, v12
	v_bfe_u32 v14, v5, 26, 5
	v_and_b32_e32 v5, 0x80000000, v5
	s_delay_alu instid0(VALU_DEP_2) | instskip(NEXT) | instid1(VALU_DEP_4)
	v_cmp_eq_u32_e32 vcc_lo, 0, v14
	v_dual_cndmask_b32 v13, v14, v13 :: v_dual_and_b32 v12, 3, v12
	s_delay_alu instid0(VALU_DEP_1) | instskip(NEXT) | instid1(VALU_DEP_2)
	v_cndmask_b32_e32 v11, v11, v12, vcc_lo
	v_lshl_add_u32 v12, v13, 23, 0x37800000
	s_delay_alu instid0(VALU_DEP_2) | instskip(NEXT) | instid1(VALU_DEP_1)
	v_lshlrev_b32_e32 v11, 21, v11
	v_or3_b32 v11, v5, v12, v11
.LBB395_44:                             ;   in Loop: Header=BB395_4 Depth=1
	s_or_b32 exec_lo, exec_lo, s18
	s_delay_alu instid0(VALU_DEP_1) | instskip(SKIP_1) | instid1(VALU_DEP_1)
	v_and_b32_e32 v12, 0x7fffffff, v11
	s_mov_b32 s2, exec_lo
                                        ; implicit-def: $vgpr5
	v_cmpx_gt_u32_e32 0x47800000, v12
	s_xor_b32 s2, exec_lo, s2
	s_cbranch_execz .LBB395_50
; %bb.45:                               ;   in Loop: Header=BB395_4 Depth=1
	s_mov_b32 s18, exec_lo
                                        ; implicit-def: $vgpr5
	v_cmpx_lt_u32_e32 0x387fffff, v12
	s_xor_b32 s18, exec_lo, s18
; %bb.46:                               ;   in Loop: Header=BB395_4 Depth=1
	v_bfe_u32 v5, v11, 21, 1
	s_delay_alu instid0(VALU_DEP_1) | instskip(NEXT) | instid1(VALU_DEP_1)
	v_add3_u32 v5, v11, v5, 0x80fffff
	v_lshrrev_b32_e32 v5, 21, v5
; %bb.47:                               ;   in Loop: Header=BB395_4 Depth=1
	s_and_not1_saveexec_b32 s18, s18
; %bb.48:                               ;   in Loop: Header=BB395_4 Depth=1
	v_add_f32_e64 v5, 0x43000000, |v11|
; %bb.49:                               ;   in Loop: Header=BB395_4 Depth=1
	s_or_b32 exec_lo, exec_lo, s18
                                        ; implicit-def: $vgpr12
.LBB395_50:                             ;   in Loop: Header=BB395_4 Depth=1
	s_and_not1_saveexec_b32 s2, s2
	s_cbranch_execz .LBB395_3
; %bb.51:                               ;   in Loop: Header=BB395_4 Depth=1
	v_cmp_lt_u32_e32 vcc_lo, 0x7f800000, v12
	v_cndmask_b32_e32 v5, 0x7c, v3, vcc_lo
	s_branch .LBB395_3
.LBB395_52:                             ;   in Loop: Header=BB395_4 Depth=1
	s_mov_b32 s2, -1
	s_mov_b32 s20, exec_lo
                                        ; implicit-def: $sgpr18
	v_cmpx_eq_u16_e32 0x80, v6
; %bb.53:                               ;   in Loop: Header=BB395_4 Depth=1
	s_mov_b32 s18, 0x7f800001
	s_xor_b32 s2, exec_lo, -1
; %bb.54:                               ;   in Loop: Header=BB395_4 Depth=1
	s_or_b32 exec_lo, exec_lo, s20
	s_delay_alu instid0(SALU_CYCLE_1)
	s_and_b32 s2, s2, exec_lo
                                        ; implicit-def: $vgpr6
	s_or_saveexec_b32 s19, s19
	v_mov_b32_e32 v4, s18
	s_xor_b32 exec_lo, exec_lo, s19
	s_cbranch_execz .LBB395_6
.LBB395_55:                             ;   in Loop: Header=BB395_4 Depth=1
	v_cmp_ne_u16_e32 vcc_lo, 0, v6
	v_mov_b32_e32 v4, 0
	s_and_not1_b32 s2, s2, exec_lo
	s_and_b32 s18, vcc_lo, exec_lo
	s_delay_alu instid0(SALU_CYCLE_1)
	s_or_b32 s2, s2, s18
	s_or_b32 exec_lo, exec_lo, s19
	s_and_saveexec_b32 s18, s2
	s_cbranch_execnz .LBB395_7
	s_branch .LBB395_8
.LBB395_56:                             ;   in Loop: Header=BB395_4 Depth=1
	s_mov_b32 s2, -1
	s_mov_b32 s20, exec_lo
                                        ; implicit-def: $sgpr18
	v_cmpx_eq_u16_e32 0x80, v9
; %bb.57:                               ;   in Loop: Header=BB395_4 Depth=1
	s_mov_b32 s18, 0x7f800001
	s_xor_b32 s2, exec_lo, -1
; %bb.58:                               ;   in Loop: Header=BB395_4 Depth=1
	s_or_b32 exec_lo, exec_lo, s20
	s_delay_alu instid0(SALU_CYCLE_1)
	s_and_b32 s2, s2, exec_lo
                                        ; implicit-def: $vgpr9
	s_or_saveexec_b32 s19, s19
	v_mov_b32_e32 v7, s18
	s_xor_b32 exec_lo, exec_lo, s19
	s_cbranch_execz .LBB395_18
.LBB395_59:                             ;   in Loop: Header=BB395_4 Depth=1
	v_cmp_ne_u16_e32 vcc_lo, 0, v9
	v_mov_b32_e32 v7, 0
	s_and_not1_b32 s2, s2, exec_lo
	s_and_b32 s18, vcc_lo, exec_lo
	s_delay_alu instid0(SALU_CYCLE_1)
	s_or_b32 s2, s2, s18
	s_or_b32 exec_lo, exec_lo, s19
	s_and_saveexec_b32 s18, s2
	s_cbranch_execnz .LBB395_19
	s_branch .LBB395_20
.LBB395_60:                             ;   in Loop: Header=BB395_4 Depth=1
	s_mov_b32 s2, -1
	s_mov_b32 s20, exec_lo
                                        ; implicit-def: $sgpr18
	v_cmpx_eq_u16_e32 0x80, v11
; %bb.61:                               ;   in Loop: Header=BB395_4 Depth=1
	s_mov_b32 s18, 0x7f800001
	s_xor_b32 s2, exec_lo, -1
; %bb.62:                               ;   in Loop: Header=BB395_4 Depth=1
	s_or_b32 exec_lo, exec_lo, s20
	s_delay_alu instid0(SALU_CYCLE_1)
	s_and_b32 s2, s2, exec_lo
                                        ; implicit-def: $vgpr11
	s_or_saveexec_b32 s19, s19
	v_mov_b32_e32 v9, s18
	s_xor_b32 exec_lo, exec_lo, s19
	s_cbranch_execz .LBB395_30
.LBB395_63:                             ;   in Loop: Header=BB395_4 Depth=1
	v_cmp_ne_u16_e32 vcc_lo, 0, v11
	v_mov_b32_e32 v9, 0
	s_and_not1_b32 s2, s2, exec_lo
	s_and_b32 s18, vcc_lo, exec_lo
	s_delay_alu instid0(SALU_CYCLE_1)
	s_or_b32 s2, s2, s18
	s_or_b32 exec_lo, exec_lo, s19
	s_and_saveexec_b32 s18, s2
	s_cbranch_execnz .LBB395_31
	s_branch .LBB395_32
.LBB395_64:                             ;   in Loop: Header=BB395_4 Depth=1
	s_mov_b32 s2, -1
	s_mov_b32 s20, exec_lo
                                        ; implicit-def: $sgpr18
	v_cmpx_eq_u16_e32 0x80, v12
; %bb.65:                               ;   in Loop: Header=BB395_4 Depth=1
	s_mov_b32 s18, 0x7f800001
	s_xor_b32 s2, exec_lo, -1
; %bb.66:                               ;   in Loop: Header=BB395_4 Depth=1
	s_or_b32 exec_lo, exec_lo, s20
	s_delay_alu instid0(SALU_CYCLE_1)
	s_and_b32 s2, s2, exec_lo
	s_or_saveexec_b32 s19, s19
	v_mov_b32_e32 v11, s18
	s_xor_b32 exec_lo, exec_lo, s19
	s_cbranch_execz .LBB395_42
.LBB395_67:                             ;   in Loop: Header=BB395_4 Depth=1
	v_cmp_ne_u16_e32 vcc_lo, 0, v12
	v_mov_b32_e32 v11, 0
	s_and_not1_b32 s2, s2, exec_lo
	s_and_b32 s18, vcc_lo, exec_lo
	s_delay_alu instid0(SALU_CYCLE_1)
	s_or_b32 s2, s2, s18
	s_or_b32 exec_lo, exec_lo, s19
	s_and_saveexec_b32 s18, s2
	s_cbranch_execnz .LBB395_43
	s_branch .LBB395_44
.LBB395_68:
	s_or_b32 exec_lo, exec_lo, s15
	s_mov_b32 s2, 0
.LBB395_69:
	s_delay_alu instid0(SALU_CYCLE_1)
	s_and_not1_b32 vcc_lo, exec_lo, s2
	s_cbranch_vccnz .LBB395_153
; %bb.70:
	v_cmp_lt_i64_e64 s2, s[4:5], 1
	s_delay_alu instid0(VALU_DEP_1)
	s_and_b32 vcc_lo, exec_lo, s2
	s_cbranch_vccnz .LBB395_153
; %bb.71:
	s_load_b32 s0, s[0:1], 0xc5c
	v_add_co_u32 v1, s1, s10, v0
	s_delay_alu instid0(VALU_DEP_1) | instskip(SKIP_1) | instid1(VALU_DEP_3)
	v_add_co_ci_u32_e64 v2, null, s11, 0, s1
	v_cmp_gt_u64_e64 s1, 0x10000, s[4:5]
	v_add_co_u32 v9, vcc_lo, s6, v1
	s_delay_alu instid0(VALU_DEP_3)
	v_add_co_ci_u32_e32 v10, vcc_lo, s7, v2, vcc_lo
	v_add_co_u32 v11, vcc_lo, s8, v1
	v_add_co_ci_u32_e32 v12, vcc_lo, s9, v2, vcc_lo
	v_mov_b32_e32 v31, 0x7f
                                        ; implicit-def: $vgpr32
                                        ; implicit-def: $vgpr33
                                        ; implicit-def: $vgpr34
                                        ; implicit-def: $vgpr35
	s_waitcnt lgkmcnt(0)
	s_and_b32 s0, s0, 0xffff
	s_and_b32 s1, s1, exec_lo
	s_mul_i32 s13, s0, 3
	s_cselect_b32 s3, s5, 0
	s_cselect_b32 s2, s4, 0x10000
	s_lshl_b32 s12, s0, 1
	s_lshl_b32 s1, s0, 2
	s_add_u32 s14, s10, s13
	s_addc_u32 s15, s11, 0
	v_add_co_u32 v3, s14, s14, v0
	s_delay_alu instid0(VALU_DEP_1) | instskip(SKIP_1) | instid1(VALU_DEP_2)
	v_add_co_ci_u32_e64 v4, null, s15, 0, s14
	s_add_u32 s10, s10, s12
	v_add_co_u32 v13, vcc_lo, s6, v3
	s_delay_alu instid0(VALU_DEP_2)
	v_add_co_ci_u32_e32 v14, vcc_lo, s7, v4, vcc_lo
	v_add_co_u32 v15, vcc_lo, s8, v3
	s_addc_u32 s11, s11, 0
	v_add_co_u32 v3, s10, s10, v0
	v_add_co_ci_u32_e32 v16, vcc_lo, s9, v4, vcc_lo
	v_add_co_ci_u32_e64 v4, null, s11, 0, s10
	s_delay_alu instid0(VALU_DEP_3) | instskip(SKIP_1) | instid1(VALU_DEP_3)
	v_add_co_u32 v19, vcc_lo, s6, v3
	v_add_co_u32 v17, s10, s13, v0
	v_add_co_ci_u32_e32 v20, vcc_lo, s7, v4, vcc_lo
	v_add_co_u32 v21, vcc_lo, s8, v3
	v_add_co_ci_u32_e32 v22, vcc_lo, s9, v4, vcc_lo
	v_add_co_u32 v1, vcc_lo, v1, s0
	v_add_co_ci_u32_e32 v2, vcc_lo, 0, v2, vcc_lo
	v_add_co_ci_u32_e64 v18, null, 0, 0, s10
	s_delay_alu instid0(VALU_DEP_3) | instskip(NEXT) | instid1(VALU_DEP_3)
	v_add_co_u32 v25, vcc_lo, s6, v1
	v_add_co_ci_u32_e32 v26, vcc_lo, s7, v2, vcc_lo
	v_add_co_u32 v23, s10, s12, v0
	v_add_co_u32 v27, vcc_lo, s8, v1
	v_add_co_u32 v29, s0, v0, s0
	v_add_co_ci_u32_e64 v24, null, 0, 0, s10
	v_add_co_ci_u32_e32 v28, vcc_lo, s9, v2, vcc_lo
	v_add_co_ci_u32_e64 v30, null, 0, 0, s0
	s_mov_b64 s[6:7], 0
	s_branch .LBB395_73
.LBB395_72:                             ;   in Loop: Header=BB395_73 Depth=1
	s_or_b32 exec_lo, exec_lo, s0
	s_add_u32 s6, s6, s1
	s_addc_u32 s7, s7, 0
	s_delay_alu instid0(SALU_CYCLE_1) | instskip(SKIP_1) | instid1(VALU_DEP_1)
	v_cmp_ge_i64_e64 s0, s[6:7], s[4:5]
	v_cmp_lt_u64_e64 s8, 0xffff, s[6:7]
	s_or_b32 s0, s0, s8
	s_delay_alu instid0(SALU_CYCLE_1)
	s_and_b32 vcc_lo, exec_lo, s0
	s_cbranch_vccnz .LBB395_153
.LBB395_73:                             ; =>This Inner Loop Header: Depth=1
	v_add_co_u32 v1, s0, v0, s6
	s_delay_alu instid0(VALU_DEP_1) | instskip(NEXT) | instid1(VALU_DEP_1)
	v_add_co_ci_u32_e64 v2, null, 0, s7, s0
	v_cmp_gt_i64_e32 vcc_lo, s[4:5], v[1:2]
	v_cmp_gt_u64_e64 s0, 0x10000, v[1:2]
	s_delay_alu instid0(VALU_DEP_1) | instskip(NEXT) | instid1(SALU_CYCLE_1)
	s_and_b32 s8, vcc_lo, s0
	s_and_saveexec_b32 s0, s8
	s_cbranch_execz .LBB395_75
; %bb.74:                               ;   in Loop: Header=BB395_73 Depth=1
	v_add_co_u32 v3, vcc_lo, v9, s6
	v_add_co_ci_u32_e32 v4, vcc_lo, s7, v10, vcc_lo
	global_load_u8 v35, v[3:4], off
.LBB395_75:                             ;   in Loop: Header=BB395_73 Depth=1
	s_or_b32 exec_lo, exec_lo, s0
	v_add_co_u32 v3, vcc_lo, v29, s6
	v_add_co_ci_u32_e32 v4, vcc_lo, s7, v30, vcc_lo
	s_delay_alu instid0(VALU_DEP_1) | instskip(SKIP_1) | instid1(VALU_DEP_1)
	v_cmp_gt_i64_e32 vcc_lo, s[4:5], v[3:4]
	v_cmp_gt_u64_e64 s0, 0x10000, v[3:4]
	s_and_b32 s8, vcc_lo, s0
	s_delay_alu instid0(SALU_CYCLE_1)
	s_and_saveexec_b32 s0, s8
	s_cbranch_execz .LBB395_77
; %bb.76:                               ;   in Loop: Header=BB395_73 Depth=1
	v_add_co_u32 v5, vcc_lo, v25, s6
	v_add_co_ci_u32_e32 v6, vcc_lo, s7, v26, vcc_lo
	global_load_u8 v34, v[5:6], off
.LBB395_77:                             ;   in Loop: Header=BB395_73 Depth=1
	s_or_b32 exec_lo, exec_lo, s0
	v_add_co_u32 v5, vcc_lo, v23, s6
	v_add_co_ci_u32_e32 v6, vcc_lo, s7, v24, vcc_lo
	s_delay_alu instid0(VALU_DEP_1) | instskip(SKIP_1) | instid1(VALU_DEP_1)
	v_cmp_gt_i64_e32 vcc_lo, s[4:5], v[5:6]
	v_cmp_gt_u64_e64 s0, 0x10000, v[5:6]
	s_and_b32 s8, vcc_lo, s0
	s_delay_alu instid0(SALU_CYCLE_1)
	;; [unrolled: 15-line block ×3, first 2 shown]
	s_and_saveexec_b32 s0, s8
	s_cbranch_execz .LBB395_81
; %bb.80:                               ;   in Loop: Header=BB395_73 Depth=1
	v_add_co_u32 v36, vcc_lo, v13, s6
	v_add_co_ci_u32_e32 v37, vcc_lo, s7, v14, vcc_lo
	global_load_u8 v32, v[36:37], off
.LBB395_81:                             ;   in Loop: Header=BB395_73 Depth=1
	s_or_b32 exec_lo, exec_lo, s0
	s_waitcnt vmcnt(0)
	v_and_b32_e32 v37, 0xff, v35
	s_mov_b32 s0, 0
	s_mov_b32 s9, exec_lo
                                        ; implicit-def: $sgpr8
	s_delay_alu instid0(VALU_DEP_1)
	v_cmpx_lt_i16_e32 0x7f, v37
	s_xor_b32 s9, exec_lo, s9
	s_cbranch_execnz .LBB395_133
; %bb.82:                               ;   in Loop: Header=BB395_73 Depth=1
	s_or_saveexec_b32 s9, s9
	v_mov_b32_e32 v36, s8
	s_xor_b32 exec_lo, exec_lo, s9
	s_cbranch_execnz .LBB395_136
.LBB395_83:                             ;   in Loop: Header=BB395_73 Depth=1
	s_or_b32 exec_lo, exec_lo, s9
	s_and_saveexec_b32 s8, s0
	s_cbranch_execz .LBB395_85
.LBB395_84:                             ;   in Loop: Header=BB395_73 Depth=1
	v_lshrrev_b16 v39, 2, v35
	v_lshlrev_b32_e32 v40, 24, v35
	s_delay_alu instid0(VALU_DEP_2) | instskip(NEXT) | instid1(VALU_DEP_1)
	v_and_b32_e32 v39, 31, v39
	v_cmp_eq_u32_e32 vcc_lo, 0, v39
	v_and_b32_e32 v36, 3, v35
	s_delay_alu instid0(VALU_DEP_1) | instskip(NEXT) | instid1(VALU_DEP_1)
	v_clz_i32_u32_e32 v37, v36
	v_min_u32_e32 v37, 32, v37
	s_delay_alu instid0(VALU_DEP_1) | instskip(SKIP_1) | instid1(VALU_DEP_1)
	v_subrev_nc_u32_e32 v38, 29, v37
	v_sub_nc_u32_e32 v37, 30, v37
	v_dual_cndmask_b32 v37, v39, v37 :: v_dual_lshlrev_b32 v38, v38, v35
	s_delay_alu instid0(VALU_DEP_1) | instskip(NEXT) | instid1(VALU_DEP_2)
	v_and_b32_e32 v38, 3, v38
	v_lshl_add_u32 v37, v37, 23, 0x37800000
	s_delay_alu instid0(VALU_DEP_2) | instskip(SKIP_1) | instid1(VALU_DEP_2)
	v_cndmask_b32_e32 v36, v36, v38, vcc_lo
	v_and_b32_e32 v38, 0x80000000, v40
	v_lshlrev_b32_e32 v36, 21, v36
	s_delay_alu instid0(VALU_DEP_1)
	v_or3_b32 v36, v38, v37, v36
.LBB395_85:                             ;   in Loop: Header=BB395_73 Depth=1
	s_or_b32 exec_lo, exec_lo, s8
	s_delay_alu instid0(VALU_DEP_1) | instskip(SKIP_1) | instid1(VALU_DEP_1)
	v_and_b32_e32 v38, 0x7fffffff, v36
	s_mov_b32 s0, exec_lo
                                        ; implicit-def: $vgpr37
	v_cmpx_gt_u32_e32 0x47800000, v38
	s_xor_b32 s0, exec_lo, s0
	s_cbranch_execz .LBB395_91
; %bb.86:                               ;   in Loop: Header=BB395_73 Depth=1
	s_mov_b32 s8, exec_lo
                                        ; implicit-def: $vgpr37
	v_cmpx_lt_u32_e32 0x387fffff, v38
	s_xor_b32 s8, exec_lo, s8
; %bb.87:                               ;   in Loop: Header=BB395_73 Depth=1
	v_bfe_u32 v37, v36, 21, 1
	s_delay_alu instid0(VALU_DEP_1) | instskip(NEXT) | instid1(VALU_DEP_1)
	v_add3_u32 v37, v36, v37, 0x80fffff
	v_lshrrev_b32_e32 v37, 21, v37
; %bb.88:                               ;   in Loop: Header=BB395_73 Depth=1
	s_and_not1_saveexec_b32 s8, s8
; %bb.89:                               ;   in Loop: Header=BB395_73 Depth=1
	v_add_f32_e64 v37, 0x43000000, |v36|
; %bb.90:                               ;   in Loop: Header=BB395_73 Depth=1
	s_or_b32 exec_lo, exec_lo, s8
                                        ; implicit-def: $vgpr38
.LBB395_91:                             ;   in Loop: Header=BB395_73 Depth=1
	s_and_not1_saveexec_b32 s0, s0
; %bb.92:                               ;   in Loop: Header=BB395_73 Depth=1
	v_cmp_lt_u32_e32 vcc_lo, 0x7f800000, v38
	v_cndmask_b32_e32 v37, 0x7c, v31, vcc_lo
; %bb.93:                               ;   in Loop: Header=BB395_73 Depth=1
	s_or_b32 exec_lo, exec_lo, s0
	v_and_b32_e32 v39, 0xff, v34
	s_mov_b32 s0, 0
	s_mov_b32 s9, exec_lo
                                        ; implicit-def: $sgpr8
	s_delay_alu instid0(VALU_DEP_1)
	v_cmpx_lt_i16_e32 0x7f, v39
	s_xor_b32 s9, exec_lo, s9
	s_cbranch_execnz .LBB395_137
; %bb.94:                               ;   in Loop: Header=BB395_73 Depth=1
	s_or_saveexec_b32 s9, s9
	v_mov_b32_e32 v38, s8
	s_xor_b32 exec_lo, exec_lo, s9
	s_cbranch_execnz .LBB395_140
.LBB395_95:                             ;   in Loop: Header=BB395_73 Depth=1
	s_or_b32 exec_lo, exec_lo, s9
	s_and_saveexec_b32 s8, s0
	s_cbranch_execz .LBB395_97
.LBB395_96:                             ;   in Loop: Header=BB395_73 Depth=1
	v_lshrrev_b16 v41, 2, v34
	v_lshlrev_b32_e32 v42, 24, v34
	s_delay_alu instid0(VALU_DEP_2) | instskip(NEXT) | instid1(VALU_DEP_1)
	v_and_b32_e32 v41, 31, v41
	v_cmp_eq_u32_e32 vcc_lo, 0, v41
	v_and_b32_e32 v38, 3, v34
	s_delay_alu instid0(VALU_DEP_1) | instskip(NEXT) | instid1(VALU_DEP_1)
	v_clz_i32_u32_e32 v39, v38
	v_min_u32_e32 v39, 32, v39
	s_delay_alu instid0(VALU_DEP_1) | instskip(SKIP_1) | instid1(VALU_DEP_1)
	v_subrev_nc_u32_e32 v40, 29, v39
	v_sub_nc_u32_e32 v39, 30, v39
	v_dual_cndmask_b32 v39, v41, v39 :: v_dual_lshlrev_b32 v40, v40, v34
	s_delay_alu instid0(VALU_DEP_1) | instskip(NEXT) | instid1(VALU_DEP_2)
	v_and_b32_e32 v40, 3, v40
	v_lshl_add_u32 v39, v39, 23, 0x37800000
	s_delay_alu instid0(VALU_DEP_2) | instskip(SKIP_1) | instid1(VALU_DEP_2)
	v_cndmask_b32_e32 v38, v38, v40, vcc_lo
	v_and_b32_e32 v40, 0x80000000, v42
	v_lshlrev_b32_e32 v38, 21, v38
	s_delay_alu instid0(VALU_DEP_1)
	v_or3_b32 v38, v40, v39, v38
.LBB395_97:                             ;   in Loop: Header=BB395_73 Depth=1
	s_or_b32 exec_lo, exec_lo, s8
	s_delay_alu instid0(VALU_DEP_1) | instskip(SKIP_1) | instid1(VALU_DEP_1)
	v_and_b32_e32 v40, 0x7fffffff, v38
	s_mov_b32 s0, exec_lo
                                        ; implicit-def: $vgpr39
	v_cmpx_gt_u32_e32 0x47800000, v40
	s_xor_b32 s0, exec_lo, s0
	s_cbranch_execz .LBB395_103
; %bb.98:                               ;   in Loop: Header=BB395_73 Depth=1
	s_mov_b32 s8, exec_lo
                                        ; implicit-def: $vgpr39
	v_cmpx_lt_u32_e32 0x387fffff, v40
	s_xor_b32 s8, exec_lo, s8
; %bb.99:                               ;   in Loop: Header=BB395_73 Depth=1
	v_bfe_u32 v39, v38, 21, 1
	s_delay_alu instid0(VALU_DEP_1) | instskip(NEXT) | instid1(VALU_DEP_1)
	v_add3_u32 v39, v38, v39, 0x80fffff
	v_lshrrev_b32_e32 v39, 21, v39
; %bb.100:                              ;   in Loop: Header=BB395_73 Depth=1
	s_and_not1_saveexec_b32 s8, s8
; %bb.101:                              ;   in Loop: Header=BB395_73 Depth=1
	v_add_f32_e64 v39, 0x43000000, |v38|
; %bb.102:                              ;   in Loop: Header=BB395_73 Depth=1
	s_or_b32 exec_lo, exec_lo, s8
                                        ; implicit-def: $vgpr40
.LBB395_103:                            ;   in Loop: Header=BB395_73 Depth=1
	s_and_not1_saveexec_b32 s0, s0
; %bb.104:                              ;   in Loop: Header=BB395_73 Depth=1
	v_cmp_lt_u32_e32 vcc_lo, 0x7f800000, v40
	v_cndmask_b32_e32 v39, 0x7c, v31, vcc_lo
; %bb.105:                              ;   in Loop: Header=BB395_73 Depth=1
	s_or_b32 exec_lo, exec_lo, s0
	v_and_b32_e32 v41, 0xff, v33
	s_mov_b32 s0, 0
	s_mov_b32 s9, exec_lo
                                        ; implicit-def: $sgpr8
	s_delay_alu instid0(VALU_DEP_1)
	v_cmpx_lt_i16_e32 0x7f, v41
	s_xor_b32 s9, exec_lo, s9
	s_cbranch_execnz .LBB395_141
; %bb.106:                              ;   in Loop: Header=BB395_73 Depth=1
	s_or_saveexec_b32 s9, s9
	v_mov_b32_e32 v40, s8
	s_xor_b32 exec_lo, exec_lo, s9
	s_cbranch_execnz .LBB395_144
.LBB395_107:                            ;   in Loop: Header=BB395_73 Depth=1
	s_or_b32 exec_lo, exec_lo, s9
	s_and_saveexec_b32 s8, s0
	s_cbranch_execz .LBB395_109
.LBB395_108:                            ;   in Loop: Header=BB395_73 Depth=1
	v_and_b32_e32 v40, 3, v33
	v_lshrrev_b16 v43, 2, v33
	v_lshlrev_b32_e32 v44, 24, v33
	s_delay_alu instid0(VALU_DEP_3) | instskip(NEXT) | instid1(VALU_DEP_1)
	v_clz_i32_u32_e32 v41, v40
	v_min_u32_e32 v41, 32, v41
	s_delay_alu instid0(VALU_DEP_1) | instskip(SKIP_1) | instid1(VALU_DEP_2)
	v_subrev_nc_u32_e32 v42, 29, v41
	v_sub_nc_u32_e32 v41, 30, v41
	v_lshlrev_b32_e32 v42, v42, v33
	s_delay_alu instid0(VALU_DEP_1) | instskip(SKIP_1) | instid1(VALU_DEP_1)
	v_and_b32_e32 v42, 3, v42
	v_and_b32_e32 v43, 31, v43
	v_cmp_eq_u32_e32 vcc_lo, 0, v43
	s_delay_alu instid0(VALU_DEP_3) | instskip(SKIP_1) | instid1(VALU_DEP_2)
	v_dual_cndmask_b32 v40, v40, v42 :: v_dual_cndmask_b32 v41, v43, v41
	v_and_b32_e32 v42, 0x80000000, v44
	v_lshlrev_b32_e32 v40, 21, v40
	s_delay_alu instid0(VALU_DEP_3) | instskip(NEXT) | instid1(VALU_DEP_1)
	v_lshl_add_u32 v41, v41, 23, 0x37800000
	v_or3_b32 v40, v42, v41, v40
.LBB395_109:                            ;   in Loop: Header=BB395_73 Depth=1
	s_or_b32 exec_lo, exec_lo, s8
	s_delay_alu instid0(VALU_DEP_1) | instskip(SKIP_1) | instid1(VALU_DEP_1)
	v_and_b32_e32 v42, 0x7fffffff, v40
	s_mov_b32 s0, exec_lo
                                        ; implicit-def: $vgpr41
	v_cmpx_gt_u32_e32 0x47800000, v42
	s_xor_b32 s0, exec_lo, s0
	s_cbranch_execz .LBB395_115
; %bb.110:                              ;   in Loop: Header=BB395_73 Depth=1
	s_mov_b32 s8, exec_lo
                                        ; implicit-def: $vgpr41
	v_cmpx_lt_u32_e32 0x387fffff, v42
	s_xor_b32 s8, exec_lo, s8
; %bb.111:                              ;   in Loop: Header=BB395_73 Depth=1
	v_bfe_u32 v41, v40, 21, 1
	s_delay_alu instid0(VALU_DEP_1) | instskip(NEXT) | instid1(VALU_DEP_1)
	v_add3_u32 v41, v40, v41, 0x80fffff
	v_lshrrev_b32_e32 v41, 21, v41
; %bb.112:                              ;   in Loop: Header=BB395_73 Depth=1
	s_and_not1_saveexec_b32 s8, s8
; %bb.113:                              ;   in Loop: Header=BB395_73 Depth=1
	v_add_f32_e64 v41, 0x43000000, |v40|
; %bb.114:                              ;   in Loop: Header=BB395_73 Depth=1
	s_or_b32 exec_lo, exec_lo, s8
                                        ; implicit-def: $vgpr42
.LBB395_115:                            ;   in Loop: Header=BB395_73 Depth=1
	s_and_not1_saveexec_b32 s0, s0
; %bb.116:                              ;   in Loop: Header=BB395_73 Depth=1
	v_cmp_lt_u32_e32 vcc_lo, 0x7f800000, v42
	v_cndmask_b32_e32 v41, 0x7c, v31, vcc_lo
; %bb.117:                              ;   in Loop: Header=BB395_73 Depth=1
	s_or_b32 exec_lo, exec_lo, s0
	v_and_b32_e32 v43, 0xff, v32
	s_mov_b32 s0, 0
	s_mov_b32 s9, exec_lo
                                        ; implicit-def: $sgpr8
	s_delay_alu instid0(VALU_DEP_1)
	v_cmpx_lt_i16_e32 0x7f, v43
	s_xor_b32 s9, exec_lo, s9
	s_cbranch_execnz .LBB395_145
; %bb.118:                              ;   in Loop: Header=BB395_73 Depth=1
	s_or_saveexec_b32 s9, s9
	v_mov_b32_e32 v42, s8
	s_xor_b32 exec_lo, exec_lo, s9
	s_cbranch_execnz .LBB395_148
.LBB395_119:                            ;   in Loop: Header=BB395_73 Depth=1
	s_or_b32 exec_lo, exec_lo, s9
	s_and_saveexec_b32 s8, s0
	s_cbranch_execz .LBB395_121
.LBB395_120:                            ;   in Loop: Header=BB395_73 Depth=1
	v_lshrrev_b16 v45, 2, v32
	v_lshlrev_b32_e32 v46, 24, v32
	s_delay_alu instid0(VALU_DEP_2) | instskip(NEXT) | instid1(VALU_DEP_1)
	v_and_b32_e32 v45, 31, v45
	v_cmp_eq_u32_e32 vcc_lo, 0, v45
	v_and_b32_e32 v42, 3, v32
	s_delay_alu instid0(VALU_DEP_1) | instskip(NEXT) | instid1(VALU_DEP_1)
	v_clz_i32_u32_e32 v43, v42
	v_min_u32_e32 v43, 32, v43
	s_delay_alu instid0(VALU_DEP_1) | instskip(SKIP_1) | instid1(VALU_DEP_1)
	v_subrev_nc_u32_e32 v44, 29, v43
	v_sub_nc_u32_e32 v43, 30, v43
	v_dual_cndmask_b32 v43, v45, v43 :: v_dual_lshlrev_b32 v44, v44, v32
	s_delay_alu instid0(VALU_DEP_1) | instskip(NEXT) | instid1(VALU_DEP_2)
	v_and_b32_e32 v44, 3, v44
	v_lshl_add_u32 v43, v43, 23, 0x37800000
	s_delay_alu instid0(VALU_DEP_2) | instskip(SKIP_1) | instid1(VALU_DEP_2)
	v_cndmask_b32_e32 v42, v42, v44, vcc_lo
	v_and_b32_e32 v44, 0x80000000, v46
	v_lshlrev_b32_e32 v42, 21, v42
	s_delay_alu instid0(VALU_DEP_1)
	v_or3_b32 v42, v44, v43, v42
.LBB395_121:                            ;   in Loop: Header=BB395_73 Depth=1
	s_or_b32 exec_lo, exec_lo, s8
	s_delay_alu instid0(VALU_DEP_1) | instskip(SKIP_1) | instid1(VALU_DEP_1)
	v_and_b32_e32 v44, 0x7fffffff, v42
	s_mov_b32 s0, exec_lo
                                        ; implicit-def: $vgpr43
	v_cmpx_gt_u32_e32 0x47800000, v44
	s_xor_b32 s0, exec_lo, s0
	s_cbranch_execz .LBB395_127
; %bb.122:                              ;   in Loop: Header=BB395_73 Depth=1
	s_mov_b32 s8, exec_lo
                                        ; implicit-def: $vgpr43
	v_cmpx_lt_u32_e32 0x387fffff, v44
	s_xor_b32 s8, exec_lo, s8
; %bb.123:                              ;   in Loop: Header=BB395_73 Depth=1
	v_bfe_u32 v43, v42, 21, 1
	s_delay_alu instid0(VALU_DEP_1) | instskip(NEXT) | instid1(VALU_DEP_1)
	v_add3_u32 v43, v42, v43, 0x80fffff
	v_lshrrev_b32_e32 v43, 21, v43
; %bb.124:                              ;   in Loop: Header=BB395_73 Depth=1
	s_and_not1_saveexec_b32 s8, s8
; %bb.125:                              ;   in Loop: Header=BB395_73 Depth=1
	v_add_f32_e64 v43, 0x43000000, |v42|
; %bb.126:                              ;   in Loop: Header=BB395_73 Depth=1
	s_or_b32 exec_lo, exec_lo, s8
                                        ; implicit-def: $vgpr44
.LBB395_127:                            ;   in Loop: Header=BB395_73 Depth=1
	s_and_not1_saveexec_b32 s0, s0
; %bb.128:                              ;   in Loop: Header=BB395_73 Depth=1
	v_cmp_lt_u32_e32 vcc_lo, 0x7f800000, v44
	v_cndmask_b32_e32 v43, 0x7c, v31, vcc_lo
; %bb.129:                              ;   in Loop: Header=BB395_73 Depth=1
	s_or_b32 exec_lo, exec_lo, s0
	s_delay_alu instid0(SALU_CYCLE_1)
	s_mov_b32 s0, exec_lo
	v_cmpx_gt_u64_e64 s[2:3], v[1:2]
	s_xor_b32 s0, exec_lo, s0
	s_cbranch_execnz .LBB395_149
; %bb.130:                              ;   in Loop: Header=BB395_73 Depth=1
	s_or_b32 exec_lo, exec_lo, s0
	s_delay_alu instid0(SALU_CYCLE_1)
	s_mov_b32 s0, exec_lo
	v_cmpx_gt_u64_e64 s[2:3], v[3:4]
	s_cbranch_execnz .LBB395_150
.LBB395_131:                            ;   in Loop: Header=BB395_73 Depth=1
	s_or_b32 exec_lo, exec_lo, s0
	s_delay_alu instid0(SALU_CYCLE_1)
	s_mov_b32 s0, exec_lo
	v_cmpx_gt_u64_e64 s[2:3], v[5:6]
	s_cbranch_execnz .LBB395_151
.LBB395_132:                            ;   in Loop: Header=BB395_73 Depth=1
	s_or_b32 exec_lo, exec_lo, s0
	s_delay_alu instid0(SALU_CYCLE_1)
	s_mov_b32 s0, exec_lo
	v_cmpx_gt_u64_e64 s[2:3], v[7:8]
	s_cbranch_execz .LBB395_72
	s_branch .LBB395_152
.LBB395_133:                            ;   in Loop: Header=BB395_73 Depth=1
	s_mov_b32 s0, -1
	s_mov_b32 s10, exec_lo
                                        ; implicit-def: $sgpr8
	v_cmpx_eq_u16_e32 0x80, v37
; %bb.134:                              ;   in Loop: Header=BB395_73 Depth=1
	s_mov_b32 s8, 0x7f800001
	s_xor_b32 s0, exec_lo, -1
; %bb.135:                              ;   in Loop: Header=BB395_73 Depth=1
	s_or_b32 exec_lo, exec_lo, s10
	s_delay_alu instid0(SALU_CYCLE_1)
	s_and_b32 s0, s0, exec_lo
                                        ; implicit-def: $vgpr37
	s_or_saveexec_b32 s9, s9
	v_mov_b32_e32 v36, s8
	s_xor_b32 exec_lo, exec_lo, s9
	s_cbranch_execz .LBB395_83
.LBB395_136:                            ;   in Loop: Header=BB395_73 Depth=1
	v_cmp_ne_u16_e32 vcc_lo, 0, v37
	v_mov_b32_e32 v36, 0
	s_and_not1_b32 s0, s0, exec_lo
	s_and_b32 s8, vcc_lo, exec_lo
	s_delay_alu instid0(SALU_CYCLE_1)
	s_or_b32 s0, s0, s8
	s_or_b32 exec_lo, exec_lo, s9
	s_and_saveexec_b32 s8, s0
	s_cbranch_execnz .LBB395_84
	s_branch .LBB395_85
.LBB395_137:                            ;   in Loop: Header=BB395_73 Depth=1
	s_mov_b32 s0, -1
	s_mov_b32 s10, exec_lo
                                        ; implicit-def: $sgpr8
	v_cmpx_eq_u16_e32 0x80, v39
; %bb.138:                              ;   in Loop: Header=BB395_73 Depth=1
	s_mov_b32 s8, 0x7f800001
	s_xor_b32 s0, exec_lo, -1
; %bb.139:                              ;   in Loop: Header=BB395_73 Depth=1
	s_or_b32 exec_lo, exec_lo, s10
	s_delay_alu instid0(SALU_CYCLE_1)
	s_and_b32 s0, s0, exec_lo
                                        ; implicit-def: $vgpr39
	s_or_saveexec_b32 s9, s9
	v_mov_b32_e32 v38, s8
	s_xor_b32 exec_lo, exec_lo, s9
	s_cbranch_execz .LBB395_95
.LBB395_140:                            ;   in Loop: Header=BB395_73 Depth=1
	v_cmp_ne_u16_e32 vcc_lo, 0, v39
	v_mov_b32_e32 v38, 0
	s_and_not1_b32 s0, s0, exec_lo
	s_and_b32 s8, vcc_lo, exec_lo
	s_delay_alu instid0(SALU_CYCLE_1)
	s_or_b32 s0, s0, s8
	s_or_b32 exec_lo, exec_lo, s9
	s_and_saveexec_b32 s8, s0
	s_cbranch_execnz .LBB395_96
	s_branch .LBB395_97
.LBB395_141:                            ;   in Loop: Header=BB395_73 Depth=1
	s_mov_b32 s0, -1
	s_mov_b32 s10, exec_lo
                                        ; implicit-def: $sgpr8
	v_cmpx_eq_u16_e32 0x80, v41
; %bb.142:                              ;   in Loop: Header=BB395_73 Depth=1
	s_mov_b32 s8, 0x7f800001
	s_xor_b32 s0, exec_lo, -1
; %bb.143:                              ;   in Loop: Header=BB395_73 Depth=1
	s_or_b32 exec_lo, exec_lo, s10
	s_delay_alu instid0(SALU_CYCLE_1)
	s_and_b32 s0, s0, exec_lo
                                        ; implicit-def: $vgpr41
	s_or_saveexec_b32 s9, s9
	v_mov_b32_e32 v40, s8
	s_xor_b32 exec_lo, exec_lo, s9
	s_cbranch_execz .LBB395_107
.LBB395_144:                            ;   in Loop: Header=BB395_73 Depth=1
	v_cmp_ne_u16_e32 vcc_lo, 0, v41
	v_mov_b32_e32 v40, 0
	s_and_not1_b32 s0, s0, exec_lo
	s_and_b32 s8, vcc_lo, exec_lo
	s_delay_alu instid0(SALU_CYCLE_1)
	s_or_b32 s0, s0, s8
	s_or_b32 exec_lo, exec_lo, s9
	s_and_saveexec_b32 s8, s0
	s_cbranch_execnz .LBB395_108
	s_branch .LBB395_109
.LBB395_145:                            ;   in Loop: Header=BB395_73 Depth=1
	s_mov_b32 s0, -1
	s_mov_b32 s10, exec_lo
                                        ; implicit-def: $sgpr8
	v_cmpx_eq_u16_e32 0x80, v43
; %bb.146:                              ;   in Loop: Header=BB395_73 Depth=1
	s_mov_b32 s8, 0x7f800001
	s_xor_b32 s0, exec_lo, -1
; %bb.147:                              ;   in Loop: Header=BB395_73 Depth=1
	s_or_b32 exec_lo, exec_lo, s10
	s_delay_alu instid0(SALU_CYCLE_1)
	s_and_b32 s0, s0, exec_lo
                                        ; implicit-def: $vgpr43
	s_or_saveexec_b32 s9, s9
	v_mov_b32_e32 v42, s8
	s_xor_b32 exec_lo, exec_lo, s9
	s_cbranch_execz .LBB395_119
.LBB395_148:                            ;   in Loop: Header=BB395_73 Depth=1
	v_cmp_ne_u16_e32 vcc_lo, 0, v43
	v_mov_b32_e32 v42, 0
	s_and_not1_b32 s0, s0, exec_lo
	s_and_b32 s8, vcc_lo, exec_lo
	s_delay_alu instid0(SALU_CYCLE_1)
	s_or_b32 s0, s0, s8
	s_or_b32 exec_lo, exec_lo, s9
	s_and_saveexec_b32 s8, s0
	s_cbranch_execnz .LBB395_120
	s_branch .LBB395_121
.LBB395_149:                            ;   in Loop: Header=BB395_73 Depth=1
	v_lshrrev_b32_e32 v1, 24, v36
	s_delay_alu instid0(VALU_DEP_1) | instskip(SKIP_4) | instid1(SALU_CYCLE_1)
	v_and_or_b32 v36, 0x80, v1, v37
	v_add_co_u32 v1, vcc_lo, v11, s6
	v_add_co_ci_u32_e32 v2, vcc_lo, s7, v12, vcc_lo
	global_store_b8 v[1:2], v36, off
	s_or_b32 exec_lo, exec_lo, s0
	s_mov_b32 s0, exec_lo
	v_cmpx_gt_u64_e64 s[2:3], v[3:4]
	s_cbranch_execz .LBB395_131
.LBB395_150:                            ;   in Loop: Header=BB395_73 Depth=1
	v_lshrrev_b32_e32 v1, 24, v38
	s_delay_alu instid0(VALU_DEP_1) | instskip(SKIP_4) | instid1(SALU_CYCLE_1)
	v_and_or_b32 v3, 0x80, v1, v39
	v_add_co_u32 v1, vcc_lo, v27, s6
	v_add_co_ci_u32_e32 v2, vcc_lo, s7, v28, vcc_lo
	global_store_b8 v[1:2], v3, off
	s_or_b32 exec_lo, exec_lo, s0
	s_mov_b32 s0, exec_lo
	v_cmpx_gt_u64_e64 s[2:3], v[5:6]
	s_cbranch_execz .LBB395_132
.LBB395_151:                            ;   in Loop: Header=BB395_73 Depth=1
	v_lshrrev_b32_e32 v1, 24, v40
	s_delay_alu instid0(VALU_DEP_1) | instskip(SKIP_4) | instid1(SALU_CYCLE_1)
	v_and_or_b32 v3, 0x80, v1, v41
	v_add_co_u32 v1, vcc_lo, v21, s6
	v_add_co_ci_u32_e32 v2, vcc_lo, s7, v22, vcc_lo
	global_store_b8 v[1:2], v3, off
	s_or_b32 exec_lo, exec_lo, s0
	s_mov_b32 s0, exec_lo
	v_cmpx_gt_u64_e64 s[2:3], v[7:8]
	s_cbranch_execz .LBB395_72
.LBB395_152:                            ;   in Loop: Header=BB395_73 Depth=1
	v_lshrrev_b32_e32 v1, 24, v42
	s_delay_alu instid0(VALU_DEP_1)
	v_and_or_b32 v3, 0x80, v1, v43
	v_add_co_u32 v1, vcc_lo, v15, s6
	v_add_co_ci_u32_e32 v2, vcc_lo, s7, v16, vcc_lo
	global_store_b8 v[1:2], v3, off
	s_branch .LBB395_72
.LBB395_153:
	s_nop 0
	s_sendmsg sendmsg(MSG_DEALLOC_VGPRS)
	s_endpgm
	.section	.rodata,"a",@progbits
	.p2align	6, 0x0
	.amdhsa_kernel _ZN2at6native12_GLOBAL__N_125multi_tensor_apply_kernelINS1_18TensorListMetadataILi2EEENS1_11CopyFunctorIN3c1011Float8_e5m2ENS6_15Float8_e5m2fnuzELi2ELi1ELi1EEEJNS0_4CopyIS7_S8_EEEEEvT_T0_DpT1_
		.amdhsa_group_segment_fixed_size 0
		.amdhsa_private_segment_fixed_size 0
		.amdhsa_kernarg_size 3408
		.amdhsa_user_sgpr_count 15
		.amdhsa_user_sgpr_dispatch_ptr 0
		.amdhsa_user_sgpr_queue_ptr 0
		.amdhsa_user_sgpr_kernarg_segment_ptr 1
		.amdhsa_user_sgpr_dispatch_id 0
		.amdhsa_user_sgpr_private_segment_size 0
		.amdhsa_wavefront_size32 1
		.amdhsa_uses_dynamic_stack 0
		.amdhsa_enable_private_segment 0
		.amdhsa_system_sgpr_workgroup_id_x 1
		.amdhsa_system_sgpr_workgroup_id_y 0
		.amdhsa_system_sgpr_workgroup_id_z 0
		.amdhsa_system_sgpr_workgroup_info 0
		.amdhsa_system_vgpr_workitem_id 0
		.amdhsa_next_free_vgpr 47
		.amdhsa_next_free_sgpr 21
		.amdhsa_reserve_vcc 1
		.amdhsa_float_round_mode_32 0
		.amdhsa_float_round_mode_16_64 0
		.amdhsa_float_denorm_mode_32 3
		.amdhsa_float_denorm_mode_16_64 3
		.amdhsa_dx10_clamp 1
		.amdhsa_ieee_mode 1
		.amdhsa_fp16_overflow 0
		.amdhsa_workgroup_processor_mode 1
		.amdhsa_memory_ordered 1
		.amdhsa_forward_progress 0
		.amdhsa_shared_vgpr_count 0
		.amdhsa_exception_fp_ieee_invalid_op 0
		.amdhsa_exception_fp_denorm_src 0
		.amdhsa_exception_fp_ieee_div_zero 0
		.amdhsa_exception_fp_ieee_overflow 0
		.amdhsa_exception_fp_ieee_underflow 0
		.amdhsa_exception_fp_ieee_inexact 0
		.amdhsa_exception_int_div_zero 0
	.end_amdhsa_kernel
	.section	.text._ZN2at6native12_GLOBAL__N_125multi_tensor_apply_kernelINS1_18TensorListMetadataILi2EEENS1_11CopyFunctorIN3c1011Float8_e5m2ENS6_15Float8_e5m2fnuzELi2ELi1ELi1EEEJNS0_4CopyIS7_S8_EEEEEvT_T0_DpT1_,"axG",@progbits,_ZN2at6native12_GLOBAL__N_125multi_tensor_apply_kernelINS1_18TensorListMetadataILi2EEENS1_11CopyFunctorIN3c1011Float8_e5m2ENS6_15Float8_e5m2fnuzELi2ELi1ELi1EEEJNS0_4CopyIS7_S8_EEEEEvT_T0_DpT1_,comdat
.Lfunc_end395:
	.size	_ZN2at6native12_GLOBAL__N_125multi_tensor_apply_kernelINS1_18TensorListMetadataILi2EEENS1_11CopyFunctorIN3c1011Float8_e5m2ENS6_15Float8_e5m2fnuzELi2ELi1ELi1EEEJNS0_4CopyIS7_S8_EEEEEvT_T0_DpT1_, .Lfunc_end395-_ZN2at6native12_GLOBAL__N_125multi_tensor_apply_kernelINS1_18TensorListMetadataILi2EEENS1_11CopyFunctorIN3c1011Float8_e5m2ENS6_15Float8_e5m2fnuzELi2ELi1ELi1EEEJNS0_4CopyIS7_S8_EEEEEvT_T0_DpT1_
                                        ; -- End function
	.section	.AMDGPU.csdata,"",@progbits
; Kernel info:
; codeLenInByte = 4644
; NumSgprs: 23
; NumVgprs: 47
; ScratchSize: 0
; MemoryBound: 0
; FloatMode: 240
; IeeeMode: 1
; LDSByteSize: 0 bytes/workgroup (compile time only)
; SGPRBlocks: 2
; VGPRBlocks: 5
; NumSGPRsForWavesPerEU: 23
; NumVGPRsForWavesPerEU: 47
; Occupancy: 16
; WaveLimiterHint : 0
; COMPUTE_PGM_RSRC2:SCRATCH_EN: 0
; COMPUTE_PGM_RSRC2:USER_SGPR: 15
; COMPUTE_PGM_RSRC2:TRAP_HANDLER: 0
; COMPUTE_PGM_RSRC2:TGID_X_EN: 1
; COMPUTE_PGM_RSRC2:TGID_Y_EN: 0
; COMPUTE_PGM_RSRC2:TGID_Z_EN: 0
; COMPUTE_PGM_RSRC2:TIDIG_COMP_CNT: 0
	.section	.text._ZN2at6native12_GLOBAL__N_125multi_tensor_apply_kernelINS1_18TensorListMetadataILi2EEENS1_11CopyFunctorIN3c1015Float8_e5m2fnuzEhLi2ELi1ELi1EEEJNS0_4CopyIS7_hEEEEEvT_T0_DpT1_,"axG",@progbits,_ZN2at6native12_GLOBAL__N_125multi_tensor_apply_kernelINS1_18TensorListMetadataILi2EEENS1_11CopyFunctorIN3c1015Float8_e5m2fnuzEhLi2ELi1ELi1EEEJNS0_4CopyIS7_hEEEEEvT_T0_DpT1_,comdat
	.globl	_ZN2at6native12_GLOBAL__N_125multi_tensor_apply_kernelINS1_18TensorListMetadataILi2EEENS1_11CopyFunctorIN3c1015Float8_e5m2fnuzEhLi2ELi1ELi1EEEJNS0_4CopyIS7_hEEEEEvT_T0_DpT1_ ; -- Begin function _ZN2at6native12_GLOBAL__N_125multi_tensor_apply_kernelINS1_18TensorListMetadataILi2EEENS1_11CopyFunctorIN3c1015Float8_e5m2fnuzEhLi2ELi1ELi1EEEJNS0_4CopyIS7_hEEEEEvT_T0_DpT1_
	.p2align	8
	.type	_ZN2at6native12_GLOBAL__N_125multi_tensor_apply_kernelINS1_18TensorListMetadataILi2EEENS1_11CopyFunctorIN3c1015Float8_e5m2fnuzEhLi2ELi1ELi1EEEJNS0_4CopyIS7_hEEEEEvT_T0_DpT1_,@function
_ZN2at6native12_GLOBAL__N_125multi_tensor_apply_kernelINS1_18TensorListMetadataILi2EEENS1_11CopyFunctorIN3c1015Float8_e5m2fnuzEhLi2ELi1ELi1EEEJNS0_4CopyIS7_hEEEEEvT_T0_DpT1_: ; @_ZN2at6native12_GLOBAL__N_125multi_tensor_apply_kernelINS1_18TensorListMetadataILi2EEENS1_11CopyFunctorIN3c1015Float8_e5m2fnuzEhLi2ELi1ELi1EEEJNS0_4CopyIS7_hEEEEEvT_T0_DpT1_
; %bb.0:
	v_mov_b32_e32 v1, s15
	s_add_u32 s2, s0, s15
	s_mul_i32 s4, s15, 3
	s_addc_u32 s3, s1, 0
	s_mul_hi_u32 s5, s15, 3
	global_load_u8 v1, v1, s[0:1] offset:1536
	s_add_u32 s2, s2, s4
	s_addc_u32 s3, s3, s5
	s_load_b32 s2, s[2:3], 0x740
	s_waitcnt vmcnt(0)
	v_readfirstlane_b32 s4, v1
	s_delay_alu instid0(VALU_DEP_1)
	s_lshl_b32 s3, s4, 3
	s_clause 0x2
	s_load_b64 s[6:7], s[0:1], s3 offset:0x0
	s_load_b64 s[8:9], s[0:1], s3 offset:0x200
	;; [unrolled: 1-line block ×3, first 2 shown]
	s_waitcnt lgkmcnt(0)
	s_ashr_i32 s3, s2, 31
	s_delay_alu instid0(SALU_CYCLE_1) | instskip(NEXT) | instid1(SALU_CYCLE_1)
	s_lshl_b64 s[10:11], s[2:3], 16
	s_add_u32 s3, s6, s10
	s_addc_u32 s14, s7, s11
	s_add_u32 s12, s8, s10
	s_addc_u32 s13, s9, s11
	s_delay_alu instid0(SALU_CYCLE_1) | instskip(NEXT) | instid1(SALU_CYCLE_1)
	s_or_b64 s[16:17], s[4:5], s[12:13]
	s_or_b32 s2, s3, s16
	s_delay_alu instid0(SALU_CYCLE_1)
	s_and_b32 s2, s2, 3
	s_sub_u32 s4, s4, s10
	s_subb_u32 s5, s5, s11
	s_cmp_eq_u32 s2, 0
	s_mov_b32 s2, -1
	s_cbranch_scc0 .LBB396_29
; %bb.1:
	v_dual_mov_b32 v2, 0 :: v_dual_lshlrev_b32 v1, 2, v0
	s_mov_b32 s15, exec_lo
	s_delay_alu instid0(VALU_DEP_1)
	v_cmpx_gt_i64_e64 s[4:5], v[1:2]
	s_cbranch_execz .LBB396_28
; %bb.2:
	s_load_b32 s2, s[0:1], 0xc5c
	s_mov_b32 s17, 0
	s_waitcnt lgkmcnt(0)
	s_and_b32 s2, s2, 0xffff
	s_delay_alu instid0(SALU_CYCLE_1)
	s_lshl_b32 s16, s2, 2
	s_branch .LBB396_5
.LBB396_3:                              ;   in Loop: Header=BB396_5 Depth=1
	s_or_b32 exec_lo, exec_lo, s18
.LBB396_4:                              ;   in Loop: Header=BB396_5 Depth=1
	s_delay_alu instid0(SALU_CYCLE_1)
	s_or_b32 exec_lo, exec_lo, s2
	v_add_co_u32 v8, vcc_lo, s12, v1
	v_add_co_ci_u32_e32 v9, vcc_lo, s13, v2, vcc_lo
	v_add_co_u32 v1, vcc_lo, s16, v1
	v_add_co_ci_u32_e32 v2, vcc_lo, 0, v2, vcc_lo
	v_lshlrev_b32_e32 v5, 16, v7
	v_lshlrev_b32_e32 v4, 8, v4
	v_and_b32_e32 v3, 0xff, v3
	s_delay_alu instid0(VALU_DEP_4) | instskip(SKIP_3) | instid1(VALU_DEP_3)
	v_cmp_le_i64_e32 vcc_lo, s[4:5], v[1:2]
	v_cmp_lt_u64_e64 s2, 0xffff, v[1:2]
	v_perm_b32 v5, v6, v5, 0x4020c0c
	v_and_b32_e32 v4, 0xff00, v4
	s_or_b32 s2, vcc_lo, s2
	s_delay_alu instid0(VALU_DEP_1) | instskip(SKIP_1) | instid1(SALU_CYCLE_1)
	v_or3_b32 v3, v5, v4, v3
	s_and_b32 s2, exec_lo, s2
	s_or_b32 s17, s2, s17
	global_store_b32 v[8:9], v3, off
	s_and_not1_b32 exec_lo, exec_lo, s17
	s_cbranch_execz .LBB396_28
.LBB396_5:                              ; =>This Inner Loop Header: Depth=1
	v_add_co_u32 v3, vcc_lo, s3, v1
	v_add_co_ci_u32_e32 v4, vcc_lo, s14, v2, vcc_lo
	s_mov_b32 s2, exec_lo
	global_load_b32 v5, v[3:4], off
	v_dual_mov_b32 v4, 0x80 :: v_dual_mov_b32 v3, 0x80
	s_waitcnt vmcnt(0)
	v_cvt_f32_ubyte0_e32 v6, v5
	s_delay_alu instid0(VALU_DEP_1)
	v_cmpx_gt_u32_e32 0x47800000, v6
	s_cbranch_execz .LBB396_11
; %bb.6:                                ;   in Loop: Header=BB396_5 Depth=1
	s_mov_b32 s18, exec_lo
                                        ; implicit-def: $vgpr3
	v_cmpx_lt_u32_e32 0x37ffffff, v6
	s_xor_b32 s18, exec_lo, s18
; %bb.7:                                ;   in Loop: Header=BB396_5 Depth=1
	v_bfe_u32 v3, v6, 21, 1
	s_delay_alu instid0(VALU_DEP_1) | instskip(NEXT) | instid1(VALU_DEP_1)
	v_add3_u32 v3, v6, v3, 0x88fffff
                                        ; implicit-def: $vgpr6
	v_lshrrev_b32_e32 v3, 21, v3
; %bb.8:                                ;   in Loop: Header=BB396_5 Depth=1
	s_and_not1_saveexec_b32 s18, s18
; %bb.9:                                ;   in Loop: Header=BB396_5 Depth=1
	v_add_f32_e32 v3, 0x42800000, v6
; %bb.10:                               ;   in Loop: Header=BB396_5 Depth=1
	s_or_b32 exec_lo, exec_lo, s18
.LBB396_11:                             ;   in Loop: Header=BB396_5 Depth=1
	s_delay_alu instid0(SALU_CYCLE_1) | instskip(SKIP_2) | instid1(VALU_DEP_1)
	s_or_b32 exec_lo, exec_lo, s2
	v_cvt_f32_ubyte1_e32 v6, v5
	s_mov_b32 s2, exec_lo
	v_cmpx_gt_u32_e32 0x47800000, v6
	s_cbranch_execz .LBB396_17
; %bb.12:                               ;   in Loop: Header=BB396_5 Depth=1
	s_mov_b32 s18, exec_lo
                                        ; implicit-def: $vgpr4
	v_cmpx_lt_u32_e32 0x37ffffff, v6
	s_xor_b32 s18, exec_lo, s18
; %bb.13:                               ;   in Loop: Header=BB396_5 Depth=1
	v_bfe_u32 v4, v6, 21, 1
	s_delay_alu instid0(VALU_DEP_1) | instskip(NEXT) | instid1(VALU_DEP_1)
	v_add3_u32 v4, v6, v4, 0x88fffff
                                        ; implicit-def: $vgpr6
	v_lshrrev_b32_e32 v4, 21, v4
; %bb.14:                               ;   in Loop: Header=BB396_5 Depth=1
	s_and_not1_saveexec_b32 s18, s18
; %bb.15:                               ;   in Loop: Header=BB396_5 Depth=1
	v_add_f32_e32 v4, 0x42800000, v6
	s_delay_alu instid0(VALU_DEP_1)
	v_and_b32_e32 v4, 0xff, v4
; %bb.16:                               ;   in Loop: Header=BB396_5 Depth=1
	s_or_b32 exec_lo, exec_lo, s18
.LBB396_17:                             ;   in Loop: Header=BB396_5 Depth=1
	s_delay_alu instid0(SALU_CYCLE_1) | instskip(SKIP_3) | instid1(VALU_DEP_2)
	s_or_b32 exec_lo, exec_lo, s2
	v_cvt_f32_ubyte2_e32 v8, v5
	v_dual_mov_b32 v6, 0x80 :: v_dual_mov_b32 v7, 0x80
	s_mov_b32 s2, exec_lo
	v_cmpx_gt_u32_e32 0x47800000, v8
	s_cbranch_execz .LBB396_23
; %bb.18:                               ;   in Loop: Header=BB396_5 Depth=1
	s_mov_b32 s18, exec_lo
                                        ; implicit-def: $vgpr7
	v_cmpx_lt_u32_e32 0x37ffffff, v8
	s_xor_b32 s18, exec_lo, s18
; %bb.19:                               ;   in Loop: Header=BB396_5 Depth=1
	v_bfe_u32 v7, v8, 21, 1
	s_delay_alu instid0(VALU_DEP_1) | instskip(NEXT) | instid1(VALU_DEP_1)
	v_add3_u32 v7, v8, v7, 0x88fffff
                                        ; implicit-def: $vgpr8
	v_lshrrev_b32_e32 v7, 21, v7
; %bb.20:                               ;   in Loop: Header=BB396_5 Depth=1
	s_and_not1_saveexec_b32 s18, s18
; %bb.21:                               ;   in Loop: Header=BB396_5 Depth=1
	v_add_f32_e32 v7, 0x42800000, v8
	s_delay_alu instid0(VALU_DEP_1)
	v_and_b32_e32 v7, 0xff, v7
; %bb.22:                               ;   in Loop: Header=BB396_5 Depth=1
	s_or_b32 exec_lo, exec_lo, s18
.LBB396_23:                             ;   in Loop: Header=BB396_5 Depth=1
	s_delay_alu instid0(SALU_CYCLE_1) | instskip(SKIP_2) | instid1(VALU_DEP_1)
	s_or_b32 exec_lo, exec_lo, s2
	v_cvt_f32_ubyte3_e32 v5, v5
	s_mov_b32 s2, exec_lo
	v_cmpx_gt_u32_e32 0x47800000, v5
	s_cbranch_execz .LBB396_4
; %bb.24:                               ;   in Loop: Header=BB396_5 Depth=1
	s_mov_b32 s18, exec_lo
                                        ; implicit-def: $vgpr6
	v_cmpx_lt_u32_e32 0x37ffffff, v5
	s_xor_b32 s18, exec_lo, s18
; %bb.25:                               ;   in Loop: Header=BB396_5 Depth=1
	v_bfe_u32 v6, v5, 21, 1
	s_delay_alu instid0(VALU_DEP_1) | instskip(NEXT) | instid1(VALU_DEP_1)
	v_add3_u32 v5, v5, v6, 0x88fffff
	v_lshrrev_b32_e32 v6, 21, v5
                                        ; implicit-def: $vgpr5
; %bb.26:                               ;   in Loop: Header=BB396_5 Depth=1
	s_and_not1_saveexec_b32 s18, s18
	s_cbranch_execz .LBB396_3
; %bb.27:                               ;   in Loop: Header=BB396_5 Depth=1
	v_add_f32_e32 v6, 0x42800000, v5
	s_branch .LBB396_3
.LBB396_28:
	s_or_b32 exec_lo, exec_lo, s15
	s_mov_b32 s2, 0
.LBB396_29:
	s_delay_alu instid0(SALU_CYCLE_1)
	s_and_not1_b32 vcc_lo, exec_lo, s2
	s_cbranch_vccnz .LBB396_81
; %bb.30:
	v_cmp_lt_i64_e64 s2, s[4:5], 1
	s_delay_alu instid0(VALU_DEP_1)
	s_and_b32 vcc_lo, exec_lo, s2
	s_cbranch_vccnz .LBB396_81
; %bb.31:
	s_load_b32 s0, s[0:1], 0xc5c
	v_add_co_u32 v1, s1, s10, v0
	s_delay_alu instid0(VALU_DEP_1) | instskip(SKIP_1) | instid1(VALU_DEP_3)
	v_add_co_ci_u32_e64 v2, null, s11, 0, s1
	v_cmp_gt_u64_e64 s1, 0x10000, s[4:5]
	v_add_co_u32 v9, vcc_lo, s6, v1
	s_delay_alu instid0(VALU_DEP_3)
	v_add_co_ci_u32_e32 v10, vcc_lo, s7, v2, vcc_lo
	v_add_co_u32 v11, vcc_lo, s8, v1
	v_add_co_ci_u32_e32 v12, vcc_lo, s9, v2, vcc_lo
                                        ; implicit-def: $vgpr31
                                        ; implicit-def: $vgpr32
                                        ; implicit-def: $vgpr33
                                        ; implicit-def: $vgpr34
	s_waitcnt lgkmcnt(0)
	s_and_b32 s0, s0, 0xffff
	s_and_b32 s1, s1, exec_lo
	s_mul_i32 s13, s0, 3
	s_cselect_b32 s3, s5, 0
	s_cselect_b32 s2, s4, 0x10000
	s_lshl_b32 s12, s0, 1
	s_lshl_b32 s1, s0, 2
	s_add_u32 s14, s10, s13
	s_addc_u32 s15, s11, 0
	v_add_co_u32 v3, s14, s14, v0
	s_delay_alu instid0(VALU_DEP_1) | instskip(SKIP_1) | instid1(VALU_DEP_2)
	v_add_co_ci_u32_e64 v4, null, s15, 0, s14
	s_add_u32 s10, s10, s12
	v_add_co_u32 v13, vcc_lo, s6, v3
	s_delay_alu instid0(VALU_DEP_2)
	v_add_co_ci_u32_e32 v14, vcc_lo, s7, v4, vcc_lo
	v_add_co_u32 v15, vcc_lo, s8, v3
	s_addc_u32 s11, s11, 0
	v_add_co_u32 v3, s10, s10, v0
	v_add_co_ci_u32_e32 v16, vcc_lo, s9, v4, vcc_lo
	v_add_co_ci_u32_e64 v4, null, s11, 0, s10
	s_delay_alu instid0(VALU_DEP_3) | instskip(SKIP_1) | instid1(VALU_DEP_3)
	v_add_co_u32 v19, vcc_lo, s6, v3
	v_add_co_u32 v17, s10, s13, v0
	v_add_co_ci_u32_e32 v20, vcc_lo, s7, v4, vcc_lo
	v_add_co_u32 v21, vcc_lo, s8, v3
	v_add_co_ci_u32_e32 v22, vcc_lo, s9, v4, vcc_lo
	v_add_co_u32 v1, vcc_lo, v1, s0
	v_add_co_ci_u32_e32 v2, vcc_lo, 0, v2, vcc_lo
	v_add_co_ci_u32_e64 v18, null, 0, 0, s10
	s_delay_alu instid0(VALU_DEP_3) | instskip(NEXT) | instid1(VALU_DEP_3)
	v_add_co_u32 v25, vcc_lo, s6, v1
	v_add_co_ci_u32_e32 v26, vcc_lo, s7, v2, vcc_lo
	v_add_co_u32 v23, s10, s12, v0
	v_add_co_u32 v27, vcc_lo, s8, v1
	v_add_co_u32 v29, s0, v0, s0
	v_add_co_ci_u32_e64 v24, null, 0, 0, s10
	v_add_co_ci_u32_e32 v28, vcc_lo, s9, v2, vcc_lo
	v_add_co_ci_u32_e64 v30, null, 0, 0, s0
	s_mov_b64 s[6:7], 0
	s_branch .LBB396_33
.LBB396_32:                             ;   in Loop: Header=BB396_33 Depth=1
	s_or_b32 exec_lo, exec_lo, s0
	s_add_u32 s6, s6, s1
	s_addc_u32 s7, s7, 0
	s_delay_alu instid0(SALU_CYCLE_1) | instskip(SKIP_1) | instid1(VALU_DEP_1)
	v_cmp_ge_i64_e64 s0, s[6:7], s[4:5]
	v_cmp_lt_u64_e64 s8, 0xffff, s[6:7]
	s_or_b32 s0, s0, s8
	s_delay_alu instid0(SALU_CYCLE_1)
	s_and_b32 vcc_lo, exec_lo, s0
	s_cbranch_vccnz .LBB396_81
.LBB396_33:                             ; =>This Inner Loop Header: Depth=1
	v_add_co_u32 v1, s0, v0, s6
	s_delay_alu instid0(VALU_DEP_1) | instskip(NEXT) | instid1(VALU_DEP_1)
	v_add_co_ci_u32_e64 v2, null, 0, s7, s0
	v_cmp_gt_i64_e32 vcc_lo, s[4:5], v[1:2]
	v_cmp_gt_u64_e64 s0, 0x10000, v[1:2]
	s_delay_alu instid0(VALU_DEP_1) | instskip(NEXT) | instid1(SALU_CYCLE_1)
	s_and_b32 s8, vcc_lo, s0
	s_and_saveexec_b32 s0, s8
	s_cbranch_execz .LBB396_35
; %bb.34:                               ;   in Loop: Header=BB396_33 Depth=1
	v_add_co_u32 v3, vcc_lo, v9, s6
	v_add_co_ci_u32_e32 v4, vcc_lo, s7, v10, vcc_lo
	global_load_u8 v31, v[3:4], off
.LBB396_35:                             ;   in Loop: Header=BB396_33 Depth=1
	s_or_b32 exec_lo, exec_lo, s0
	v_add_co_u32 v3, vcc_lo, v29, s6
	v_add_co_ci_u32_e32 v4, vcc_lo, s7, v30, vcc_lo
	s_delay_alu instid0(VALU_DEP_1) | instskip(SKIP_1) | instid1(VALU_DEP_1)
	v_cmp_gt_i64_e32 vcc_lo, s[4:5], v[3:4]
	v_cmp_gt_u64_e64 s0, 0x10000, v[3:4]
	s_and_b32 s8, vcc_lo, s0
	s_delay_alu instid0(SALU_CYCLE_1)
	s_and_saveexec_b32 s0, s8
	s_cbranch_execz .LBB396_37
; %bb.36:                               ;   in Loop: Header=BB396_33 Depth=1
	v_add_co_u32 v5, vcc_lo, v25, s6
	v_add_co_ci_u32_e32 v6, vcc_lo, s7, v26, vcc_lo
	global_load_u8 v32, v[5:6], off
.LBB396_37:                             ;   in Loop: Header=BB396_33 Depth=1
	s_or_b32 exec_lo, exec_lo, s0
	v_add_co_u32 v5, vcc_lo, v23, s6
	v_add_co_ci_u32_e32 v6, vcc_lo, s7, v24, vcc_lo
	s_delay_alu instid0(VALU_DEP_1) | instskip(SKIP_1) | instid1(VALU_DEP_1)
	v_cmp_gt_i64_e32 vcc_lo, s[4:5], v[5:6]
	v_cmp_gt_u64_e64 s0, 0x10000, v[5:6]
	s_and_b32 s8, vcc_lo, s0
	s_delay_alu instid0(SALU_CYCLE_1)
	;; [unrolled: 15-line block ×3, first 2 shown]
	s_and_saveexec_b32 s0, s8
	s_cbranch_execz .LBB396_41
; %bb.40:                               ;   in Loop: Header=BB396_33 Depth=1
	v_add_co_u32 v34, vcc_lo, v13, s6
	v_add_co_ci_u32_e32 v35, vcc_lo, s7, v14, vcc_lo
	global_load_u8 v34, v[34:35], off
.LBB396_41:                             ;   in Loop: Header=BB396_33 Depth=1
	s_or_b32 exec_lo, exec_lo, s0
	s_waitcnt vmcnt(0)
	v_cvt_f32_ubyte0_e32 v38, v31
	v_dual_mov_b32 v35, 0x80 :: v_dual_mov_b32 v36, 0x80
	s_mov_b32 s0, exec_lo
	s_delay_alu instid0(VALU_DEP_2)
	v_cmpx_gt_u32_e32 0x47800000, v38
	s_cbranch_execz .LBB396_47
; %bb.42:                               ;   in Loop: Header=BB396_33 Depth=1
	s_mov_b32 s8, 0
	s_mov_b32 s9, exec_lo
                                        ; implicit-def: $vgpr37
	v_cmpx_lt_u32_e32 0x37ffffff, v38
	s_xor_b32 s9, exec_lo, s9
	s_cbranch_execnz .LBB396_73
; %bb.43:                               ;   in Loop: Header=BB396_33 Depth=1
	s_or_saveexec_b32 s9, s9
                                        ; implicit-def: $sgpr10
	s_delay_alu instid0(SALU_CYCLE_1)
	s_xor_b32 exec_lo, exec_lo, s9
	s_cbranch_execnz .LBB396_74
.LBB396_44:                             ;   in Loop: Header=BB396_33 Depth=1
	s_or_b32 exec_lo, exec_lo, s9
	v_mov_b32_e32 v36, s10
	s_and_saveexec_b32 s9, s8
.LBB396_45:                             ;   in Loop: Header=BB396_33 Depth=1
	v_mov_b32_e32 v36, v37
.LBB396_46:                             ;   in Loop: Header=BB396_33 Depth=1
	s_or_b32 exec_lo, exec_lo, s9
.LBB396_47:                             ;   in Loop: Header=BB396_33 Depth=1
	s_delay_alu instid0(SALU_CYCLE_1) | instskip(SKIP_2) | instid1(VALU_DEP_1)
	s_or_b32 exec_lo, exec_lo, s0
	v_cvt_f32_ubyte0_e32 v38, v32
	s_mov_b32 s0, exec_lo
	v_cmpx_gt_u32_e32 0x47800000, v38
	s_cbranch_execz .LBB396_53
; %bb.48:                               ;   in Loop: Header=BB396_33 Depth=1
	s_mov_b32 s8, 0
	s_mov_b32 s9, exec_lo
                                        ; implicit-def: $vgpr37
	v_cmpx_lt_u32_e32 0x37ffffff, v38
	s_xor_b32 s9, exec_lo, s9
	s_cbranch_execnz .LBB396_75
; %bb.49:                               ;   in Loop: Header=BB396_33 Depth=1
	s_or_saveexec_b32 s9, s9
                                        ; implicit-def: $sgpr10
	s_delay_alu instid0(SALU_CYCLE_1)
	s_xor_b32 exec_lo, exec_lo, s9
	s_cbranch_execnz .LBB396_76
.LBB396_50:                             ;   in Loop: Header=BB396_33 Depth=1
	s_or_b32 exec_lo, exec_lo, s9
	v_mov_b32_e32 v35, s10
	s_and_saveexec_b32 s9, s8
.LBB396_51:                             ;   in Loop: Header=BB396_33 Depth=1
	v_mov_b32_e32 v35, v37
.LBB396_52:                             ;   in Loop: Header=BB396_33 Depth=1
	s_or_b32 exec_lo, exec_lo, s9
.LBB396_53:                             ;   in Loop: Header=BB396_33 Depth=1
	s_delay_alu instid0(SALU_CYCLE_1) | instskip(SKIP_3) | instid1(VALU_DEP_2)
	s_or_b32 exec_lo, exec_lo, s0
	v_cvt_f32_ubyte0_e32 v40, v33
	v_dual_mov_b32 v37, 0x80 :: v_dual_mov_b32 v38, 0x80
	s_mov_b32 s0, exec_lo
	v_cmpx_gt_u32_e32 0x47800000, v40
	s_cbranch_execz .LBB396_59
; %bb.54:                               ;   in Loop: Header=BB396_33 Depth=1
	s_mov_b32 s8, 0
	s_mov_b32 s9, exec_lo
                                        ; implicit-def: $vgpr39
	v_cmpx_lt_u32_e32 0x37ffffff, v40
	s_xor_b32 s9, exec_lo, s9
	s_cbranch_execnz .LBB396_77
; %bb.55:                               ;   in Loop: Header=BB396_33 Depth=1
	s_or_saveexec_b32 s9, s9
                                        ; implicit-def: $sgpr10
	s_delay_alu instid0(SALU_CYCLE_1)
	s_xor_b32 exec_lo, exec_lo, s9
	s_cbranch_execnz .LBB396_78
.LBB396_56:                             ;   in Loop: Header=BB396_33 Depth=1
	s_or_b32 exec_lo, exec_lo, s9
	v_mov_b32_e32 v38, s10
	s_and_saveexec_b32 s9, s8
.LBB396_57:                             ;   in Loop: Header=BB396_33 Depth=1
	v_mov_b32_e32 v38, v39
.LBB396_58:                             ;   in Loop: Header=BB396_33 Depth=1
	s_or_b32 exec_lo, exec_lo, s9
.LBB396_59:                             ;   in Loop: Header=BB396_33 Depth=1
	s_delay_alu instid0(SALU_CYCLE_1) | instskip(SKIP_2) | instid1(VALU_DEP_1)
	s_or_b32 exec_lo, exec_lo, s0
	v_cvt_f32_ubyte0_e32 v40, v34
	s_mov_b32 s0, exec_lo
	v_cmpx_gt_u32_e32 0x47800000, v40
	s_cbranch_execz .LBB396_65
; %bb.60:                               ;   in Loop: Header=BB396_33 Depth=1
	s_mov_b32 s8, 0
	s_mov_b32 s9, exec_lo
                                        ; implicit-def: $vgpr39
	v_cmpx_lt_u32_e32 0x37ffffff, v40
	s_xor_b32 s9, exec_lo, s9
	s_cbranch_execnz .LBB396_79
; %bb.61:                               ;   in Loop: Header=BB396_33 Depth=1
	s_or_saveexec_b32 s9, s9
                                        ; implicit-def: $sgpr10
	s_delay_alu instid0(SALU_CYCLE_1)
	s_xor_b32 exec_lo, exec_lo, s9
	s_cbranch_execnz .LBB396_80
.LBB396_62:                             ;   in Loop: Header=BB396_33 Depth=1
	s_or_b32 exec_lo, exec_lo, s9
	v_mov_b32_e32 v37, s10
	s_and_saveexec_b32 s9, s8
.LBB396_63:                             ;   in Loop: Header=BB396_33 Depth=1
	v_mov_b32_e32 v37, v39
.LBB396_64:                             ;   in Loop: Header=BB396_33 Depth=1
	s_or_b32 exec_lo, exec_lo, s9
.LBB396_65:                             ;   in Loop: Header=BB396_33 Depth=1
	s_delay_alu instid0(SALU_CYCLE_1) | instskip(NEXT) | instid1(SALU_CYCLE_1)
	s_or_b32 exec_lo, exec_lo, s0
	s_mov_b32 s0, exec_lo
	v_cmpx_gt_u64_e64 s[2:3], v[1:2]
	s_xor_b32 s0, exec_lo, s0
	s_cbranch_execnz .LBB396_69
; %bb.66:                               ;   in Loop: Header=BB396_33 Depth=1
	s_or_b32 exec_lo, exec_lo, s0
	s_delay_alu instid0(SALU_CYCLE_1)
	s_mov_b32 s0, exec_lo
	v_cmpx_gt_u64_e64 s[2:3], v[3:4]
	s_cbranch_execnz .LBB396_70
.LBB396_67:                             ;   in Loop: Header=BB396_33 Depth=1
	s_or_b32 exec_lo, exec_lo, s0
	s_delay_alu instid0(SALU_CYCLE_1)
	s_mov_b32 s0, exec_lo
	v_cmpx_gt_u64_e64 s[2:3], v[5:6]
	s_cbranch_execnz .LBB396_71
.LBB396_68:                             ;   in Loop: Header=BB396_33 Depth=1
	s_or_b32 exec_lo, exec_lo, s0
	s_delay_alu instid0(SALU_CYCLE_1)
	s_mov_b32 s0, exec_lo
	v_cmpx_gt_u64_e64 s[2:3], v[7:8]
	s_cbranch_execz .LBB396_32
	s_branch .LBB396_72
.LBB396_69:                             ;   in Loop: Header=BB396_33 Depth=1
	v_add_co_u32 v1, vcc_lo, v11, s6
	v_add_co_ci_u32_e32 v2, vcc_lo, s7, v12, vcc_lo
	global_store_b8 v[1:2], v36, off
	s_or_b32 exec_lo, exec_lo, s0
	s_delay_alu instid0(SALU_CYCLE_1)
	s_mov_b32 s0, exec_lo
	v_cmpx_gt_u64_e64 s[2:3], v[3:4]
	s_cbranch_execz .LBB396_67
.LBB396_70:                             ;   in Loop: Header=BB396_33 Depth=1
	v_add_co_u32 v1, vcc_lo, v27, s6
	v_add_co_ci_u32_e32 v2, vcc_lo, s7, v28, vcc_lo
	global_store_b8 v[1:2], v35, off
	s_or_b32 exec_lo, exec_lo, s0
	s_delay_alu instid0(SALU_CYCLE_1)
	s_mov_b32 s0, exec_lo
	v_cmpx_gt_u64_e64 s[2:3], v[5:6]
	s_cbranch_execz .LBB396_68
.LBB396_71:                             ;   in Loop: Header=BB396_33 Depth=1
	v_add_co_u32 v1, vcc_lo, v21, s6
	v_add_co_ci_u32_e32 v2, vcc_lo, s7, v22, vcc_lo
	global_store_b8 v[1:2], v38, off
	s_or_b32 exec_lo, exec_lo, s0
	s_delay_alu instid0(SALU_CYCLE_1)
	s_mov_b32 s0, exec_lo
	v_cmpx_gt_u64_e64 s[2:3], v[7:8]
	s_cbranch_execz .LBB396_32
.LBB396_72:                             ;   in Loop: Header=BB396_33 Depth=1
	v_add_co_u32 v1, vcc_lo, v15, s6
	v_add_co_ci_u32_e32 v2, vcc_lo, s7, v16, vcc_lo
	global_store_b8 v[1:2], v37, off
	s_branch .LBB396_32
.LBB396_73:                             ;   in Loop: Header=BB396_33 Depth=1
	v_bfe_u32 v36, v38, 21, 1
	s_mov_b32 s8, exec_lo
	s_delay_alu instid0(VALU_DEP_1) | instskip(NEXT) | instid1(VALU_DEP_1)
	v_add3_u32 v36, v38, v36, 0x88fffff
                                        ; implicit-def: $vgpr38
	v_lshrrev_b32_e32 v37, 21, v36
	s_or_saveexec_b32 s9, s9
                                        ; implicit-def: $sgpr10
	s_delay_alu instid0(SALU_CYCLE_1)
	s_xor_b32 exec_lo, exec_lo, s9
	s_cbranch_execz .LBB396_44
.LBB396_74:                             ;   in Loop: Header=BB396_33 Depth=1
	v_add_f32_e32 v36, 0x42800000, v38
	s_and_not1_b32 s8, s8, exec_lo
	s_mov_b32 s10, 0
	s_delay_alu instid0(VALU_DEP_1) | instskip(NEXT) | instid1(VALU_DEP_1)
	v_and_b32_e32 v37, 0xff, v36
	v_cmp_ne_u32_e32 vcc_lo, 0, v37
	s_and_b32 s11, vcc_lo, exec_lo
	s_delay_alu instid0(SALU_CYCLE_1)
	s_or_b32 s8, s8, s11
	s_or_b32 exec_lo, exec_lo, s9
	v_mov_b32_e32 v36, s10
	s_and_saveexec_b32 s9, s8
	s_cbranch_execnz .LBB396_45
	s_branch .LBB396_46
.LBB396_75:                             ;   in Loop: Header=BB396_33 Depth=1
	v_bfe_u32 v35, v38, 21, 1
	s_mov_b32 s8, exec_lo
	s_delay_alu instid0(VALU_DEP_1) | instskip(NEXT) | instid1(VALU_DEP_1)
	v_add3_u32 v35, v38, v35, 0x88fffff
                                        ; implicit-def: $vgpr38
	v_lshrrev_b32_e32 v37, 21, v35
	s_or_saveexec_b32 s9, s9
                                        ; implicit-def: $sgpr10
	s_delay_alu instid0(SALU_CYCLE_1)
	s_xor_b32 exec_lo, exec_lo, s9
	s_cbranch_execz .LBB396_50
.LBB396_76:                             ;   in Loop: Header=BB396_33 Depth=1
	v_add_f32_e32 v35, 0x42800000, v38
	s_and_not1_b32 s8, s8, exec_lo
	s_mov_b32 s10, 0
	s_delay_alu instid0(VALU_DEP_1) | instskip(NEXT) | instid1(VALU_DEP_1)
	v_and_b32_e32 v37, 0xff, v35
	v_cmp_ne_u32_e32 vcc_lo, 0, v37
	s_and_b32 s11, vcc_lo, exec_lo
	s_delay_alu instid0(SALU_CYCLE_1)
	s_or_b32 s8, s8, s11
	s_or_b32 exec_lo, exec_lo, s9
	v_mov_b32_e32 v35, s10
	s_and_saveexec_b32 s9, s8
	s_cbranch_execnz .LBB396_51
	s_branch .LBB396_52
.LBB396_77:                             ;   in Loop: Header=BB396_33 Depth=1
	v_bfe_u32 v38, v40, 21, 1
	s_mov_b32 s8, exec_lo
	s_delay_alu instid0(VALU_DEP_1) | instskip(NEXT) | instid1(VALU_DEP_1)
	v_add3_u32 v38, v40, v38, 0x88fffff
                                        ; implicit-def: $vgpr40
	v_lshrrev_b32_e32 v39, 21, v38
	s_or_saveexec_b32 s9, s9
                                        ; implicit-def: $sgpr10
	s_delay_alu instid0(SALU_CYCLE_1)
	s_xor_b32 exec_lo, exec_lo, s9
	s_cbranch_execz .LBB396_56
.LBB396_78:                             ;   in Loop: Header=BB396_33 Depth=1
	v_add_f32_e32 v38, 0x42800000, v40
	s_and_not1_b32 s8, s8, exec_lo
	s_mov_b32 s10, 0
	s_delay_alu instid0(VALU_DEP_1) | instskip(NEXT) | instid1(VALU_DEP_1)
	v_and_b32_e32 v39, 0xff, v38
	v_cmp_ne_u32_e32 vcc_lo, 0, v39
	s_and_b32 s11, vcc_lo, exec_lo
	s_delay_alu instid0(SALU_CYCLE_1)
	s_or_b32 s8, s8, s11
	s_or_b32 exec_lo, exec_lo, s9
	v_mov_b32_e32 v38, s10
	s_and_saveexec_b32 s9, s8
	s_cbranch_execnz .LBB396_57
	s_branch .LBB396_58
.LBB396_79:                             ;   in Loop: Header=BB396_33 Depth=1
	v_bfe_u32 v37, v40, 21, 1
	s_mov_b32 s8, exec_lo
	s_delay_alu instid0(VALU_DEP_1) | instskip(NEXT) | instid1(VALU_DEP_1)
	v_add3_u32 v37, v40, v37, 0x88fffff
                                        ; implicit-def: $vgpr40
	v_lshrrev_b32_e32 v39, 21, v37
	s_or_saveexec_b32 s9, s9
                                        ; implicit-def: $sgpr10
	s_delay_alu instid0(SALU_CYCLE_1)
	s_xor_b32 exec_lo, exec_lo, s9
	s_cbranch_execz .LBB396_62
.LBB396_80:                             ;   in Loop: Header=BB396_33 Depth=1
	v_add_f32_e32 v37, 0x42800000, v40
	s_and_not1_b32 s8, s8, exec_lo
	s_mov_b32 s10, 0
	s_delay_alu instid0(VALU_DEP_1) | instskip(NEXT) | instid1(VALU_DEP_1)
	v_and_b32_e32 v39, 0xff, v37
	v_cmp_ne_u32_e32 vcc_lo, 0, v39
	s_and_b32 s11, vcc_lo, exec_lo
	s_delay_alu instid0(SALU_CYCLE_1)
	s_or_b32 s8, s8, s11
	s_or_b32 exec_lo, exec_lo, s9
	v_mov_b32_e32 v37, s10
	s_and_saveexec_b32 s9, s8
	s_cbranch_execnz .LBB396_63
	s_branch .LBB396_64
.LBB396_81:
	s_nop 0
	s_sendmsg sendmsg(MSG_DEALLOC_VGPRS)
	s_endpgm
	.section	.rodata,"a",@progbits
	.p2align	6, 0x0
	.amdhsa_kernel _ZN2at6native12_GLOBAL__N_125multi_tensor_apply_kernelINS1_18TensorListMetadataILi2EEENS1_11CopyFunctorIN3c1015Float8_e5m2fnuzEhLi2ELi1ELi1EEEJNS0_4CopyIS7_hEEEEEvT_T0_DpT1_
		.amdhsa_group_segment_fixed_size 0
		.amdhsa_private_segment_fixed_size 0
		.amdhsa_kernarg_size 3408
		.amdhsa_user_sgpr_count 15
		.amdhsa_user_sgpr_dispatch_ptr 0
		.amdhsa_user_sgpr_queue_ptr 0
		.amdhsa_user_sgpr_kernarg_segment_ptr 1
		.amdhsa_user_sgpr_dispatch_id 0
		.amdhsa_user_sgpr_private_segment_size 0
		.amdhsa_wavefront_size32 1
		.amdhsa_uses_dynamic_stack 0
		.amdhsa_enable_private_segment 0
		.amdhsa_system_sgpr_workgroup_id_x 1
		.amdhsa_system_sgpr_workgroup_id_y 0
		.amdhsa_system_sgpr_workgroup_id_z 0
		.amdhsa_system_sgpr_workgroup_info 0
		.amdhsa_system_vgpr_workitem_id 0
		.amdhsa_next_free_vgpr 41
		.amdhsa_next_free_sgpr 19
		.amdhsa_reserve_vcc 1
		.amdhsa_float_round_mode_32 0
		.amdhsa_float_round_mode_16_64 0
		.amdhsa_float_denorm_mode_32 3
		.amdhsa_float_denorm_mode_16_64 3
		.amdhsa_dx10_clamp 1
		.amdhsa_ieee_mode 1
		.amdhsa_fp16_overflow 0
		.amdhsa_workgroup_processor_mode 1
		.amdhsa_memory_ordered 1
		.amdhsa_forward_progress 0
		.amdhsa_shared_vgpr_count 0
		.amdhsa_exception_fp_ieee_invalid_op 0
		.amdhsa_exception_fp_denorm_src 0
		.amdhsa_exception_fp_ieee_div_zero 0
		.amdhsa_exception_fp_ieee_overflow 0
		.amdhsa_exception_fp_ieee_underflow 0
		.amdhsa_exception_fp_ieee_inexact 0
		.amdhsa_exception_int_div_zero 0
	.end_amdhsa_kernel
	.section	.text._ZN2at6native12_GLOBAL__N_125multi_tensor_apply_kernelINS1_18TensorListMetadataILi2EEENS1_11CopyFunctorIN3c1015Float8_e5m2fnuzEhLi2ELi1ELi1EEEJNS0_4CopyIS7_hEEEEEvT_T0_DpT1_,"axG",@progbits,_ZN2at6native12_GLOBAL__N_125multi_tensor_apply_kernelINS1_18TensorListMetadataILi2EEENS1_11CopyFunctorIN3c1015Float8_e5m2fnuzEhLi2ELi1ELi1EEEJNS0_4CopyIS7_hEEEEEvT_T0_DpT1_,comdat
.Lfunc_end396:
	.size	_ZN2at6native12_GLOBAL__N_125multi_tensor_apply_kernelINS1_18TensorListMetadataILi2EEENS1_11CopyFunctorIN3c1015Float8_e5m2fnuzEhLi2ELi1ELi1EEEJNS0_4CopyIS7_hEEEEEvT_T0_DpT1_, .Lfunc_end396-_ZN2at6native12_GLOBAL__N_125multi_tensor_apply_kernelINS1_18TensorListMetadataILi2EEENS1_11CopyFunctorIN3c1015Float8_e5m2fnuzEhLi2ELi1ELi1EEEJNS0_4CopyIS7_hEEEEEvT_T0_DpT1_
                                        ; -- End function
	.section	.AMDGPU.csdata,"",@progbits
; Kernel info:
; codeLenInByte = 2572
; NumSgprs: 21
; NumVgprs: 41
; ScratchSize: 0
; MemoryBound: 0
; FloatMode: 240
; IeeeMode: 1
; LDSByteSize: 0 bytes/workgroup (compile time only)
; SGPRBlocks: 2
; VGPRBlocks: 5
; NumSGPRsForWavesPerEU: 21
; NumVGPRsForWavesPerEU: 41
; Occupancy: 16
; WaveLimiterHint : 0
; COMPUTE_PGM_RSRC2:SCRATCH_EN: 0
; COMPUTE_PGM_RSRC2:USER_SGPR: 15
; COMPUTE_PGM_RSRC2:TRAP_HANDLER: 0
; COMPUTE_PGM_RSRC2:TGID_X_EN: 1
; COMPUTE_PGM_RSRC2:TGID_Y_EN: 0
; COMPUTE_PGM_RSRC2:TGID_Z_EN: 0
; COMPUTE_PGM_RSRC2:TIDIG_COMP_CNT: 0
	.section	.text._ZN2at6native12_GLOBAL__N_125multi_tensor_apply_kernelINS1_18TensorListMetadataILi2EEENS1_11CopyFunctorIN3c1015Float8_e5m2fnuzEaLi2ELi1ELi1EEEJNS0_4CopyIS7_aEEEEEvT_T0_DpT1_,"axG",@progbits,_ZN2at6native12_GLOBAL__N_125multi_tensor_apply_kernelINS1_18TensorListMetadataILi2EEENS1_11CopyFunctorIN3c1015Float8_e5m2fnuzEaLi2ELi1ELi1EEEJNS0_4CopyIS7_aEEEEEvT_T0_DpT1_,comdat
	.globl	_ZN2at6native12_GLOBAL__N_125multi_tensor_apply_kernelINS1_18TensorListMetadataILi2EEENS1_11CopyFunctorIN3c1015Float8_e5m2fnuzEaLi2ELi1ELi1EEEJNS0_4CopyIS7_aEEEEEvT_T0_DpT1_ ; -- Begin function _ZN2at6native12_GLOBAL__N_125multi_tensor_apply_kernelINS1_18TensorListMetadataILi2EEENS1_11CopyFunctorIN3c1015Float8_e5m2fnuzEaLi2ELi1ELi1EEEJNS0_4CopyIS7_aEEEEEvT_T0_DpT1_
	.p2align	8
	.type	_ZN2at6native12_GLOBAL__N_125multi_tensor_apply_kernelINS1_18TensorListMetadataILi2EEENS1_11CopyFunctorIN3c1015Float8_e5m2fnuzEaLi2ELi1ELi1EEEJNS0_4CopyIS7_aEEEEEvT_T0_DpT1_,@function
_ZN2at6native12_GLOBAL__N_125multi_tensor_apply_kernelINS1_18TensorListMetadataILi2EEENS1_11CopyFunctorIN3c1015Float8_e5m2fnuzEaLi2ELi1ELi1EEEJNS0_4CopyIS7_aEEEEEvT_T0_DpT1_: ; @_ZN2at6native12_GLOBAL__N_125multi_tensor_apply_kernelINS1_18TensorListMetadataILi2EEENS1_11CopyFunctorIN3c1015Float8_e5m2fnuzEaLi2ELi1ELi1EEEJNS0_4CopyIS7_aEEEEEvT_T0_DpT1_
; %bb.0:
	v_mov_b32_e32 v1, s15
	s_add_u32 s2, s0, s15
	s_mul_i32 s4, s15, 3
	s_addc_u32 s3, s1, 0
	s_mul_hi_u32 s5, s15, 3
	global_load_u8 v1, v1, s[0:1] offset:1536
	s_add_u32 s2, s2, s4
	s_addc_u32 s3, s3, s5
	s_load_b32 s2, s[2:3], 0x740
	s_waitcnt vmcnt(0)
	v_readfirstlane_b32 s4, v1
	s_delay_alu instid0(VALU_DEP_1)
	s_lshl_b32 s3, s4, 3
	s_clause 0x2
	s_load_b64 s[6:7], s[0:1], s3 offset:0x0
	s_load_b64 s[8:9], s[0:1], s3 offset:0x200
	s_load_b64 s[4:5], s[0:1], s3 offset:0x400
	s_waitcnt lgkmcnt(0)
	s_ashr_i32 s3, s2, 31
	s_delay_alu instid0(SALU_CYCLE_1) | instskip(NEXT) | instid1(SALU_CYCLE_1)
	s_lshl_b64 s[10:11], s[2:3], 16
	s_add_u32 s3, s6, s10
	s_addc_u32 s14, s7, s11
	s_add_u32 s12, s8, s10
	s_addc_u32 s13, s9, s11
	s_delay_alu instid0(SALU_CYCLE_1) | instskip(NEXT) | instid1(SALU_CYCLE_1)
	s_or_b64 s[16:17], s[4:5], s[12:13]
	s_or_b32 s2, s3, s16
	s_delay_alu instid0(SALU_CYCLE_1)
	s_and_b32 s2, s2, 3
	s_sub_u32 s4, s4, s10
	s_subb_u32 s5, s5, s11
	s_cmp_eq_u32 s2, 0
	s_mov_b32 s2, -1
	s_cbranch_scc0 .LBB397_37
; %bb.1:
	v_dual_mov_b32 v2, 0 :: v_dual_lshlrev_b32 v1, 2, v0
	s_mov_b32 s15, exec_lo
	s_delay_alu instid0(VALU_DEP_1)
	v_cmpx_gt_i64_e64 s[4:5], v[1:2]
	s_cbranch_execz .LBB397_36
; %bb.2:
	s_load_b32 s2, s[0:1], 0xc5c
	s_mov_b32 s17, 0
	s_waitcnt lgkmcnt(0)
	s_and_b32 s2, s2, 0xffff
	s_delay_alu instid0(SALU_CYCLE_1)
	s_lshl_b32 s16, s2, 2
	s_branch .LBB397_5
.LBB397_3:                              ;   in Loop: Header=BB397_5 Depth=1
	s_or_b32 exec_lo, exec_lo, s19
.LBB397_4:                              ;   in Loop: Header=BB397_5 Depth=1
	s_delay_alu instid0(SALU_CYCLE_1)
	s_or_b32 exec_lo, exec_lo, s2
	v_add_co_u32 v8, vcc_lo, s12, v1
	v_add_co_ci_u32_e32 v9, vcc_lo, s13, v2, vcc_lo
	v_add_co_u32 v1, vcc_lo, s16, v1
	v_add_co_ci_u32_e32 v2, vcc_lo, 0, v2, vcc_lo
	v_lshlrev_b32_e32 v5, 16, v7
	v_lshlrev_b32_e32 v4, 8, v4
	v_and_b32_e32 v3, 0xff, v3
	s_delay_alu instid0(VALU_DEP_4) | instskip(SKIP_3) | instid1(VALU_DEP_3)
	v_cmp_le_i64_e32 vcc_lo, s[4:5], v[1:2]
	v_cmp_lt_u64_e64 s2, 0xffff, v[1:2]
	v_perm_b32 v5, v6, v5, 0x4020c0c
	v_and_b32_e32 v4, 0xff00, v4
	s_or_b32 s2, vcc_lo, s2
	s_delay_alu instid0(VALU_DEP_1) | instskip(SKIP_1) | instid1(SALU_CYCLE_1)
	v_or3_b32 v3, v5, v4, v3
	s_and_b32 s2, exec_lo, s2
	s_or_b32 s17, s2, s17
	global_store_b32 v[8:9], v3, off
	s_and_not1_b32 exec_lo, exec_lo, s17
	s_cbranch_execz .LBB397_36
.LBB397_5:                              ; =>This Inner Loop Header: Depth=1
	v_add_co_u32 v3, vcc_lo, s3, v1
	v_add_co_ci_u32_e32 v4, vcc_lo, s14, v2, vcc_lo
	s_mov_b32 s2, exec_lo
	global_load_b32 v5, v[3:4], off
	v_mov_b32_e32 v4, 0x80
	s_waitcnt vmcnt(0)
	v_bfe_i32 v3, v5, 0, 8
	s_delay_alu instid0(VALU_DEP_1) | instskip(NEXT) | instid1(VALU_DEP_1)
	v_bfe_i32 v3, v3, 0, 16
	v_cvt_f32_i32_e32 v6, v3
	v_mov_b32_e32 v3, 0x80
	s_delay_alu instid0(VALU_DEP_2) | instskip(NEXT) | instid1(VALU_DEP_1)
	v_and_b32_e32 v7, 0x7fffffff, v6
	v_cmpx_gt_u32_e32 0x47800000, v7
	s_cbranch_execz .LBB397_11
; %bb.6:                                ;   in Loop: Header=BB397_5 Depth=1
	v_cmp_lt_u32_e32 vcc_lo, 0x37ffffff, v7
	s_mov_b32 s18, 0
                                        ; implicit-def: $vgpr7
	s_and_saveexec_b32 s19, vcc_lo
	s_delay_alu instid0(SALU_CYCLE_1)
	s_xor_b32 s19, exec_lo, s19
	s_cbranch_execnz .LBB397_27
; %bb.7:                                ;   in Loop: Header=BB397_5 Depth=1
	s_or_saveexec_b32 s19, s19
                                        ; implicit-def: $sgpr20
	s_delay_alu instid0(SALU_CYCLE_1)
	s_xor_b32 exec_lo, exec_lo, s19
	s_cbranch_execnz .LBB397_28
.LBB397_8:                              ;   in Loop: Header=BB397_5 Depth=1
	s_or_b32 exec_lo, exec_lo, s19
	v_mov_b32_e32 v3, s20
	s_and_saveexec_b32 s19, s18
.LBB397_9:                              ;   in Loop: Header=BB397_5 Depth=1
	v_lshrrev_b32_e32 v3, 24, v6
	s_delay_alu instid0(VALU_DEP_1)
	v_and_or_b32 v3, 0x80, v3, v7
.LBB397_10:                             ;   in Loop: Header=BB397_5 Depth=1
	s_or_b32 exec_lo, exec_lo, s19
.LBB397_11:                             ;   in Loop: Header=BB397_5 Depth=1
	s_delay_alu instid0(SALU_CYCLE_1) | instskip(SKIP_2) | instid1(VALU_DEP_1)
	s_or_b32 exec_lo, exec_lo, s2
	v_lshrrev_b32_e32 v6, 8, v5
	s_mov_b32 s2, exec_lo
	v_bfe_i32 v6, v6, 0, 8
	s_delay_alu instid0(VALU_DEP_1) | instskip(NEXT) | instid1(VALU_DEP_1)
	v_bfe_i32 v6, v6, 0, 16
	v_cvt_f32_i32_e32 v6, v6
	s_delay_alu instid0(VALU_DEP_1) | instskip(NEXT) | instid1(VALU_DEP_1)
	v_and_b32_e32 v7, 0x7fffffff, v6
	v_cmpx_gt_u32_e32 0x47800000, v7
	s_cbranch_execz .LBB397_17
; %bb.12:                               ;   in Loop: Header=BB397_5 Depth=1
	v_cmp_lt_u32_e32 vcc_lo, 0x37ffffff, v7
	s_mov_b32 s18, 0
                                        ; implicit-def: $vgpr7
	s_and_saveexec_b32 s19, vcc_lo
	s_delay_alu instid0(SALU_CYCLE_1)
	s_xor_b32 s19, exec_lo, s19
	s_cbranch_execnz .LBB397_29
; %bb.13:                               ;   in Loop: Header=BB397_5 Depth=1
	s_or_saveexec_b32 s19, s19
                                        ; implicit-def: $sgpr20
	s_delay_alu instid0(SALU_CYCLE_1)
	s_xor_b32 exec_lo, exec_lo, s19
	s_cbranch_execnz .LBB397_30
.LBB397_14:                             ;   in Loop: Header=BB397_5 Depth=1
	s_or_b32 exec_lo, exec_lo, s19
	v_mov_b32_e32 v4, s20
	s_and_saveexec_b32 s19, s18
.LBB397_15:                             ;   in Loop: Header=BB397_5 Depth=1
	v_lshrrev_b32_e32 v4, 24, v6
	s_delay_alu instid0(VALU_DEP_1)
	v_and_or_b32 v4, 0x80, v4, v7
.LBB397_16:                             ;   in Loop: Header=BB397_5 Depth=1
	s_or_b32 exec_lo, exec_lo, s19
.LBB397_17:                             ;   in Loop: Header=BB397_5 Depth=1
	s_delay_alu instid0(SALU_CYCLE_1) | instskip(SKIP_3) | instid1(VALU_DEP_2)
	s_or_b32 exec_lo, exec_lo, s2
	v_lshrrev_b32_e32 v6, 16, v5
	s_mov_b32 s2, exec_lo
	v_mov_b32_e32 v7, 0x80
	v_bfe_i32 v6, v6, 0, 8
	s_delay_alu instid0(VALU_DEP_1) | instskip(NEXT) | instid1(VALU_DEP_1)
	v_bfe_i32 v6, v6, 0, 16
	v_cvt_f32_i32_e32 v8, v6
	v_mov_b32_e32 v6, 0x80
	s_delay_alu instid0(VALU_DEP_2) | instskip(NEXT) | instid1(VALU_DEP_1)
	v_and_b32_e32 v9, 0x7fffffff, v8
	v_cmpx_gt_u32_e32 0x47800000, v9
	s_cbranch_execz .LBB397_23
; %bb.18:                               ;   in Loop: Header=BB397_5 Depth=1
	v_cmp_lt_u32_e32 vcc_lo, 0x37ffffff, v9
	s_mov_b32 s18, 0
                                        ; implicit-def: $vgpr9
	s_and_saveexec_b32 s19, vcc_lo
	s_delay_alu instid0(SALU_CYCLE_1)
	s_xor_b32 s19, exec_lo, s19
	s_cbranch_execnz .LBB397_31
; %bb.19:                               ;   in Loop: Header=BB397_5 Depth=1
	s_or_saveexec_b32 s19, s19
                                        ; implicit-def: $sgpr20
	s_delay_alu instid0(SALU_CYCLE_1)
	s_xor_b32 exec_lo, exec_lo, s19
	s_cbranch_execnz .LBB397_32
.LBB397_20:                             ;   in Loop: Header=BB397_5 Depth=1
	s_or_b32 exec_lo, exec_lo, s19
	v_mov_b32_e32 v7, s20
	s_and_saveexec_b32 s19, s18
.LBB397_21:                             ;   in Loop: Header=BB397_5 Depth=1
	v_lshrrev_b32_e32 v7, 24, v8
	s_delay_alu instid0(VALU_DEP_1)
	v_and_or_b32 v7, 0x80, v7, v9
.LBB397_22:                             ;   in Loop: Header=BB397_5 Depth=1
	s_or_b32 exec_lo, exec_lo, s19
.LBB397_23:                             ;   in Loop: Header=BB397_5 Depth=1
	s_delay_alu instid0(SALU_CYCLE_1) | instskip(SKIP_2) | instid1(VALU_DEP_1)
	s_or_b32 exec_lo, exec_lo, s2
	v_lshrrev_b32_e32 v5, 24, v5
	s_mov_b32 s2, exec_lo
	v_bfe_i32 v5, v5, 0, 8
	s_delay_alu instid0(VALU_DEP_1) | instskip(NEXT) | instid1(VALU_DEP_1)
	v_bfe_i32 v5, v5, 0, 16
	v_cvt_f32_i32_e32 v5, v5
	s_delay_alu instid0(VALU_DEP_1) | instskip(NEXT) | instid1(VALU_DEP_1)
	v_and_b32_e32 v8, 0x7fffffff, v5
	v_cmpx_gt_u32_e32 0x47800000, v8
	s_cbranch_execz .LBB397_4
; %bb.24:                               ;   in Loop: Header=BB397_5 Depth=1
	v_cmp_lt_u32_e32 vcc_lo, 0x37ffffff, v8
	s_mov_b32 s18, 0
                                        ; implicit-def: $vgpr8
	s_and_saveexec_b32 s19, vcc_lo
	s_delay_alu instid0(SALU_CYCLE_1)
	s_xor_b32 s19, exec_lo, s19
	s_cbranch_execnz .LBB397_33
; %bb.25:                               ;   in Loop: Header=BB397_5 Depth=1
	s_or_saveexec_b32 s19, s19
                                        ; implicit-def: $sgpr20
	s_delay_alu instid0(SALU_CYCLE_1)
	s_xor_b32 exec_lo, exec_lo, s19
	s_cbranch_execnz .LBB397_34
.LBB397_26:                             ;   in Loop: Header=BB397_5 Depth=1
	s_or_b32 exec_lo, exec_lo, s19
	v_mov_b32_e32 v6, s20
	s_and_saveexec_b32 s19, s18
	s_cbranch_execz .LBB397_3
	s_branch .LBB397_35
.LBB397_27:                             ;   in Loop: Header=BB397_5 Depth=1
	v_bfe_u32 v3, v6, 21, 1
	s_mov_b32 s18, exec_lo
	s_delay_alu instid0(VALU_DEP_1) | instskip(NEXT) | instid1(VALU_DEP_1)
	v_add3_u32 v3, v6, v3, 0x88fffff
	v_lshrrev_b32_e32 v7, 21, v3
	s_or_saveexec_b32 s19, s19
                                        ; implicit-def: $sgpr20
	s_delay_alu instid0(SALU_CYCLE_1)
	s_xor_b32 exec_lo, exec_lo, s19
	s_cbranch_execz .LBB397_8
.LBB397_28:                             ;   in Loop: Header=BB397_5 Depth=1
	v_add_f32_e64 v3, 0x42800000, |v6|
	s_and_not1_b32 s18, s18, exec_lo
	s_mov_b32 s20, 0
	s_delay_alu instid0(VALU_DEP_1) | instskip(NEXT) | instid1(VALU_DEP_1)
	v_and_b32_e32 v7, 0xff, v3
	v_cmp_ne_u32_e32 vcc_lo, 0, v7
	s_and_b32 s21, vcc_lo, exec_lo
	s_delay_alu instid0(SALU_CYCLE_1)
	s_or_b32 s18, s18, s21
	s_or_b32 exec_lo, exec_lo, s19
	v_mov_b32_e32 v3, s20
	s_and_saveexec_b32 s19, s18
	s_cbranch_execnz .LBB397_9
	s_branch .LBB397_10
.LBB397_29:                             ;   in Loop: Header=BB397_5 Depth=1
	v_bfe_u32 v4, v6, 21, 1
	s_mov_b32 s18, exec_lo
	s_delay_alu instid0(VALU_DEP_1) | instskip(NEXT) | instid1(VALU_DEP_1)
	v_add3_u32 v4, v6, v4, 0x88fffff
	v_lshrrev_b32_e32 v7, 21, v4
	s_or_saveexec_b32 s19, s19
                                        ; implicit-def: $sgpr20
	s_delay_alu instid0(SALU_CYCLE_1)
	s_xor_b32 exec_lo, exec_lo, s19
	s_cbranch_execz .LBB397_14
.LBB397_30:                             ;   in Loop: Header=BB397_5 Depth=1
	v_add_f32_e64 v4, 0x42800000, |v6|
	s_and_not1_b32 s18, s18, exec_lo
	s_mov_b32 s20, 0
	s_delay_alu instid0(VALU_DEP_1) | instskip(NEXT) | instid1(VALU_DEP_1)
	v_and_b32_e32 v7, 0xff, v4
	v_cmp_ne_u32_e32 vcc_lo, 0, v7
	s_and_b32 s21, vcc_lo, exec_lo
	s_delay_alu instid0(SALU_CYCLE_1)
	s_or_b32 s18, s18, s21
	s_or_b32 exec_lo, exec_lo, s19
	v_mov_b32_e32 v4, s20
	s_and_saveexec_b32 s19, s18
	s_cbranch_execnz .LBB397_15
	s_branch .LBB397_16
.LBB397_31:                             ;   in Loop: Header=BB397_5 Depth=1
	v_bfe_u32 v7, v8, 21, 1
	s_mov_b32 s18, exec_lo
	s_delay_alu instid0(VALU_DEP_1) | instskip(NEXT) | instid1(VALU_DEP_1)
	v_add3_u32 v7, v8, v7, 0x88fffff
	v_lshrrev_b32_e32 v9, 21, v7
	s_or_saveexec_b32 s19, s19
                                        ; implicit-def: $sgpr20
	s_delay_alu instid0(SALU_CYCLE_1)
	s_xor_b32 exec_lo, exec_lo, s19
	s_cbranch_execz .LBB397_20
.LBB397_32:                             ;   in Loop: Header=BB397_5 Depth=1
	v_add_f32_e64 v7, 0x42800000, |v8|
	s_and_not1_b32 s18, s18, exec_lo
	s_mov_b32 s20, 0
	s_delay_alu instid0(VALU_DEP_1) | instskip(NEXT) | instid1(VALU_DEP_1)
	v_and_b32_e32 v9, 0xff, v7
	v_cmp_ne_u32_e32 vcc_lo, 0, v9
	s_and_b32 s21, vcc_lo, exec_lo
	s_delay_alu instid0(SALU_CYCLE_1)
	s_or_b32 s18, s18, s21
	s_or_b32 exec_lo, exec_lo, s19
	v_mov_b32_e32 v7, s20
	s_and_saveexec_b32 s19, s18
	s_cbranch_execnz .LBB397_21
	s_branch .LBB397_22
.LBB397_33:                             ;   in Loop: Header=BB397_5 Depth=1
	v_bfe_u32 v6, v5, 21, 1
	s_mov_b32 s18, exec_lo
	s_delay_alu instid0(VALU_DEP_1) | instskip(NEXT) | instid1(VALU_DEP_1)
	v_add3_u32 v6, v5, v6, 0x88fffff
	v_lshrrev_b32_e32 v8, 21, v6
	s_or_saveexec_b32 s19, s19
                                        ; implicit-def: $sgpr20
	s_delay_alu instid0(SALU_CYCLE_1)
	s_xor_b32 exec_lo, exec_lo, s19
	s_cbranch_execz .LBB397_26
.LBB397_34:                             ;   in Loop: Header=BB397_5 Depth=1
	v_add_f32_e64 v6, 0x42800000, |v5|
	s_and_not1_b32 s18, s18, exec_lo
	s_mov_b32 s20, 0
	s_delay_alu instid0(VALU_DEP_1) | instskip(NEXT) | instid1(VALU_DEP_1)
	v_and_b32_e32 v8, 0xff, v6
	v_cmp_ne_u32_e32 vcc_lo, 0, v8
	s_and_b32 s21, vcc_lo, exec_lo
	s_delay_alu instid0(SALU_CYCLE_1)
	s_or_b32 s18, s18, s21
	s_or_b32 exec_lo, exec_lo, s19
	v_mov_b32_e32 v6, s20
	s_and_saveexec_b32 s19, s18
	s_cbranch_execz .LBB397_3
.LBB397_35:                             ;   in Loop: Header=BB397_5 Depth=1
	v_lshrrev_b32_e32 v5, 24, v5
	s_delay_alu instid0(VALU_DEP_1)
	v_and_or_b32 v6, 0x80, v5, v8
	s_branch .LBB397_3
.LBB397_36:
	s_or_b32 exec_lo, exec_lo, s15
	s_mov_b32 s2, 0
.LBB397_37:
	s_delay_alu instid0(SALU_CYCLE_1)
	s_and_not1_b32 vcc_lo, exec_lo, s2
	s_cbranch_vccnz .LBB397_89
; %bb.38:
	v_cmp_lt_i64_e64 s2, s[4:5], 1
	s_delay_alu instid0(VALU_DEP_1)
	s_and_b32 vcc_lo, exec_lo, s2
	s_cbranch_vccnz .LBB397_89
; %bb.39:
	s_load_b32 s0, s[0:1], 0xc5c
	v_add_co_u32 v1, s1, s10, v0
	s_delay_alu instid0(VALU_DEP_1) | instskip(SKIP_1) | instid1(VALU_DEP_3)
	v_add_co_ci_u32_e64 v2, null, s11, 0, s1
	v_cmp_gt_u64_e64 s1, 0x10000, s[4:5]
	v_add_co_u32 v9, vcc_lo, s6, v1
	s_delay_alu instid0(VALU_DEP_3)
	v_add_co_ci_u32_e32 v10, vcc_lo, s7, v2, vcc_lo
	v_add_co_u32 v11, vcc_lo, s8, v1
	v_add_co_ci_u32_e32 v12, vcc_lo, s9, v2, vcc_lo
                                        ; implicit-def: $vgpr31
                                        ; implicit-def: $vgpr32
                                        ; implicit-def: $vgpr33
                                        ; implicit-def: $vgpr34
	s_waitcnt lgkmcnt(0)
	s_and_b32 s0, s0, 0xffff
	s_and_b32 s1, s1, exec_lo
	s_mul_i32 s13, s0, 3
	s_cselect_b32 s3, s5, 0
	s_cselect_b32 s2, s4, 0x10000
	s_lshl_b32 s12, s0, 1
	s_lshl_b32 s1, s0, 2
	s_add_u32 s14, s10, s13
	s_addc_u32 s15, s11, 0
	v_add_co_u32 v3, s14, s14, v0
	s_delay_alu instid0(VALU_DEP_1) | instskip(SKIP_1) | instid1(VALU_DEP_2)
	v_add_co_ci_u32_e64 v4, null, s15, 0, s14
	s_add_u32 s10, s10, s12
	v_add_co_u32 v13, vcc_lo, s6, v3
	s_delay_alu instid0(VALU_DEP_2)
	v_add_co_ci_u32_e32 v14, vcc_lo, s7, v4, vcc_lo
	v_add_co_u32 v15, vcc_lo, s8, v3
	s_addc_u32 s11, s11, 0
	v_add_co_u32 v3, s10, s10, v0
	v_add_co_ci_u32_e32 v16, vcc_lo, s9, v4, vcc_lo
	v_add_co_ci_u32_e64 v4, null, s11, 0, s10
	s_delay_alu instid0(VALU_DEP_3) | instskip(SKIP_1) | instid1(VALU_DEP_3)
	v_add_co_u32 v19, vcc_lo, s6, v3
	v_add_co_u32 v17, s10, s13, v0
	v_add_co_ci_u32_e32 v20, vcc_lo, s7, v4, vcc_lo
	v_add_co_u32 v21, vcc_lo, s8, v3
	v_add_co_ci_u32_e32 v22, vcc_lo, s9, v4, vcc_lo
	v_add_co_u32 v1, vcc_lo, v1, s0
	v_add_co_ci_u32_e32 v2, vcc_lo, 0, v2, vcc_lo
	v_add_co_ci_u32_e64 v18, null, 0, 0, s10
	s_delay_alu instid0(VALU_DEP_3) | instskip(NEXT) | instid1(VALU_DEP_3)
	v_add_co_u32 v25, vcc_lo, s6, v1
	v_add_co_ci_u32_e32 v26, vcc_lo, s7, v2, vcc_lo
	v_add_co_u32 v23, s10, s12, v0
	v_add_co_u32 v27, vcc_lo, s8, v1
	v_add_co_u32 v29, s0, v0, s0
	v_add_co_ci_u32_e64 v24, null, 0, 0, s10
	v_add_co_ci_u32_e32 v28, vcc_lo, s9, v2, vcc_lo
	v_add_co_ci_u32_e64 v30, null, 0, 0, s0
	s_mov_b64 s[6:7], 0
	s_branch .LBB397_41
.LBB397_40:                             ;   in Loop: Header=BB397_41 Depth=1
	s_or_b32 exec_lo, exec_lo, s0
	s_add_u32 s6, s6, s1
	s_addc_u32 s7, s7, 0
	s_delay_alu instid0(SALU_CYCLE_1) | instskip(SKIP_1) | instid1(VALU_DEP_1)
	v_cmp_ge_i64_e64 s0, s[6:7], s[4:5]
	v_cmp_lt_u64_e64 s8, 0xffff, s[6:7]
	s_or_b32 s0, s0, s8
	s_delay_alu instid0(SALU_CYCLE_1)
	s_and_b32 vcc_lo, exec_lo, s0
	s_cbranch_vccnz .LBB397_89
.LBB397_41:                             ; =>This Inner Loop Header: Depth=1
	v_add_co_u32 v1, s0, v0, s6
	s_delay_alu instid0(VALU_DEP_1) | instskip(NEXT) | instid1(VALU_DEP_1)
	v_add_co_ci_u32_e64 v2, null, 0, s7, s0
	v_cmp_gt_i64_e32 vcc_lo, s[4:5], v[1:2]
	v_cmp_gt_u64_e64 s0, 0x10000, v[1:2]
	s_delay_alu instid0(VALU_DEP_1) | instskip(NEXT) | instid1(SALU_CYCLE_1)
	s_and_b32 s8, vcc_lo, s0
	s_and_saveexec_b32 s0, s8
	s_cbranch_execz .LBB397_43
; %bb.42:                               ;   in Loop: Header=BB397_41 Depth=1
	v_add_co_u32 v3, vcc_lo, v9, s6
	v_add_co_ci_u32_e32 v4, vcc_lo, s7, v10, vcc_lo
	global_load_u8 v31, v[3:4], off
.LBB397_43:                             ;   in Loop: Header=BB397_41 Depth=1
	s_or_b32 exec_lo, exec_lo, s0
	v_add_co_u32 v3, vcc_lo, v29, s6
	v_add_co_ci_u32_e32 v4, vcc_lo, s7, v30, vcc_lo
	s_delay_alu instid0(VALU_DEP_1) | instskip(SKIP_1) | instid1(VALU_DEP_1)
	v_cmp_gt_i64_e32 vcc_lo, s[4:5], v[3:4]
	v_cmp_gt_u64_e64 s0, 0x10000, v[3:4]
	s_and_b32 s8, vcc_lo, s0
	s_delay_alu instid0(SALU_CYCLE_1)
	s_and_saveexec_b32 s0, s8
	s_cbranch_execz .LBB397_45
; %bb.44:                               ;   in Loop: Header=BB397_41 Depth=1
	v_add_co_u32 v5, vcc_lo, v25, s6
	v_add_co_ci_u32_e32 v6, vcc_lo, s7, v26, vcc_lo
	global_load_u8 v32, v[5:6], off
.LBB397_45:                             ;   in Loop: Header=BB397_41 Depth=1
	s_or_b32 exec_lo, exec_lo, s0
	v_add_co_u32 v5, vcc_lo, v23, s6
	v_add_co_ci_u32_e32 v6, vcc_lo, s7, v24, vcc_lo
	s_delay_alu instid0(VALU_DEP_1) | instskip(SKIP_1) | instid1(VALU_DEP_1)
	v_cmp_gt_i64_e32 vcc_lo, s[4:5], v[5:6]
	v_cmp_gt_u64_e64 s0, 0x10000, v[5:6]
	s_and_b32 s8, vcc_lo, s0
	s_delay_alu instid0(SALU_CYCLE_1)
	;; [unrolled: 15-line block ×3, first 2 shown]
	s_and_saveexec_b32 s0, s8
	s_cbranch_execz .LBB397_49
; %bb.48:                               ;   in Loop: Header=BB397_41 Depth=1
	v_add_co_u32 v34, vcc_lo, v13, s6
	v_add_co_ci_u32_e32 v35, vcc_lo, s7, v14, vcc_lo
	global_load_u8 v34, v[34:35], off
.LBB397_49:                             ;   in Loop: Header=BB397_41 Depth=1
	s_or_b32 exec_lo, exec_lo, s0
	s_waitcnt vmcnt(0)
	v_bfe_i32 v35, v31, 0, 8
	s_mov_b32 s0, exec_lo
	v_mov_b32_e32 v36, 0x80
	s_delay_alu instid0(VALU_DEP_2) | instskip(NEXT) | instid1(VALU_DEP_1)
	v_bfe_i32 v35, v35, 0, 16
	v_cvt_f32_i32_e32 v37, v35
	v_mov_b32_e32 v35, 0x80
	s_delay_alu instid0(VALU_DEP_2) | instskip(NEXT) | instid1(VALU_DEP_1)
	v_and_b32_e32 v38, 0x7fffffff, v37
	v_cmpx_gt_u32_e32 0x47800000, v38
	s_cbranch_execz .LBB397_55
; %bb.50:                               ;   in Loop: Header=BB397_41 Depth=1
	v_cmp_lt_u32_e32 vcc_lo, 0x37ffffff, v38
	s_mov_b32 s8, 0
                                        ; implicit-def: $vgpr38
	s_and_saveexec_b32 s9, vcc_lo
	s_delay_alu instid0(SALU_CYCLE_1)
	s_xor_b32 s9, exec_lo, s9
	s_cbranch_execnz .LBB397_81
; %bb.51:                               ;   in Loop: Header=BB397_41 Depth=1
	s_or_saveexec_b32 s9, s9
                                        ; implicit-def: $sgpr10
	s_delay_alu instid0(SALU_CYCLE_1)
	s_xor_b32 exec_lo, exec_lo, s9
	s_cbranch_execnz .LBB397_82
.LBB397_52:                             ;   in Loop: Header=BB397_41 Depth=1
	s_or_b32 exec_lo, exec_lo, s9
	v_mov_b32_e32 v36, s10
	s_and_saveexec_b32 s9, s8
.LBB397_53:                             ;   in Loop: Header=BB397_41 Depth=1
	v_lshrrev_b32_e32 v36, 24, v37
	s_delay_alu instid0(VALU_DEP_1)
	v_and_or_b32 v36, 0x80, v36, v38
.LBB397_54:                             ;   in Loop: Header=BB397_41 Depth=1
	s_or_b32 exec_lo, exec_lo, s9
.LBB397_55:                             ;   in Loop: Header=BB397_41 Depth=1
	s_delay_alu instid0(SALU_CYCLE_1) | instskip(SKIP_2) | instid1(VALU_DEP_1)
	s_or_b32 exec_lo, exec_lo, s0
	v_bfe_i32 v37, v32, 0, 8
	s_mov_b32 s0, exec_lo
	v_bfe_i32 v37, v37, 0, 16
	s_delay_alu instid0(VALU_DEP_1) | instskip(NEXT) | instid1(VALU_DEP_1)
	v_cvt_f32_i32_e32 v37, v37
	v_and_b32_e32 v38, 0x7fffffff, v37
	s_delay_alu instid0(VALU_DEP_1)
	v_cmpx_gt_u32_e32 0x47800000, v38
	s_cbranch_execz .LBB397_61
; %bb.56:                               ;   in Loop: Header=BB397_41 Depth=1
	v_cmp_lt_u32_e32 vcc_lo, 0x37ffffff, v38
	s_mov_b32 s8, 0
                                        ; implicit-def: $vgpr38
	s_and_saveexec_b32 s9, vcc_lo
	s_delay_alu instid0(SALU_CYCLE_1)
	s_xor_b32 s9, exec_lo, s9
	s_cbranch_execnz .LBB397_83
; %bb.57:                               ;   in Loop: Header=BB397_41 Depth=1
	s_or_saveexec_b32 s9, s9
                                        ; implicit-def: $sgpr10
	s_delay_alu instid0(SALU_CYCLE_1)
	s_xor_b32 exec_lo, exec_lo, s9
	s_cbranch_execnz .LBB397_84
.LBB397_58:                             ;   in Loop: Header=BB397_41 Depth=1
	s_or_b32 exec_lo, exec_lo, s9
	v_mov_b32_e32 v35, s10
	s_and_saveexec_b32 s9, s8
.LBB397_59:                             ;   in Loop: Header=BB397_41 Depth=1
	v_lshrrev_b32_e32 v35, 24, v37
	s_delay_alu instid0(VALU_DEP_1)
	v_and_or_b32 v35, 0x80, v35, v38
.LBB397_60:                             ;   in Loop: Header=BB397_41 Depth=1
	s_or_b32 exec_lo, exec_lo, s9
.LBB397_61:                             ;   in Loop: Header=BB397_41 Depth=1
	s_delay_alu instid0(SALU_CYCLE_1) | instskip(SKIP_3) | instid1(VALU_DEP_2)
	s_or_b32 exec_lo, exec_lo, s0
	v_bfe_i32 v37, v33, 0, 8
	s_mov_b32 s0, exec_lo
	v_mov_b32_e32 v38, 0x80
	v_bfe_i32 v37, v37, 0, 16
	s_delay_alu instid0(VALU_DEP_1) | instskip(SKIP_1) | instid1(VALU_DEP_2)
	v_cvt_f32_i32_e32 v39, v37
	v_mov_b32_e32 v37, 0x80
	v_and_b32_e32 v40, 0x7fffffff, v39
	s_delay_alu instid0(VALU_DEP_1)
	v_cmpx_gt_u32_e32 0x47800000, v40
	s_cbranch_execz .LBB397_67
; %bb.62:                               ;   in Loop: Header=BB397_41 Depth=1
	v_cmp_lt_u32_e32 vcc_lo, 0x37ffffff, v40
	s_mov_b32 s8, 0
                                        ; implicit-def: $vgpr40
	s_and_saveexec_b32 s9, vcc_lo
	s_delay_alu instid0(SALU_CYCLE_1)
	s_xor_b32 s9, exec_lo, s9
	s_cbranch_execnz .LBB397_85
; %bb.63:                               ;   in Loop: Header=BB397_41 Depth=1
	s_or_saveexec_b32 s9, s9
                                        ; implicit-def: $sgpr10
	s_delay_alu instid0(SALU_CYCLE_1)
	s_xor_b32 exec_lo, exec_lo, s9
	s_cbranch_execnz .LBB397_86
.LBB397_64:                             ;   in Loop: Header=BB397_41 Depth=1
	s_or_b32 exec_lo, exec_lo, s9
	v_mov_b32_e32 v38, s10
	s_and_saveexec_b32 s9, s8
.LBB397_65:                             ;   in Loop: Header=BB397_41 Depth=1
	v_lshrrev_b32_e32 v38, 24, v39
	s_delay_alu instid0(VALU_DEP_1)
	v_and_or_b32 v38, 0x80, v38, v40
.LBB397_66:                             ;   in Loop: Header=BB397_41 Depth=1
	s_or_b32 exec_lo, exec_lo, s9
.LBB397_67:                             ;   in Loop: Header=BB397_41 Depth=1
	s_delay_alu instid0(SALU_CYCLE_1) | instskip(SKIP_2) | instid1(VALU_DEP_1)
	s_or_b32 exec_lo, exec_lo, s0
	v_bfe_i32 v39, v34, 0, 8
	s_mov_b32 s0, exec_lo
	v_bfe_i32 v39, v39, 0, 16
	s_delay_alu instid0(VALU_DEP_1) | instskip(NEXT) | instid1(VALU_DEP_1)
	v_cvt_f32_i32_e32 v39, v39
	v_and_b32_e32 v40, 0x7fffffff, v39
	s_delay_alu instid0(VALU_DEP_1)
	v_cmpx_gt_u32_e32 0x47800000, v40
	s_cbranch_execz .LBB397_73
; %bb.68:                               ;   in Loop: Header=BB397_41 Depth=1
	v_cmp_lt_u32_e32 vcc_lo, 0x37ffffff, v40
	s_mov_b32 s8, 0
                                        ; implicit-def: $vgpr40
	s_and_saveexec_b32 s9, vcc_lo
	s_delay_alu instid0(SALU_CYCLE_1)
	s_xor_b32 s9, exec_lo, s9
	s_cbranch_execnz .LBB397_87
; %bb.69:                               ;   in Loop: Header=BB397_41 Depth=1
	s_or_saveexec_b32 s9, s9
                                        ; implicit-def: $sgpr10
	s_delay_alu instid0(SALU_CYCLE_1)
	s_xor_b32 exec_lo, exec_lo, s9
	s_cbranch_execnz .LBB397_88
.LBB397_70:                             ;   in Loop: Header=BB397_41 Depth=1
	s_or_b32 exec_lo, exec_lo, s9
	v_mov_b32_e32 v37, s10
	s_and_saveexec_b32 s9, s8
.LBB397_71:                             ;   in Loop: Header=BB397_41 Depth=1
	v_lshrrev_b32_e32 v37, 24, v39
	s_delay_alu instid0(VALU_DEP_1)
	v_and_or_b32 v37, 0x80, v37, v40
.LBB397_72:                             ;   in Loop: Header=BB397_41 Depth=1
	s_or_b32 exec_lo, exec_lo, s9
.LBB397_73:                             ;   in Loop: Header=BB397_41 Depth=1
	s_delay_alu instid0(SALU_CYCLE_1) | instskip(NEXT) | instid1(SALU_CYCLE_1)
	s_or_b32 exec_lo, exec_lo, s0
	s_mov_b32 s0, exec_lo
	v_cmpx_gt_u64_e64 s[2:3], v[1:2]
	s_xor_b32 s0, exec_lo, s0
	s_cbranch_execnz .LBB397_77
; %bb.74:                               ;   in Loop: Header=BB397_41 Depth=1
	s_or_b32 exec_lo, exec_lo, s0
	s_delay_alu instid0(SALU_CYCLE_1)
	s_mov_b32 s0, exec_lo
	v_cmpx_gt_u64_e64 s[2:3], v[3:4]
	s_cbranch_execnz .LBB397_78
.LBB397_75:                             ;   in Loop: Header=BB397_41 Depth=1
	s_or_b32 exec_lo, exec_lo, s0
	s_delay_alu instid0(SALU_CYCLE_1)
	s_mov_b32 s0, exec_lo
	v_cmpx_gt_u64_e64 s[2:3], v[5:6]
	s_cbranch_execnz .LBB397_79
.LBB397_76:                             ;   in Loop: Header=BB397_41 Depth=1
	s_or_b32 exec_lo, exec_lo, s0
	s_delay_alu instid0(SALU_CYCLE_1)
	s_mov_b32 s0, exec_lo
	v_cmpx_gt_u64_e64 s[2:3], v[7:8]
	s_cbranch_execz .LBB397_40
	s_branch .LBB397_80
.LBB397_77:                             ;   in Loop: Header=BB397_41 Depth=1
	v_add_co_u32 v1, vcc_lo, v11, s6
	v_add_co_ci_u32_e32 v2, vcc_lo, s7, v12, vcc_lo
	global_store_b8 v[1:2], v36, off
	s_or_b32 exec_lo, exec_lo, s0
	s_delay_alu instid0(SALU_CYCLE_1)
	s_mov_b32 s0, exec_lo
	v_cmpx_gt_u64_e64 s[2:3], v[3:4]
	s_cbranch_execz .LBB397_75
.LBB397_78:                             ;   in Loop: Header=BB397_41 Depth=1
	v_add_co_u32 v1, vcc_lo, v27, s6
	v_add_co_ci_u32_e32 v2, vcc_lo, s7, v28, vcc_lo
	global_store_b8 v[1:2], v35, off
	s_or_b32 exec_lo, exec_lo, s0
	s_delay_alu instid0(SALU_CYCLE_1)
	s_mov_b32 s0, exec_lo
	v_cmpx_gt_u64_e64 s[2:3], v[5:6]
	s_cbranch_execz .LBB397_76
.LBB397_79:                             ;   in Loop: Header=BB397_41 Depth=1
	v_add_co_u32 v1, vcc_lo, v21, s6
	v_add_co_ci_u32_e32 v2, vcc_lo, s7, v22, vcc_lo
	global_store_b8 v[1:2], v38, off
	s_or_b32 exec_lo, exec_lo, s0
	s_delay_alu instid0(SALU_CYCLE_1)
	s_mov_b32 s0, exec_lo
	v_cmpx_gt_u64_e64 s[2:3], v[7:8]
	s_cbranch_execz .LBB397_40
.LBB397_80:                             ;   in Loop: Header=BB397_41 Depth=1
	v_add_co_u32 v1, vcc_lo, v15, s6
	v_add_co_ci_u32_e32 v2, vcc_lo, s7, v16, vcc_lo
	global_store_b8 v[1:2], v37, off
	s_branch .LBB397_40
.LBB397_81:                             ;   in Loop: Header=BB397_41 Depth=1
	v_bfe_u32 v36, v37, 21, 1
	s_mov_b32 s8, exec_lo
	s_delay_alu instid0(VALU_DEP_1) | instskip(NEXT) | instid1(VALU_DEP_1)
	v_add3_u32 v36, v37, v36, 0x88fffff
	v_lshrrev_b32_e32 v38, 21, v36
	s_or_saveexec_b32 s9, s9
                                        ; implicit-def: $sgpr10
	s_delay_alu instid0(SALU_CYCLE_1)
	s_xor_b32 exec_lo, exec_lo, s9
	s_cbranch_execz .LBB397_52
.LBB397_82:                             ;   in Loop: Header=BB397_41 Depth=1
	v_add_f32_e64 v36, 0x42800000, |v37|
	s_and_not1_b32 s8, s8, exec_lo
	s_mov_b32 s10, 0
	s_delay_alu instid0(VALU_DEP_1) | instskip(NEXT) | instid1(VALU_DEP_1)
	v_and_b32_e32 v38, 0xff, v36
	v_cmp_ne_u32_e32 vcc_lo, 0, v38
	s_and_b32 s11, vcc_lo, exec_lo
	s_delay_alu instid0(SALU_CYCLE_1)
	s_or_b32 s8, s8, s11
	s_or_b32 exec_lo, exec_lo, s9
	v_mov_b32_e32 v36, s10
	s_and_saveexec_b32 s9, s8
	s_cbranch_execnz .LBB397_53
	s_branch .LBB397_54
.LBB397_83:                             ;   in Loop: Header=BB397_41 Depth=1
	v_bfe_u32 v35, v37, 21, 1
	s_mov_b32 s8, exec_lo
	s_delay_alu instid0(VALU_DEP_1) | instskip(NEXT) | instid1(VALU_DEP_1)
	v_add3_u32 v35, v37, v35, 0x88fffff
	v_lshrrev_b32_e32 v38, 21, v35
	s_or_saveexec_b32 s9, s9
                                        ; implicit-def: $sgpr10
	s_delay_alu instid0(SALU_CYCLE_1)
	s_xor_b32 exec_lo, exec_lo, s9
	s_cbranch_execz .LBB397_58
.LBB397_84:                             ;   in Loop: Header=BB397_41 Depth=1
	v_add_f32_e64 v35, 0x42800000, |v37|
	s_and_not1_b32 s8, s8, exec_lo
	s_mov_b32 s10, 0
	s_delay_alu instid0(VALU_DEP_1) | instskip(NEXT) | instid1(VALU_DEP_1)
	v_and_b32_e32 v38, 0xff, v35
	v_cmp_ne_u32_e32 vcc_lo, 0, v38
	s_and_b32 s11, vcc_lo, exec_lo
	s_delay_alu instid0(SALU_CYCLE_1)
	s_or_b32 s8, s8, s11
	s_or_b32 exec_lo, exec_lo, s9
	v_mov_b32_e32 v35, s10
	s_and_saveexec_b32 s9, s8
	s_cbranch_execnz .LBB397_59
	s_branch .LBB397_60
.LBB397_85:                             ;   in Loop: Header=BB397_41 Depth=1
	v_bfe_u32 v38, v39, 21, 1
	s_mov_b32 s8, exec_lo
	s_delay_alu instid0(VALU_DEP_1) | instskip(NEXT) | instid1(VALU_DEP_1)
	v_add3_u32 v38, v39, v38, 0x88fffff
	v_lshrrev_b32_e32 v40, 21, v38
	s_or_saveexec_b32 s9, s9
                                        ; implicit-def: $sgpr10
	s_delay_alu instid0(SALU_CYCLE_1)
	s_xor_b32 exec_lo, exec_lo, s9
	s_cbranch_execz .LBB397_64
.LBB397_86:                             ;   in Loop: Header=BB397_41 Depth=1
	v_add_f32_e64 v38, 0x42800000, |v39|
	s_and_not1_b32 s8, s8, exec_lo
	s_mov_b32 s10, 0
	s_delay_alu instid0(VALU_DEP_1) | instskip(NEXT) | instid1(VALU_DEP_1)
	v_and_b32_e32 v40, 0xff, v38
	v_cmp_ne_u32_e32 vcc_lo, 0, v40
	s_and_b32 s11, vcc_lo, exec_lo
	s_delay_alu instid0(SALU_CYCLE_1)
	s_or_b32 s8, s8, s11
	s_or_b32 exec_lo, exec_lo, s9
	v_mov_b32_e32 v38, s10
	s_and_saveexec_b32 s9, s8
	s_cbranch_execnz .LBB397_65
	s_branch .LBB397_66
.LBB397_87:                             ;   in Loop: Header=BB397_41 Depth=1
	v_bfe_u32 v37, v39, 21, 1
	s_mov_b32 s8, exec_lo
	s_delay_alu instid0(VALU_DEP_1) | instskip(NEXT) | instid1(VALU_DEP_1)
	v_add3_u32 v37, v39, v37, 0x88fffff
	v_lshrrev_b32_e32 v40, 21, v37
	s_or_saveexec_b32 s9, s9
                                        ; implicit-def: $sgpr10
	s_delay_alu instid0(SALU_CYCLE_1)
	s_xor_b32 exec_lo, exec_lo, s9
	s_cbranch_execz .LBB397_70
.LBB397_88:                             ;   in Loop: Header=BB397_41 Depth=1
	v_add_f32_e64 v37, 0x42800000, |v39|
	s_and_not1_b32 s8, s8, exec_lo
	s_mov_b32 s10, 0
	s_delay_alu instid0(VALU_DEP_1) | instskip(NEXT) | instid1(VALU_DEP_1)
	v_and_b32_e32 v40, 0xff, v37
	v_cmp_ne_u32_e32 vcc_lo, 0, v40
	s_and_b32 s11, vcc_lo, exec_lo
	s_delay_alu instid0(SALU_CYCLE_1)
	s_or_b32 s8, s8, s11
	s_or_b32 exec_lo, exec_lo, s9
	v_mov_b32_e32 v37, s10
	s_and_saveexec_b32 s9, s8
	s_cbranch_execnz .LBB397_71
	s_branch .LBB397_72
.LBB397_89:
	s_nop 0
	s_sendmsg sendmsg(MSG_DEALLOC_VGPRS)
	s_endpgm
	.section	.rodata,"a",@progbits
	.p2align	6, 0x0
	.amdhsa_kernel _ZN2at6native12_GLOBAL__N_125multi_tensor_apply_kernelINS1_18TensorListMetadataILi2EEENS1_11CopyFunctorIN3c1015Float8_e5m2fnuzEaLi2ELi1ELi1EEEJNS0_4CopyIS7_aEEEEEvT_T0_DpT1_
		.amdhsa_group_segment_fixed_size 0
		.amdhsa_private_segment_fixed_size 0
		.amdhsa_kernarg_size 3408
		.amdhsa_user_sgpr_count 15
		.amdhsa_user_sgpr_dispatch_ptr 0
		.amdhsa_user_sgpr_queue_ptr 0
		.amdhsa_user_sgpr_kernarg_segment_ptr 1
		.amdhsa_user_sgpr_dispatch_id 0
		.amdhsa_user_sgpr_private_segment_size 0
		.amdhsa_wavefront_size32 1
		.amdhsa_uses_dynamic_stack 0
		.amdhsa_enable_private_segment 0
		.amdhsa_system_sgpr_workgroup_id_x 1
		.amdhsa_system_sgpr_workgroup_id_y 0
		.amdhsa_system_sgpr_workgroup_id_z 0
		.amdhsa_system_sgpr_workgroup_info 0
		.amdhsa_system_vgpr_workitem_id 0
		.amdhsa_next_free_vgpr 41
		.amdhsa_next_free_sgpr 22
		.amdhsa_reserve_vcc 1
		.amdhsa_float_round_mode_32 0
		.amdhsa_float_round_mode_16_64 0
		.amdhsa_float_denorm_mode_32 3
		.amdhsa_float_denorm_mode_16_64 3
		.amdhsa_dx10_clamp 1
		.amdhsa_ieee_mode 1
		.amdhsa_fp16_overflow 0
		.amdhsa_workgroup_processor_mode 1
		.amdhsa_memory_ordered 1
		.amdhsa_forward_progress 0
		.amdhsa_shared_vgpr_count 0
		.amdhsa_exception_fp_ieee_invalid_op 0
		.amdhsa_exception_fp_denorm_src 0
		.amdhsa_exception_fp_ieee_div_zero 0
		.amdhsa_exception_fp_ieee_overflow 0
		.amdhsa_exception_fp_ieee_underflow 0
		.amdhsa_exception_fp_ieee_inexact 0
		.amdhsa_exception_int_div_zero 0
	.end_amdhsa_kernel
	.section	.text._ZN2at6native12_GLOBAL__N_125multi_tensor_apply_kernelINS1_18TensorListMetadataILi2EEENS1_11CopyFunctorIN3c1015Float8_e5m2fnuzEaLi2ELi1ELi1EEEJNS0_4CopyIS7_aEEEEEvT_T0_DpT1_,"axG",@progbits,_ZN2at6native12_GLOBAL__N_125multi_tensor_apply_kernelINS1_18TensorListMetadataILi2EEENS1_11CopyFunctorIN3c1015Float8_e5m2fnuzEaLi2ELi1ELi1EEEJNS0_4CopyIS7_aEEEEEvT_T0_DpT1_,comdat
.Lfunc_end397:
	.size	_ZN2at6native12_GLOBAL__N_125multi_tensor_apply_kernelINS1_18TensorListMetadataILi2EEENS1_11CopyFunctorIN3c1015Float8_e5m2fnuzEaLi2ELi1ELi1EEEJNS0_4CopyIS7_aEEEEEvT_T0_DpT1_, .Lfunc_end397-_ZN2at6native12_GLOBAL__N_125multi_tensor_apply_kernelINS1_18TensorListMetadataILi2EEENS1_11CopyFunctorIN3c1015Float8_e5m2fnuzEaLi2ELi1ELi1EEEJNS0_4CopyIS7_aEEEEEvT_T0_DpT1_
                                        ; -- End function
	.section	.AMDGPU.csdata,"",@progbits
; Kernel info:
; codeLenInByte = 3464
; NumSgprs: 24
; NumVgprs: 41
; ScratchSize: 0
; MemoryBound: 0
; FloatMode: 240
; IeeeMode: 1
; LDSByteSize: 0 bytes/workgroup (compile time only)
; SGPRBlocks: 2
; VGPRBlocks: 5
; NumSGPRsForWavesPerEU: 24
; NumVGPRsForWavesPerEU: 41
; Occupancy: 16
; WaveLimiterHint : 0
; COMPUTE_PGM_RSRC2:SCRATCH_EN: 0
; COMPUTE_PGM_RSRC2:USER_SGPR: 15
; COMPUTE_PGM_RSRC2:TRAP_HANDLER: 0
; COMPUTE_PGM_RSRC2:TGID_X_EN: 1
; COMPUTE_PGM_RSRC2:TGID_Y_EN: 0
; COMPUTE_PGM_RSRC2:TGID_Z_EN: 0
; COMPUTE_PGM_RSRC2:TIDIG_COMP_CNT: 0
	.section	.text._ZN2at6native12_GLOBAL__N_125multi_tensor_apply_kernelINS1_18TensorListMetadataILi2EEENS1_11CopyFunctorIN3c1015Float8_e5m2fnuzElLi2ELi1ELi1EEEJNS0_4CopyIS7_lEEEEEvT_T0_DpT1_,"axG",@progbits,_ZN2at6native12_GLOBAL__N_125multi_tensor_apply_kernelINS1_18TensorListMetadataILi2EEENS1_11CopyFunctorIN3c1015Float8_e5m2fnuzElLi2ELi1ELi1EEEJNS0_4CopyIS7_lEEEEEvT_T0_DpT1_,comdat
	.globl	_ZN2at6native12_GLOBAL__N_125multi_tensor_apply_kernelINS1_18TensorListMetadataILi2EEENS1_11CopyFunctorIN3c1015Float8_e5m2fnuzElLi2ELi1ELi1EEEJNS0_4CopyIS7_lEEEEEvT_T0_DpT1_ ; -- Begin function _ZN2at6native12_GLOBAL__N_125multi_tensor_apply_kernelINS1_18TensorListMetadataILi2EEENS1_11CopyFunctorIN3c1015Float8_e5m2fnuzElLi2ELi1ELi1EEEJNS0_4CopyIS7_lEEEEEvT_T0_DpT1_
	.p2align	8
	.type	_ZN2at6native12_GLOBAL__N_125multi_tensor_apply_kernelINS1_18TensorListMetadataILi2EEENS1_11CopyFunctorIN3c1015Float8_e5m2fnuzElLi2ELi1ELi1EEEJNS0_4CopyIS7_lEEEEEvT_T0_DpT1_,@function
_ZN2at6native12_GLOBAL__N_125multi_tensor_apply_kernelINS1_18TensorListMetadataILi2EEENS1_11CopyFunctorIN3c1015Float8_e5m2fnuzElLi2ELi1ELi1EEEJNS0_4CopyIS7_lEEEEEvT_T0_DpT1_: ; @_ZN2at6native12_GLOBAL__N_125multi_tensor_apply_kernelINS1_18TensorListMetadataILi2EEENS1_11CopyFunctorIN3c1015Float8_e5m2fnuzElLi2ELi1ELi1EEEJNS0_4CopyIS7_lEEEEEvT_T0_DpT1_
; %bb.0:
	v_mov_b32_e32 v1, s15
	s_add_u32 s2, s0, s15
	s_mul_i32 s4, s15, 3
	s_addc_u32 s3, s1, 0
	s_mul_hi_u32 s5, s15, 3
	global_load_u8 v1, v1, s[0:1] offset:1536
	s_add_u32 s2, s2, s4
	s_addc_u32 s3, s3, s5
	s_mov_b32 s17, 0
	s_load_b32 s10, s[2:3], 0x740
	s_waitcnt lgkmcnt(0)
	s_ashr_i32 s11, s10, 31
	s_delay_alu instid0(SALU_CYCLE_1) | instskip(SKIP_2) | instid1(VALU_DEP_1)
	s_lshl_b64 s[8:9], s[10:11], 16
	s_waitcnt vmcnt(0)
	v_readfirstlane_b32 s4, v1
	s_lshl_b32 s4, s4, 3
	s_clause 0x2
	s_load_b64 s[6:7], s[0:1], s4 offset:0x200
	s_load_b64 s[2:3], s[0:1], s4 offset:0x400
	;; [unrolled: 1-line block ×3, first 2 shown]
	s_waitcnt lgkmcnt(0)
	s_add_u32 s14, s6, s8
	s_addc_u32 s15, s7, s9
	s_delay_alu instid0(SALU_CYCLE_1) | instskip(SKIP_2) | instid1(SALU_CYCLE_1)
	s_or_b64 s[4:5], s[2:3], s[14:15]
	s_and_b32 s5, s12, 31
	s_and_b32 s4, s4, 3
	s_or_b32 s16, s4, s5
	s_sub_u32 s4, s2, s8
	s_subb_u32 s5, s3, s9
	s_cmp_eq_u64 s[16:17], 0
	s_mov_b32 s2, -1
	s_cbranch_scc0 .LBB398_37
; %bb.1:
	v_dual_mov_b32 v10, 0 :: v_dual_lshlrev_b32 v9, 2, v0
	s_mov_b32 s3, exec_lo
	s_delay_alu instid0(VALU_DEP_1)
	v_cmpx_gt_i64_e64 s[4:5], v[9:10]
	s_cbranch_execz .LBB398_36
; %bb.2:
	s_load_b32 s2, s[0:1], 0xc5c
	v_lshlrev_b32_e32 v1, 5, v0
	s_lshl_b64 s[18:19], s[10:11], 19
	s_waitcnt lgkmcnt(0)
	s_and_b32 s2, s2, 0xffff
	s_delay_alu instid0(SALU_CYCLE_1) | instskip(SKIP_3) | instid1(VALU_DEP_1)
	s_lshl_b32 s16, s2, 2
	s_add_u32 s17, s12, s18
	s_addc_u32 s18, s13, s19
	v_add_co_u32 v11, s17, s17, v1
	v_add_co_ci_u32_e64 v12, null, s18, 0, s17
	s_mov_b32 s17, 0
	s_lshl_b32 s18, s2, 5
	s_branch .LBB398_5
.LBB398_3:                              ;   in Loop: Header=BB398_5 Depth=1
	s_or_b32 exec_lo, exec_lo, s20
.LBB398_4:                              ;   in Loop: Header=BB398_5 Depth=1
	s_delay_alu instid0(SALU_CYCLE_1)
	s_or_b32 exec_lo, exec_lo, s2
	v_add_co_u32 v3, vcc_lo, s14, v9
	v_add_co_ci_u32_e32 v4, vcc_lo, s15, v10, vcc_lo
	v_add_co_u32 v9, vcc_lo, s16, v9
	v_add_co_ci_u32_e32 v10, vcc_lo, 0, v10, vcc_lo
	v_lshlrev_b32_e32 v2, 16, v2
	v_lshlrev_b32_e32 v6, 8, v6
	v_and_b32_e32 v5, 0xff, v5
	s_delay_alu instid0(VALU_DEP_4) | instskip(SKIP_3) | instid1(VALU_DEP_3)
	v_cmp_le_i64_e32 vcc_lo, s[4:5], v[9:10]
	v_cmp_lt_u64_e64 s2, 0xffff, v[9:10]
	v_perm_b32 v1, v1, v2, 0x4020c0c
	v_and_b32_e32 v2, 0xff00, v6
	s_or_b32 s2, vcc_lo, s2
	v_add_co_u32 v11, vcc_lo, v11, s18
	s_delay_alu instid0(VALU_DEP_2) | instskip(SKIP_2) | instid1(SALU_CYCLE_1)
	v_or3_b32 v1, v1, v2, v5
	v_add_co_ci_u32_e32 v12, vcc_lo, 0, v12, vcc_lo
	s_and_b32 s2, exec_lo, s2
	s_or_b32 s17, s2, s17
	global_store_b32 v[3:4], v1, off
	s_and_not1_b32 exec_lo, exec_lo, s17
	s_cbranch_execz .LBB398_36
.LBB398_5:                              ; =>This Inner Loop Header: Depth=1
	s_clause 0x1
	global_load_b128 v[5:8], v[11:12], off
	global_load_b128 v[1:4], v[11:12], off offset:16
	s_mov_b32 s2, exec_lo
	s_waitcnt vmcnt(1)
	v_xor_b32_e32 v13, v5, v6
	v_cls_i32_e32 v14, v6
	s_delay_alu instid0(VALU_DEP_2) | instskip(NEXT) | instid1(VALU_DEP_2)
	v_ashrrev_i32_e32 v13, 31, v13
	v_add_nc_u32_e32 v14, -1, v14
	s_delay_alu instid0(VALU_DEP_2) | instskip(NEXT) | instid1(VALU_DEP_1)
	v_add_nc_u32_e32 v13, 32, v13
	v_min_u32_e32 v13, v14, v13
	s_delay_alu instid0(VALU_DEP_1) | instskip(NEXT) | instid1(VALU_DEP_1)
	v_lshlrev_b64 v[5:6], v13, v[5:6]
	v_min_u32_e32 v5, 1, v5
	s_delay_alu instid0(VALU_DEP_1) | instskip(SKIP_1) | instid1(VALU_DEP_2)
	v_or_b32_e32 v5, v6, v5
	v_sub_nc_u32_e32 v6, 32, v13
	v_cvt_f32_i32_e32 v5, v5
	s_delay_alu instid0(VALU_DEP_1) | instskip(SKIP_1) | instid1(VALU_DEP_2)
	v_ldexp_f32 v13, v5, v6
	v_dual_mov_b32 v6, 0x80 :: v_dual_mov_b32 v5, 0x80
	v_and_b32_e32 v14, 0x7fffffff, v13
	s_delay_alu instid0(VALU_DEP_1)
	v_cmpx_gt_u32_e32 0x47800000, v14
	s_cbranch_execz .LBB398_11
; %bb.6:                                ;   in Loop: Header=BB398_5 Depth=1
	v_cmp_lt_u32_e32 vcc_lo, 0x37ffffff, v14
	s_mov_b32 s19, 0
                                        ; implicit-def: $vgpr14
	s_and_saveexec_b32 s20, vcc_lo
	s_delay_alu instid0(SALU_CYCLE_1)
	s_xor_b32 s20, exec_lo, s20
	s_cbranch_execnz .LBB398_27
; %bb.7:                                ;   in Loop: Header=BB398_5 Depth=1
	s_or_saveexec_b32 s20, s20
                                        ; implicit-def: $sgpr21
	s_delay_alu instid0(SALU_CYCLE_1)
	s_xor_b32 exec_lo, exec_lo, s20
	s_cbranch_execnz .LBB398_28
.LBB398_8:                              ;   in Loop: Header=BB398_5 Depth=1
	s_or_b32 exec_lo, exec_lo, s20
	v_mov_b32_e32 v5, s21
	s_and_saveexec_b32 s20, s19
.LBB398_9:                              ;   in Loop: Header=BB398_5 Depth=1
	v_lshrrev_b32_e32 v5, 24, v13
	s_delay_alu instid0(VALU_DEP_1)
	v_and_or_b32 v5, 0x80, v5, v14
.LBB398_10:                             ;   in Loop: Header=BB398_5 Depth=1
	s_or_b32 exec_lo, exec_lo, s20
.LBB398_11:                             ;   in Loop: Header=BB398_5 Depth=1
	s_delay_alu instid0(SALU_CYCLE_1) | instskip(SKIP_3) | instid1(VALU_DEP_2)
	s_or_b32 exec_lo, exec_lo, s2
	v_xor_b32_e32 v13, v7, v8
	v_cls_i32_e32 v14, v8
	s_mov_b32 s2, exec_lo
	v_ashrrev_i32_e32 v13, 31, v13
	s_delay_alu instid0(VALU_DEP_2) | instskip(NEXT) | instid1(VALU_DEP_2)
	v_add_nc_u32_e32 v14, -1, v14
	v_add_nc_u32_e32 v13, 32, v13
	s_delay_alu instid0(VALU_DEP_1) | instskip(NEXT) | instid1(VALU_DEP_1)
	v_min_u32_e32 v13, v14, v13
	v_lshlrev_b64 v[7:8], v13, v[7:8]
	s_delay_alu instid0(VALU_DEP_1) | instskip(NEXT) | instid1(VALU_DEP_1)
	v_min_u32_e32 v7, 1, v7
	v_or_b32_e32 v7, v8, v7
	v_sub_nc_u32_e32 v8, 32, v13
	s_delay_alu instid0(VALU_DEP_2) | instskip(NEXT) | instid1(VALU_DEP_1)
	v_cvt_f32_i32_e32 v7, v7
	v_ldexp_f32 v7, v7, v8
	s_delay_alu instid0(VALU_DEP_1) | instskip(NEXT) | instid1(VALU_DEP_1)
	v_and_b32_e32 v8, 0x7fffffff, v7
	v_cmpx_gt_u32_e32 0x47800000, v8
	s_cbranch_execz .LBB398_17
; %bb.12:                               ;   in Loop: Header=BB398_5 Depth=1
	v_cmp_lt_u32_e32 vcc_lo, 0x37ffffff, v8
	s_mov_b32 s19, 0
                                        ; implicit-def: $vgpr8
	s_and_saveexec_b32 s20, vcc_lo
	s_delay_alu instid0(SALU_CYCLE_1)
	s_xor_b32 s20, exec_lo, s20
	s_cbranch_execnz .LBB398_29
; %bb.13:                               ;   in Loop: Header=BB398_5 Depth=1
	s_or_saveexec_b32 s20, s20
                                        ; implicit-def: $sgpr21
	s_delay_alu instid0(SALU_CYCLE_1)
	s_xor_b32 exec_lo, exec_lo, s20
	s_cbranch_execnz .LBB398_30
.LBB398_14:                             ;   in Loop: Header=BB398_5 Depth=1
	s_or_b32 exec_lo, exec_lo, s20
	v_mov_b32_e32 v6, s21
	s_and_saveexec_b32 s20, s19
.LBB398_15:                             ;   in Loop: Header=BB398_5 Depth=1
	v_lshrrev_b32_e32 v6, 24, v7
	s_delay_alu instid0(VALU_DEP_1)
	v_and_or_b32 v6, 0x80, v6, v8
.LBB398_16:                             ;   in Loop: Header=BB398_5 Depth=1
	s_or_b32 exec_lo, exec_lo, s20
.LBB398_17:                             ;   in Loop: Header=BB398_5 Depth=1
	s_delay_alu instid0(SALU_CYCLE_1) | instskip(SKIP_4) | instid1(VALU_DEP_2)
	s_or_b32 exec_lo, exec_lo, s2
	s_waitcnt vmcnt(0)
	v_xor_b32_e32 v7, v1, v2
	v_cls_i32_e32 v8, v2
	s_mov_b32 s2, exec_lo
	v_ashrrev_i32_e32 v7, 31, v7
	s_delay_alu instid0(VALU_DEP_2) | instskip(NEXT) | instid1(VALU_DEP_2)
	v_add_nc_u32_e32 v8, -1, v8
	v_add_nc_u32_e32 v7, 32, v7
	s_delay_alu instid0(VALU_DEP_1) | instskip(NEXT) | instid1(VALU_DEP_1)
	v_min_u32_e32 v7, v8, v7
	v_lshlrev_b64 v[1:2], v7, v[1:2]
	s_delay_alu instid0(VALU_DEP_1) | instskip(NEXT) | instid1(VALU_DEP_1)
	v_min_u32_e32 v1, 1, v1
	v_or_b32_e32 v1, v2, v1
	v_sub_nc_u32_e32 v2, 32, v7
	s_delay_alu instid0(VALU_DEP_2) | instskip(NEXT) | instid1(VALU_DEP_1)
	v_cvt_f32_i32_e32 v1, v1
	v_ldexp_f32 v7, v1, v2
	v_dual_mov_b32 v2, 0x80 :: v_dual_mov_b32 v1, 0x80
	s_delay_alu instid0(VALU_DEP_2) | instskip(NEXT) | instid1(VALU_DEP_1)
	v_and_b32_e32 v8, 0x7fffffff, v7
	v_cmpx_gt_u32_e32 0x47800000, v8
	s_cbranch_execz .LBB398_23
; %bb.18:                               ;   in Loop: Header=BB398_5 Depth=1
	v_cmp_lt_u32_e32 vcc_lo, 0x37ffffff, v8
	s_mov_b32 s19, 0
                                        ; implicit-def: $vgpr8
	s_and_saveexec_b32 s20, vcc_lo
	s_delay_alu instid0(SALU_CYCLE_1)
	s_xor_b32 s20, exec_lo, s20
	s_cbranch_execnz .LBB398_31
; %bb.19:                               ;   in Loop: Header=BB398_5 Depth=1
	s_or_saveexec_b32 s20, s20
                                        ; implicit-def: $sgpr21
	s_delay_alu instid0(SALU_CYCLE_1)
	s_xor_b32 exec_lo, exec_lo, s20
	s_cbranch_execnz .LBB398_32
.LBB398_20:                             ;   in Loop: Header=BB398_5 Depth=1
	s_or_b32 exec_lo, exec_lo, s20
	v_mov_b32_e32 v2, s21
	s_and_saveexec_b32 s20, s19
.LBB398_21:                             ;   in Loop: Header=BB398_5 Depth=1
	v_lshrrev_b32_e32 v2, 24, v7
	s_delay_alu instid0(VALU_DEP_1)
	v_and_or_b32 v2, 0x80, v2, v8
.LBB398_22:                             ;   in Loop: Header=BB398_5 Depth=1
	s_or_b32 exec_lo, exec_lo, s20
.LBB398_23:                             ;   in Loop: Header=BB398_5 Depth=1
	s_delay_alu instid0(SALU_CYCLE_1) | instskip(SKIP_3) | instid1(VALU_DEP_2)
	s_or_b32 exec_lo, exec_lo, s2
	v_xor_b32_e32 v7, v3, v4
	v_cls_i32_e32 v8, v4
	s_mov_b32 s2, exec_lo
	v_ashrrev_i32_e32 v7, 31, v7
	s_delay_alu instid0(VALU_DEP_2) | instskip(NEXT) | instid1(VALU_DEP_2)
	v_add_nc_u32_e32 v8, -1, v8
	v_add_nc_u32_e32 v7, 32, v7
	s_delay_alu instid0(VALU_DEP_1) | instskip(NEXT) | instid1(VALU_DEP_1)
	v_min_u32_e32 v7, v8, v7
	v_lshlrev_b64 v[3:4], v7, v[3:4]
	s_delay_alu instid0(VALU_DEP_1) | instskip(NEXT) | instid1(VALU_DEP_1)
	v_min_u32_e32 v3, 1, v3
	v_or_b32_e32 v3, v4, v3
	v_sub_nc_u32_e32 v4, 32, v7
	s_delay_alu instid0(VALU_DEP_2) | instskip(NEXT) | instid1(VALU_DEP_1)
	v_cvt_f32_i32_e32 v3, v3
	v_ldexp_f32 v3, v3, v4
	s_delay_alu instid0(VALU_DEP_1) | instskip(NEXT) | instid1(VALU_DEP_1)
	v_and_b32_e32 v4, 0x7fffffff, v3
	v_cmpx_gt_u32_e32 0x47800000, v4
	s_cbranch_execz .LBB398_4
; %bb.24:                               ;   in Loop: Header=BB398_5 Depth=1
	v_cmp_lt_u32_e32 vcc_lo, 0x37ffffff, v4
	s_mov_b32 s19, 0
                                        ; implicit-def: $vgpr4
	s_and_saveexec_b32 s20, vcc_lo
	s_delay_alu instid0(SALU_CYCLE_1)
	s_xor_b32 s20, exec_lo, s20
	s_cbranch_execnz .LBB398_33
; %bb.25:                               ;   in Loop: Header=BB398_5 Depth=1
	s_or_saveexec_b32 s20, s20
                                        ; implicit-def: $sgpr21
	s_delay_alu instid0(SALU_CYCLE_1)
	s_xor_b32 exec_lo, exec_lo, s20
	s_cbranch_execnz .LBB398_34
.LBB398_26:                             ;   in Loop: Header=BB398_5 Depth=1
	s_or_b32 exec_lo, exec_lo, s20
	v_mov_b32_e32 v1, s21
	s_and_saveexec_b32 s20, s19
	s_cbranch_execz .LBB398_3
	s_branch .LBB398_35
.LBB398_27:                             ;   in Loop: Header=BB398_5 Depth=1
	v_bfe_u32 v5, v13, 21, 1
	s_mov_b32 s19, exec_lo
	s_delay_alu instid0(VALU_DEP_1) | instskip(NEXT) | instid1(VALU_DEP_1)
	v_add3_u32 v5, v13, v5, 0x88fffff
	v_lshrrev_b32_e32 v14, 21, v5
	s_or_saveexec_b32 s20, s20
                                        ; implicit-def: $sgpr21
	s_delay_alu instid0(SALU_CYCLE_1)
	s_xor_b32 exec_lo, exec_lo, s20
	s_cbranch_execz .LBB398_8
.LBB398_28:                             ;   in Loop: Header=BB398_5 Depth=1
	v_add_f32_e64 v5, 0x42800000, |v13|
	s_and_not1_b32 s19, s19, exec_lo
	s_mov_b32 s21, 0
	s_delay_alu instid0(VALU_DEP_1) | instskip(NEXT) | instid1(VALU_DEP_1)
	v_and_b32_e32 v14, 0xff, v5
	v_cmp_ne_u32_e32 vcc_lo, 0, v14
	s_and_b32 s22, vcc_lo, exec_lo
	s_delay_alu instid0(SALU_CYCLE_1)
	s_or_b32 s19, s19, s22
	s_or_b32 exec_lo, exec_lo, s20
	v_mov_b32_e32 v5, s21
	s_and_saveexec_b32 s20, s19
	s_cbranch_execnz .LBB398_9
	s_branch .LBB398_10
.LBB398_29:                             ;   in Loop: Header=BB398_5 Depth=1
	v_bfe_u32 v6, v7, 21, 1
	s_mov_b32 s19, exec_lo
	s_delay_alu instid0(VALU_DEP_1) | instskip(NEXT) | instid1(VALU_DEP_1)
	v_add3_u32 v6, v7, v6, 0x88fffff
	v_lshrrev_b32_e32 v8, 21, v6
	s_or_saveexec_b32 s20, s20
                                        ; implicit-def: $sgpr21
	s_delay_alu instid0(SALU_CYCLE_1)
	s_xor_b32 exec_lo, exec_lo, s20
	s_cbranch_execz .LBB398_14
.LBB398_30:                             ;   in Loop: Header=BB398_5 Depth=1
	v_add_f32_e64 v6, 0x42800000, |v7|
	s_and_not1_b32 s19, s19, exec_lo
	s_mov_b32 s21, 0
	s_delay_alu instid0(VALU_DEP_1) | instskip(NEXT) | instid1(VALU_DEP_1)
	v_and_b32_e32 v8, 0xff, v6
	v_cmp_ne_u32_e32 vcc_lo, 0, v8
	s_and_b32 s22, vcc_lo, exec_lo
	s_delay_alu instid0(SALU_CYCLE_1)
	s_or_b32 s19, s19, s22
	s_or_b32 exec_lo, exec_lo, s20
	v_mov_b32_e32 v6, s21
	s_and_saveexec_b32 s20, s19
	s_cbranch_execnz .LBB398_15
	s_branch .LBB398_16
.LBB398_31:                             ;   in Loop: Header=BB398_5 Depth=1
	v_bfe_u32 v2, v7, 21, 1
	s_mov_b32 s19, exec_lo
	s_delay_alu instid0(VALU_DEP_1) | instskip(NEXT) | instid1(VALU_DEP_1)
	v_add3_u32 v2, v7, v2, 0x88fffff
	v_lshrrev_b32_e32 v8, 21, v2
	s_or_saveexec_b32 s20, s20
                                        ; implicit-def: $sgpr21
	s_delay_alu instid0(SALU_CYCLE_1)
	s_xor_b32 exec_lo, exec_lo, s20
	s_cbranch_execz .LBB398_20
.LBB398_32:                             ;   in Loop: Header=BB398_5 Depth=1
	v_add_f32_e64 v2, 0x42800000, |v7|
	s_and_not1_b32 s19, s19, exec_lo
	s_mov_b32 s21, 0
	s_delay_alu instid0(VALU_DEP_1) | instskip(NEXT) | instid1(VALU_DEP_1)
	v_and_b32_e32 v8, 0xff, v2
	v_cmp_ne_u32_e32 vcc_lo, 0, v8
	s_and_b32 s22, vcc_lo, exec_lo
	s_delay_alu instid0(SALU_CYCLE_1)
	s_or_b32 s19, s19, s22
	s_or_b32 exec_lo, exec_lo, s20
	v_mov_b32_e32 v2, s21
	s_and_saveexec_b32 s20, s19
	s_cbranch_execnz .LBB398_21
	s_branch .LBB398_22
.LBB398_33:                             ;   in Loop: Header=BB398_5 Depth=1
	v_bfe_u32 v1, v3, 21, 1
	s_mov_b32 s19, exec_lo
	s_delay_alu instid0(VALU_DEP_1) | instskip(NEXT) | instid1(VALU_DEP_1)
	v_add3_u32 v1, v3, v1, 0x88fffff
	v_lshrrev_b32_e32 v4, 21, v1
	s_or_saveexec_b32 s20, s20
                                        ; implicit-def: $sgpr21
	s_delay_alu instid0(SALU_CYCLE_1)
	s_xor_b32 exec_lo, exec_lo, s20
	s_cbranch_execz .LBB398_26
.LBB398_34:                             ;   in Loop: Header=BB398_5 Depth=1
	v_add_f32_e64 v1, 0x42800000, |v3|
	s_and_not1_b32 s19, s19, exec_lo
	s_mov_b32 s21, 0
	s_delay_alu instid0(VALU_DEP_1) | instskip(NEXT) | instid1(VALU_DEP_1)
	v_and_b32_e32 v4, 0xff, v1
	v_cmp_ne_u32_e32 vcc_lo, 0, v4
	s_and_b32 s22, vcc_lo, exec_lo
	s_delay_alu instid0(SALU_CYCLE_1)
	s_or_b32 s19, s19, s22
	s_or_b32 exec_lo, exec_lo, s20
	v_mov_b32_e32 v1, s21
	s_and_saveexec_b32 s20, s19
	s_cbranch_execz .LBB398_3
.LBB398_35:                             ;   in Loop: Header=BB398_5 Depth=1
	v_lshrrev_b32_e32 v1, 24, v3
	s_delay_alu instid0(VALU_DEP_1)
	v_and_or_b32 v1, 0x80, v1, v4
	s_branch .LBB398_3
.LBB398_36:
	s_or_b32 exec_lo, exec_lo, s3
	s_mov_b32 s2, 0
.LBB398_37:
	s_delay_alu instid0(SALU_CYCLE_1)
	s_and_not1_b32 vcc_lo, exec_lo, s2
	s_cbranch_vccnz .LBB398_89
; %bb.38:
	v_cmp_lt_i64_e64 s2, s[4:5], 1
	s_delay_alu instid0(VALU_DEP_1)
	s_and_b32 vcc_lo, exec_lo, s2
	s_cbranch_vccnz .LBB398_89
; %bb.39:
	s_load_b32 s0, s[0:1], 0xc5c
	v_cmp_gt_u64_e64 s1, 0x10000, s[4:5]
	v_add_co_u32 v5, s2, s8, v0
	v_lshlrev_b32_e32 v1, 3, v0
	v_add_co_ci_u32_e64 v6, null, s9, 0, s2
	s_delay_alu instid0(VALU_DEP_3) | instskip(NEXT) | instid1(VALU_DEP_2)
	v_add_co_u32 v21, vcc_lo, s6, v5
                                        ; implicit-def: $vgpr9_vgpr10
                                        ; implicit-def: $vgpr11_vgpr12
                                        ; implicit-def: $vgpr7_vgpr8
	v_add_co_ci_u32_e32 v22, vcc_lo, s7, v6, vcc_lo
	s_waitcnt lgkmcnt(0)
	s_and_b32 s0, s0, 0xffff
	s_and_b32 s1, s1, exec_lo
	s_cselect_b32 s3, s5, 0
	s_cselect_b32 s2, s4, 0x10000
	s_lshl_b64 s[10:11], s[10:11], 19
	s_lshl_b32 s14, s0, 1
	s_lshl_b32 s1, s0, 2
	s_add_u32 s12, s12, s10
	s_mul_i32 s15, s0, 3
	s_addc_u32 s13, s13, s11
	s_lshl_b32 s10, s0, 5
	v_add_co_u32 v1, s16, s12, v1
	s_add_u32 s11, s8, s15
	v_add_co_ci_u32_e64 v2, null, s13, 0, s16
	s_addc_u32 s16, s9, 0
	s_add_u32 s11, s6, s11
	s_addc_u32 s16, s7, s16
	v_add_co_u32 v23, s11, s11, v0
	s_delay_alu instid0(VALU_DEP_1)
	v_add_co_ci_u32_e64 v24, null, s16, 0, s11
	v_add_co_u32 v25, s11, s15, v0
	v_add_co_u32 v27, s15, v0, s0
	v_add_co_ci_u32_e64 v26, null, 0, 0, s11
	s_lshl_b32 s11, s0, 4
	s_add_u32 s8, s8, s14
	s_addc_u32 s9, s9, 0
	s_add_u32 s8, s6, s8
	v_lshlrev_b32_e32 v3, 3, v27
	s_addc_u32 s9, s7, s9
	v_add_co_u32 v28, s8, s8, v0
	s_delay_alu instid0(VALU_DEP_1)
	v_add_co_ci_u32_e64 v29, null, s9, 0, s8
	v_add_co_u32 v31, s8, s14, v0
	s_add_u32 s6, s6, s0
	v_add_co_ci_u32_e64 v32, null, 0, 0, s8
	v_add_co_u32 v3, s8, s12, v3
	s_addc_u32 s7, s7, 0
	v_add_co_u32 v33, vcc_lo, s6, v5
	v_add_co_ci_u32_e64 v30, null, 0, 0, s15
	v_add_co_ci_u32_e64 v4, null, s13, 0, s8
	v_add_co_ci_u32_e32 v34, vcc_lo, s7, v6, vcc_lo
	s_mul_i32 s8, s0, 24
	s_mov_b64 s[6:7], 0
                                        ; implicit-def: $vgpr5_vgpr6
	s_branch .LBB398_41
.LBB398_40:                             ;   in Loop: Header=BB398_41 Depth=1
	s_or_b32 exec_lo, exec_lo, s0
	s_add_u32 s6, s6, s1
	s_addc_u32 s7, s7, 0
	v_add_co_u32 v1, vcc_lo, v1, s10
	v_cmp_ge_i64_e64 s0, s[6:7], s[4:5]
	v_cmp_lt_u64_e64 s9, 0xffff, s[6:7]
	v_add_co_ci_u32_e32 v2, vcc_lo, 0, v2, vcc_lo
	v_add_co_u32 v3, vcc_lo, v3, s10
	v_add_co_ci_u32_e32 v4, vcc_lo, 0, v4, vcc_lo
	s_delay_alu instid0(VALU_DEP_4) | instskip(NEXT) | instid1(SALU_CYCLE_1)
	s_or_b32 s0, s0, s9
	s_and_b32 vcc_lo, exec_lo, s0
	s_cbranch_vccnz .LBB398_89
.LBB398_41:                             ; =>This Inner Loop Header: Depth=1
	v_add_co_u32 v13, s0, v0, s6
	s_delay_alu instid0(VALU_DEP_1) | instskip(NEXT) | instid1(VALU_DEP_1)
	v_add_co_ci_u32_e64 v14, null, 0, s7, s0
	v_cmp_gt_i64_e32 vcc_lo, s[4:5], v[13:14]
	v_cmp_gt_u64_e64 s0, 0x10000, v[13:14]
	s_delay_alu instid0(VALU_DEP_1) | instskip(NEXT) | instid1(SALU_CYCLE_1)
	s_and_b32 s9, vcc_lo, s0
	s_and_saveexec_b32 s0, s9
	s_cbranch_execz .LBB398_43
; %bb.42:                               ;   in Loop: Header=BB398_41 Depth=1
	global_load_b64 v[7:8], v[1:2], off
.LBB398_43:                             ;   in Loop: Header=BB398_41 Depth=1
	s_or_b32 exec_lo, exec_lo, s0
	v_add_co_u32 v15, vcc_lo, v27, s6
	v_add_co_ci_u32_e32 v16, vcc_lo, s7, v30, vcc_lo
	s_delay_alu instid0(VALU_DEP_1) | instskip(SKIP_1) | instid1(VALU_DEP_1)
	v_cmp_gt_i64_e32 vcc_lo, s[4:5], v[15:16]
	v_cmp_gt_u64_e64 s0, 0x10000, v[15:16]
	s_and_b32 s9, vcc_lo, s0
	s_delay_alu instid0(SALU_CYCLE_1)
	s_and_saveexec_b32 s0, s9
	s_cbranch_execz .LBB398_45
; %bb.44:                               ;   in Loop: Header=BB398_41 Depth=1
	global_load_b64 v[5:6], v[3:4], off
.LBB398_45:                             ;   in Loop: Header=BB398_41 Depth=1
	s_or_b32 exec_lo, exec_lo, s0
	v_add_co_u32 v17, vcc_lo, v31, s6
	v_add_co_ci_u32_e32 v18, vcc_lo, s7, v32, vcc_lo
	s_delay_alu instid0(VALU_DEP_1) | instskip(SKIP_1) | instid1(VALU_DEP_1)
	v_cmp_gt_i64_e32 vcc_lo, s[4:5], v[17:18]
	v_cmp_gt_u64_e64 s0, 0x10000, v[17:18]
	s_and_b32 s9, vcc_lo, s0
	s_delay_alu instid0(SALU_CYCLE_1)
	s_and_saveexec_b32 s0, s9
	s_cbranch_execz .LBB398_47
; %bb.46:                               ;   in Loop: Header=BB398_41 Depth=1
	v_add_co_u32 v11, vcc_lo, v1, s11
	v_add_co_ci_u32_e32 v12, vcc_lo, 0, v2, vcc_lo
	global_load_b64 v[11:12], v[11:12], off
.LBB398_47:                             ;   in Loop: Header=BB398_41 Depth=1
	s_or_b32 exec_lo, exec_lo, s0
	v_add_co_u32 v19, vcc_lo, v25, s6
	v_add_co_ci_u32_e32 v20, vcc_lo, s7, v26, vcc_lo
	s_delay_alu instid0(VALU_DEP_1) | instskip(SKIP_1) | instid1(VALU_DEP_1)
	v_cmp_gt_i64_e32 vcc_lo, s[4:5], v[19:20]
	v_cmp_gt_u64_e64 s0, 0x10000, v[19:20]
	s_and_b32 s9, vcc_lo, s0
	s_delay_alu instid0(SALU_CYCLE_1)
	s_and_saveexec_b32 s0, s9
	s_cbranch_execz .LBB398_49
; %bb.48:                               ;   in Loop: Header=BB398_41 Depth=1
	v_add_co_u32 v9, vcc_lo, v1, s8
	v_add_co_ci_u32_e32 v10, vcc_lo, 0, v2, vcc_lo
	global_load_b64 v[9:10], v[9:10], off
.LBB398_49:                             ;   in Loop: Header=BB398_41 Depth=1
	s_or_b32 exec_lo, exec_lo, s0
	s_waitcnt vmcnt(0)
	v_xor_b32_e32 v35, v7, v8
	v_cls_i32_e32 v36, v8
	s_mov_b32 s0, exec_lo
	s_delay_alu instid0(VALU_DEP_2) | instskip(NEXT) | instid1(VALU_DEP_2)
	v_ashrrev_i32_e32 v35, 31, v35
	v_add_nc_u32_e32 v36, -1, v36
	s_delay_alu instid0(VALU_DEP_2) | instskip(NEXT) | instid1(VALU_DEP_1)
	v_add_nc_u32_e32 v35, 32, v35
	v_min_u32_e32 v37, v36, v35
	s_delay_alu instid0(VALU_DEP_1) | instskip(NEXT) | instid1(VALU_DEP_1)
	v_lshlrev_b64 v[35:36], v37, v[7:8]
	v_min_u32_e32 v35, 1, v35
	s_delay_alu instid0(VALU_DEP_1) | instskip(SKIP_1) | instid1(VALU_DEP_2)
	v_or_b32_e32 v35, v36, v35
	v_sub_nc_u32_e32 v36, 32, v37
	v_cvt_f32_i32_e32 v35, v35
	s_delay_alu instid0(VALU_DEP_1) | instskip(SKIP_1) | instid1(VALU_DEP_2)
	v_ldexp_f32 v37, v35, v36
	v_dual_mov_b32 v36, 0x80 :: v_dual_mov_b32 v35, 0x80
	v_and_b32_e32 v38, 0x7fffffff, v37
	s_delay_alu instid0(VALU_DEP_1)
	v_cmpx_gt_u32_e32 0x47800000, v38
	s_cbranch_execz .LBB398_55
; %bb.50:                               ;   in Loop: Header=BB398_41 Depth=1
	v_cmp_lt_u32_e32 vcc_lo, 0x37ffffff, v38
	s_mov_b32 s9, 0
                                        ; implicit-def: $vgpr38
	s_and_saveexec_b32 s12, vcc_lo
	s_delay_alu instid0(SALU_CYCLE_1)
	s_xor_b32 s12, exec_lo, s12
	s_cbranch_execnz .LBB398_81
; %bb.51:                               ;   in Loop: Header=BB398_41 Depth=1
	s_or_saveexec_b32 s12, s12
                                        ; implicit-def: $sgpr13
	s_delay_alu instid0(SALU_CYCLE_1)
	s_xor_b32 exec_lo, exec_lo, s12
	s_cbranch_execnz .LBB398_82
.LBB398_52:                             ;   in Loop: Header=BB398_41 Depth=1
	s_or_b32 exec_lo, exec_lo, s12
	v_mov_b32_e32 v36, s13
	s_and_saveexec_b32 s12, s9
.LBB398_53:                             ;   in Loop: Header=BB398_41 Depth=1
	v_lshrrev_b32_e32 v36, 24, v37
	s_delay_alu instid0(VALU_DEP_1)
	v_and_or_b32 v36, 0x80, v36, v38
.LBB398_54:                             ;   in Loop: Header=BB398_41 Depth=1
	s_or_b32 exec_lo, exec_lo, s12
.LBB398_55:                             ;   in Loop: Header=BB398_41 Depth=1
	s_delay_alu instid0(SALU_CYCLE_1) | instskip(SKIP_3) | instid1(VALU_DEP_2)
	s_or_b32 exec_lo, exec_lo, s0
	v_xor_b32_e32 v37, v5, v6
	v_cls_i32_e32 v38, v6
	s_mov_b32 s0, exec_lo
	v_ashrrev_i32_e32 v37, 31, v37
	s_delay_alu instid0(VALU_DEP_2) | instskip(NEXT) | instid1(VALU_DEP_2)
	v_add_nc_u32_e32 v38, -1, v38
	v_add_nc_u32_e32 v37, 32, v37
	s_delay_alu instid0(VALU_DEP_1) | instskip(NEXT) | instid1(VALU_DEP_1)
	v_min_u32_e32 v39, v38, v37
	v_lshlrev_b64 v[37:38], v39, v[5:6]
	s_delay_alu instid0(VALU_DEP_1) | instskip(NEXT) | instid1(VALU_DEP_1)
	v_min_u32_e32 v37, 1, v37
	v_or_b32_e32 v37, v38, v37
	v_sub_nc_u32_e32 v38, 32, v39
	s_delay_alu instid0(VALU_DEP_2) | instskip(NEXT) | instid1(VALU_DEP_1)
	v_cvt_f32_i32_e32 v37, v37
	v_ldexp_f32 v37, v37, v38
	s_delay_alu instid0(VALU_DEP_1) | instskip(NEXT) | instid1(VALU_DEP_1)
	v_and_b32_e32 v38, 0x7fffffff, v37
	v_cmpx_gt_u32_e32 0x47800000, v38
	s_cbranch_execz .LBB398_61
; %bb.56:                               ;   in Loop: Header=BB398_41 Depth=1
	v_cmp_lt_u32_e32 vcc_lo, 0x37ffffff, v38
	s_mov_b32 s9, 0
                                        ; implicit-def: $vgpr38
	s_and_saveexec_b32 s12, vcc_lo
	s_delay_alu instid0(SALU_CYCLE_1)
	s_xor_b32 s12, exec_lo, s12
	s_cbranch_execnz .LBB398_83
; %bb.57:                               ;   in Loop: Header=BB398_41 Depth=1
	s_or_saveexec_b32 s12, s12
                                        ; implicit-def: $sgpr13
	s_delay_alu instid0(SALU_CYCLE_1)
	s_xor_b32 exec_lo, exec_lo, s12
	s_cbranch_execnz .LBB398_84
.LBB398_58:                             ;   in Loop: Header=BB398_41 Depth=1
	s_or_b32 exec_lo, exec_lo, s12
	v_mov_b32_e32 v35, s13
	s_and_saveexec_b32 s12, s9
.LBB398_59:                             ;   in Loop: Header=BB398_41 Depth=1
	v_lshrrev_b32_e32 v35, 24, v37
	s_delay_alu instid0(VALU_DEP_1)
	v_and_or_b32 v35, 0x80, v35, v38
.LBB398_60:                             ;   in Loop: Header=BB398_41 Depth=1
	s_or_b32 exec_lo, exec_lo, s12
.LBB398_61:                             ;   in Loop: Header=BB398_41 Depth=1
	s_delay_alu instid0(SALU_CYCLE_1) | instskip(SKIP_3) | instid1(VALU_DEP_2)
	s_or_b32 exec_lo, exec_lo, s0
	v_xor_b32_e32 v37, v11, v12
	v_cls_i32_e32 v38, v12
	s_mov_b32 s0, exec_lo
	v_ashrrev_i32_e32 v37, 31, v37
	s_delay_alu instid0(VALU_DEP_2) | instskip(NEXT) | instid1(VALU_DEP_2)
	v_add_nc_u32_e32 v38, -1, v38
	v_add_nc_u32_e32 v37, 32, v37
	s_delay_alu instid0(VALU_DEP_1) | instskip(NEXT) | instid1(VALU_DEP_1)
	v_min_u32_e32 v39, v38, v37
	v_lshlrev_b64 v[37:38], v39, v[11:12]
	s_delay_alu instid0(VALU_DEP_1) | instskip(NEXT) | instid1(VALU_DEP_1)
	v_min_u32_e32 v37, 1, v37
	v_or_b32_e32 v37, v38, v37
	v_sub_nc_u32_e32 v38, 32, v39
	s_delay_alu instid0(VALU_DEP_2) | instskip(NEXT) | instid1(VALU_DEP_1)
	v_cvt_f32_i32_e32 v37, v37
	v_ldexp_f32 v39, v37, v38
	v_dual_mov_b32 v38, 0x80 :: v_dual_mov_b32 v37, 0x80
	s_delay_alu instid0(VALU_DEP_2) | instskip(NEXT) | instid1(VALU_DEP_1)
	v_and_b32_e32 v40, 0x7fffffff, v39
	v_cmpx_gt_u32_e32 0x47800000, v40
	s_cbranch_execz .LBB398_67
; %bb.62:                               ;   in Loop: Header=BB398_41 Depth=1
	v_cmp_lt_u32_e32 vcc_lo, 0x37ffffff, v40
	s_mov_b32 s9, 0
                                        ; implicit-def: $vgpr40
	s_and_saveexec_b32 s12, vcc_lo
	s_delay_alu instid0(SALU_CYCLE_1)
	s_xor_b32 s12, exec_lo, s12
	s_cbranch_execnz .LBB398_85
; %bb.63:                               ;   in Loop: Header=BB398_41 Depth=1
	s_or_saveexec_b32 s12, s12
                                        ; implicit-def: $sgpr13
	s_delay_alu instid0(SALU_CYCLE_1)
	s_xor_b32 exec_lo, exec_lo, s12
	s_cbranch_execnz .LBB398_86
.LBB398_64:                             ;   in Loop: Header=BB398_41 Depth=1
	s_or_b32 exec_lo, exec_lo, s12
	v_mov_b32_e32 v38, s13
	s_and_saveexec_b32 s12, s9
.LBB398_65:                             ;   in Loop: Header=BB398_41 Depth=1
	v_lshrrev_b32_e32 v38, 24, v39
	s_delay_alu instid0(VALU_DEP_1)
	v_and_or_b32 v38, 0x80, v38, v40
.LBB398_66:                             ;   in Loop: Header=BB398_41 Depth=1
	s_or_b32 exec_lo, exec_lo, s12
.LBB398_67:                             ;   in Loop: Header=BB398_41 Depth=1
	s_delay_alu instid0(SALU_CYCLE_1) | instskip(SKIP_3) | instid1(VALU_DEP_2)
	s_or_b32 exec_lo, exec_lo, s0
	v_xor_b32_e32 v39, v9, v10
	v_cls_i32_e32 v40, v10
	s_mov_b32 s0, exec_lo
	v_ashrrev_i32_e32 v39, 31, v39
	s_delay_alu instid0(VALU_DEP_2) | instskip(NEXT) | instid1(VALU_DEP_2)
	v_add_nc_u32_e32 v40, -1, v40
	v_add_nc_u32_e32 v39, 32, v39
	s_delay_alu instid0(VALU_DEP_1) | instskip(NEXT) | instid1(VALU_DEP_1)
	v_min_u32_e32 v41, v40, v39
	v_lshlrev_b64 v[39:40], v41, v[9:10]
	s_delay_alu instid0(VALU_DEP_1) | instskip(NEXT) | instid1(VALU_DEP_1)
	v_min_u32_e32 v39, 1, v39
	v_or_b32_e32 v39, v40, v39
	v_sub_nc_u32_e32 v40, 32, v41
	s_delay_alu instid0(VALU_DEP_2) | instskip(NEXT) | instid1(VALU_DEP_1)
	v_cvt_f32_i32_e32 v39, v39
	v_ldexp_f32 v39, v39, v40
	s_delay_alu instid0(VALU_DEP_1) | instskip(NEXT) | instid1(VALU_DEP_1)
	v_and_b32_e32 v40, 0x7fffffff, v39
	v_cmpx_gt_u32_e32 0x47800000, v40
	s_cbranch_execz .LBB398_73
; %bb.68:                               ;   in Loop: Header=BB398_41 Depth=1
	v_cmp_lt_u32_e32 vcc_lo, 0x37ffffff, v40
	s_mov_b32 s9, 0
                                        ; implicit-def: $vgpr40
	s_and_saveexec_b32 s12, vcc_lo
	s_delay_alu instid0(SALU_CYCLE_1)
	s_xor_b32 s12, exec_lo, s12
	s_cbranch_execnz .LBB398_87
; %bb.69:                               ;   in Loop: Header=BB398_41 Depth=1
	s_or_saveexec_b32 s12, s12
                                        ; implicit-def: $sgpr13
	s_delay_alu instid0(SALU_CYCLE_1)
	s_xor_b32 exec_lo, exec_lo, s12
	s_cbranch_execnz .LBB398_88
.LBB398_70:                             ;   in Loop: Header=BB398_41 Depth=1
	s_or_b32 exec_lo, exec_lo, s12
	v_mov_b32_e32 v37, s13
	s_and_saveexec_b32 s12, s9
.LBB398_71:                             ;   in Loop: Header=BB398_41 Depth=1
	v_lshrrev_b32_e32 v37, 24, v39
	s_delay_alu instid0(VALU_DEP_1)
	v_and_or_b32 v37, 0x80, v37, v40
.LBB398_72:                             ;   in Loop: Header=BB398_41 Depth=1
	s_or_b32 exec_lo, exec_lo, s12
.LBB398_73:                             ;   in Loop: Header=BB398_41 Depth=1
	s_delay_alu instid0(SALU_CYCLE_1) | instskip(NEXT) | instid1(SALU_CYCLE_1)
	s_or_b32 exec_lo, exec_lo, s0
	s_mov_b32 s0, exec_lo
	v_cmpx_gt_u64_e64 s[2:3], v[13:14]
	s_xor_b32 s0, exec_lo, s0
	s_cbranch_execnz .LBB398_77
; %bb.74:                               ;   in Loop: Header=BB398_41 Depth=1
	s_or_b32 exec_lo, exec_lo, s0
	s_delay_alu instid0(SALU_CYCLE_1)
	s_mov_b32 s0, exec_lo
	v_cmpx_gt_u64_e64 s[2:3], v[15:16]
	s_cbranch_execnz .LBB398_78
.LBB398_75:                             ;   in Loop: Header=BB398_41 Depth=1
	s_or_b32 exec_lo, exec_lo, s0
	s_delay_alu instid0(SALU_CYCLE_1)
	s_mov_b32 s0, exec_lo
	v_cmpx_gt_u64_e64 s[2:3], v[17:18]
	s_cbranch_execnz .LBB398_79
.LBB398_76:                             ;   in Loop: Header=BB398_41 Depth=1
	s_or_b32 exec_lo, exec_lo, s0
	s_delay_alu instid0(SALU_CYCLE_1)
	s_mov_b32 s0, exec_lo
	v_cmpx_gt_u64_e64 s[2:3], v[19:20]
	s_cbranch_execz .LBB398_40
	s_branch .LBB398_80
.LBB398_77:                             ;   in Loop: Header=BB398_41 Depth=1
	v_add_co_u32 v13, vcc_lo, v21, s6
	v_add_co_ci_u32_e32 v14, vcc_lo, s7, v22, vcc_lo
	global_store_b8 v[13:14], v36, off
	s_or_b32 exec_lo, exec_lo, s0
	s_delay_alu instid0(SALU_CYCLE_1)
	s_mov_b32 s0, exec_lo
	v_cmpx_gt_u64_e64 s[2:3], v[15:16]
	s_cbranch_execz .LBB398_75
.LBB398_78:                             ;   in Loop: Header=BB398_41 Depth=1
	v_add_co_u32 v13, vcc_lo, v33, s6
	v_add_co_ci_u32_e32 v14, vcc_lo, s7, v34, vcc_lo
	global_store_b8 v[13:14], v35, off
	s_or_b32 exec_lo, exec_lo, s0
	s_delay_alu instid0(SALU_CYCLE_1)
	s_mov_b32 s0, exec_lo
	v_cmpx_gt_u64_e64 s[2:3], v[17:18]
	s_cbranch_execz .LBB398_76
.LBB398_79:                             ;   in Loop: Header=BB398_41 Depth=1
	v_add_co_u32 v13, vcc_lo, v28, s6
	v_add_co_ci_u32_e32 v14, vcc_lo, s7, v29, vcc_lo
	global_store_b8 v[13:14], v38, off
	s_or_b32 exec_lo, exec_lo, s0
	s_delay_alu instid0(SALU_CYCLE_1)
	s_mov_b32 s0, exec_lo
	v_cmpx_gt_u64_e64 s[2:3], v[19:20]
	s_cbranch_execz .LBB398_40
.LBB398_80:                             ;   in Loop: Header=BB398_41 Depth=1
	v_add_co_u32 v13, vcc_lo, v23, s6
	v_add_co_ci_u32_e32 v14, vcc_lo, s7, v24, vcc_lo
	global_store_b8 v[13:14], v37, off
	s_branch .LBB398_40
.LBB398_81:                             ;   in Loop: Header=BB398_41 Depth=1
	v_bfe_u32 v36, v37, 21, 1
	s_mov_b32 s9, exec_lo
	s_delay_alu instid0(VALU_DEP_1) | instskip(NEXT) | instid1(VALU_DEP_1)
	v_add3_u32 v36, v37, v36, 0x88fffff
	v_lshrrev_b32_e32 v38, 21, v36
	s_or_saveexec_b32 s12, s12
                                        ; implicit-def: $sgpr13
	s_delay_alu instid0(SALU_CYCLE_1)
	s_xor_b32 exec_lo, exec_lo, s12
	s_cbranch_execz .LBB398_52
.LBB398_82:                             ;   in Loop: Header=BB398_41 Depth=1
	v_add_f32_e64 v36, 0x42800000, |v37|
	s_and_not1_b32 s9, s9, exec_lo
	s_mov_b32 s13, 0
	s_delay_alu instid0(VALU_DEP_1) | instskip(NEXT) | instid1(VALU_DEP_1)
	v_and_b32_e32 v38, 0xff, v36
	v_cmp_ne_u32_e32 vcc_lo, 0, v38
	s_and_b32 s14, vcc_lo, exec_lo
	s_delay_alu instid0(SALU_CYCLE_1)
	s_or_b32 s9, s9, s14
	s_or_b32 exec_lo, exec_lo, s12
	v_mov_b32_e32 v36, s13
	s_and_saveexec_b32 s12, s9
	s_cbranch_execnz .LBB398_53
	s_branch .LBB398_54
.LBB398_83:                             ;   in Loop: Header=BB398_41 Depth=1
	v_bfe_u32 v35, v37, 21, 1
	s_mov_b32 s9, exec_lo
	s_delay_alu instid0(VALU_DEP_1) | instskip(NEXT) | instid1(VALU_DEP_1)
	v_add3_u32 v35, v37, v35, 0x88fffff
	v_lshrrev_b32_e32 v38, 21, v35
	s_or_saveexec_b32 s12, s12
                                        ; implicit-def: $sgpr13
	s_delay_alu instid0(SALU_CYCLE_1)
	s_xor_b32 exec_lo, exec_lo, s12
	s_cbranch_execz .LBB398_58
.LBB398_84:                             ;   in Loop: Header=BB398_41 Depth=1
	v_add_f32_e64 v35, 0x42800000, |v37|
	s_and_not1_b32 s9, s9, exec_lo
	s_mov_b32 s13, 0
	s_delay_alu instid0(VALU_DEP_1) | instskip(NEXT) | instid1(VALU_DEP_1)
	v_and_b32_e32 v38, 0xff, v35
	v_cmp_ne_u32_e32 vcc_lo, 0, v38
	s_and_b32 s14, vcc_lo, exec_lo
	s_delay_alu instid0(SALU_CYCLE_1)
	s_or_b32 s9, s9, s14
	s_or_b32 exec_lo, exec_lo, s12
	v_mov_b32_e32 v35, s13
	s_and_saveexec_b32 s12, s9
	s_cbranch_execnz .LBB398_59
	s_branch .LBB398_60
.LBB398_85:                             ;   in Loop: Header=BB398_41 Depth=1
	v_bfe_u32 v38, v39, 21, 1
	s_mov_b32 s9, exec_lo
	s_delay_alu instid0(VALU_DEP_1) | instskip(NEXT) | instid1(VALU_DEP_1)
	v_add3_u32 v38, v39, v38, 0x88fffff
	v_lshrrev_b32_e32 v40, 21, v38
	s_or_saveexec_b32 s12, s12
                                        ; implicit-def: $sgpr13
	s_delay_alu instid0(SALU_CYCLE_1)
	s_xor_b32 exec_lo, exec_lo, s12
	s_cbranch_execz .LBB398_64
.LBB398_86:                             ;   in Loop: Header=BB398_41 Depth=1
	v_add_f32_e64 v38, 0x42800000, |v39|
	s_and_not1_b32 s9, s9, exec_lo
	s_mov_b32 s13, 0
	s_delay_alu instid0(VALU_DEP_1) | instskip(NEXT) | instid1(VALU_DEP_1)
	v_and_b32_e32 v40, 0xff, v38
	v_cmp_ne_u32_e32 vcc_lo, 0, v40
	s_and_b32 s14, vcc_lo, exec_lo
	s_delay_alu instid0(SALU_CYCLE_1)
	s_or_b32 s9, s9, s14
	s_or_b32 exec_lo, exec_lo, s12
	v_mov_b32_e32 v38, s13
	s_and_saveexec_b32 s12, s9
	s_cbranch_execnz .LBB398_65
	s_branch .LBB398_66
.LBB398_87:                             ;   in Loop: Header=BB398_41 Depth=1
	v_bfe_u32 v37, v39, 21, 1
	s_mov_b32 s9, exec_lo
	s_delay_alu instid0(VALU_DEP_1) | instskip(NEXT) | instid1(VALU_DEP_1)
	v_add3_u32 v37, v39, v37, 0x88fffff
	v_lshrrev_b32_e32 v40, 21, v37
	s_or_saveexec_b32 s12, s12
                                        ; implicit-def: $sgpr13
	s_delay_alu instid0(SALU_CYCLE_1)
	s_xor_b32 exec_lo, exec_lo, s12
	s_cbranch_execz .LBB398_70
.LBB398_88:                             ;   in Loop: Header=BB398_41 Depth=1
	v_add_f32_e64 v37, 0x42800000, |v39|
	s_and_not1_b32 s9, s9, exec_lo
	s_mov_b32 s13, 0
	s_delay_alu instid0(VALU_DEP_1) | instskip(NEXT) | instid1(VALU_DEP_1)
	v_and_b32_e32 v40, 0xff, v37
	v_cmp_ne_u32_e32 vcc_lo, 0, v40
	s_and_b32 s14, vcc_lo, exec_lo
	s_delay_alu instid0(SALU_CYCLE_1)
	s_or_b32 s9, s9, s14
	s_or_b32 exec_lo, exec_lo, s12
	v_mov_b32_e32 v37, s13
	s_and_saveexec_b32 s12, s9
	s_cbranch_execnz .LBB398_71
	s_branch .LBB398_72
.LBB398_89:
	s_nop 0
	s_sendmsg sendmsg(MSG_DEALLOC_VGPRS)
	s_endpgm
	.section	.rodata,"a",@progbits
	.p2align	6, 0x0
	.amdhsa_kernel _ZN2at6native12_GLOBAL__N_125multi_tensor_apply_kernelINS1_18TensorListMetadataILi2EEENS1_11CopyFunctorIN3c1015Float8_e5m2fnuzElLi2ELi1ELi1EEEJNS0_4CopyIS7_lEEEEEvT_T0_DpT1_
		.amdhsa_group_segment_fixed_size 0
		.amdhsa_private_segment_fixed_size 0
		.amdhsa_kernarg_size 3408
		.amdhsa_user_sgpr_count 15
		.amdhsa_user_sgpr_dispatch_ptr 0
		.amdhsa_user_sgpr_queue_ptr 0
		.amdhsa_user_sgpr_kernarg_segment_ptr 1
		.amdhsa_user_sgpr_dispatch_id 0
		.amdhsa_user_sgpr_private_segment_size 0
		.amdhsa_wavefront_size32 1
		.amdhsa_uses_dynamic_stack 0
		.amdhsa_enable_private_segment 0
		.amdhsa_system_sgpr_workgroup_id_x 1
		.amdhsa_system_sgpr_workgroup_id_y 0
		.amdhsa_system_sgpr_workgroup_id_z 0
		.amdhsa_system_sgpr_workgroup_info 0
		.amdhsa_system_vgpr_workitem_id 0
		.amdhsa_next_free_vgpr 42
		.amdhsa_next_free_sgpr 23
		.amdhsa_reserve_vcc 1
		.amdhsa_float_round_mode_32 0
		.amdhsa_float_round_mode_16_64 0
		.amdhsa_float_denorm_mode_32 3
		.amdhsa_float_denorm_mode_16_64 3
		.amdhsa_dx10_clamp 1
		.amdhsa_ieee_mode 1
		.amdhsa_fp16_overflow 0
		.amdhsa_workgroup_processor_mode 1
		.amdhsa_memory_ordered 1
		.amdhsa_forward_progress 0
		.amdhsa_shared_vgpr_count 0
		.amdhsa_exception_fp_ieee_invalid_op 0
		.amdhsa_exception_fp_denorm_src 0
		.amdhsa_exception_fp_ieee_div_zero 0
		.amdhsa_exception_fp_ieee_overflow 0
		.amdhsa_exception_fp_ieee_underflow 0
		.amdhsa_exception_fp_ieee_inexact 0
		.amdhsa_exception_int_div_zero 0
	.end_amdhsa_kernel
	.section	.text._ZN2at6native12_GLOBAL__N_125multi_tensor_apply_kernelINS1_18TensorListMetadataILi2EEENS1_11CopyFunctorIN3c1015Float8_e5m2fnuzElLi2ELi1ELi1EEEJNS0_4CopyIS7_lEEEEEvT_T0_DpT1_,"axG",@progbits,_ZN2at6native12_GLOBAL__N_125multi_tensor_apply_kernelINS1_18TensorListMetadataILi2EEENS1_11CopyFunctorIN3c1015Float8_e5m2fnuzElLi2ELi1ELi1EEEJNS0_4CopyIS7_lEEEEEvT_T0_DpT1_,comdat
.Lfunc_end398:
	.size	_ZN2at6native12_GLOBAL__N_125multi_tensor_apply_kernelINS1_18TensorListMetadataILi2EEENS1_11CopyFunctorIN3c1015Float8_e5m2fnuzElLi2ELi1ELi1EEEJNS0_4CopyIS7_lEEEEEvT_T0_DpT1_, .Lfunc_end398-_ZN2at6native12_GLOBAL__N_125multi_tensor_apply_kernelINS1_18TensorListMetadataILi2EEENS1_11CopyFunctorIN3c1015Float8_e5m2fnuzElLi2ELi1ELi1EEEJNS0_4CopyIS7_lEEEEEvT_T0_DpT1_
                                        ; -- End function
	.section	.AMDGPU.csdata,"",@progbits
; Kernel info:
; codeLenInByte = 3864
; NumSgprs: 25
; NumVgprs: 42
; ScratchSize: 0
; MemoryBound: 1
; FloatMode: 240
; IeeeMode: 1
; LDSByteSize: 0 bytes/workgroup (compile time only)
; SGPRBlocks: 3
; VGPRBlocks: 5
; NumSGPRsForWavesPerEU: 25
; NumVGPRsForWavesPerEU: 42
; Occupancy: 16
; WaveLimiterHint : 0
; COMPUTE_PGM_RSRC2:SCRATCH_EN: 0
; COMPUTE_PGM_RSRC2:USER_SGPR: 15
; COMPUTE_PGM_RSRC2:TRAP_HANDLER: 0
; COMPUTE_PGM_RSRC2:TGID_X_EN: 1
; COMPUTE_PGM_RSRC2:TGID_Y_EN: 0
; COMPUTE_PGM_RSRC2:TGID_Z_EN: 0
; COMPUTE_PGM_RSRC2:TIDIG_COMP_CNT: 0
	.section	.text._ZN2at6native12_GLOBAL__N_125multi_tensor_apply_kernelINS1_18TensorListMetadataILi2EEENS1_11CopyFunctorIN3c1015Float8_e5m2fnuzEsLi2ELi1ELi1EEEJNS0_4CopyIS7_sEEEEEvT_T0_DpT1_,"axG",@progbits,_ZN2at6native12_GLOBAL__N_125multi_tensor_apply_kernelINS1_18TensorListMetadataILi2EEENS1_11CopyFunctorIN3c1015Float8_e5m2fnuzEsLi2ELi1ELi1EEEJNS0_4CopyIS7_sEEEEEvT_T0_DpT1_,comdat
	.globl	_ZN2at6native12_GLOBAL__N_125multi_tensor_apply_kernelINS1_18TensorListMetadataILi2EEENS1_11CopyFunctorIN3c1015Float8_e5m2fnuzEsLi2ELi1ELi1EEEJNS0_4CopyIS7_sEEEEEvT_T0_DpT1_ ; -- Begin function _ZN2at6native12_GLOBAL__N_125multi_tensor_apply_kernelINS1_18TensorListMetadataILi2EEENS1_11CopyFunctorIN3c1015Float8_e5m2fnuzEsLi2ELi1ELi1EEEJNS0_4CopyIS7_sEEEEEvT_T0_DpT1_
	.p2align	8
	.type	_ZN2at6native12_GLOBAL__N_125multi_tensor_apply_kernelINS1_18TensorListMetadataILi2EEENS1_11CopyFunctorIN3c1015Float8_e5m2fnuzEsLi2ELi1ELi1EEEJNS0_4CopyIS7_sEEEEEvT_T0_DpT1_,@function
_ZN2at6native12_GLOBAL__N_125multi_tensor_apply_kernelINS1_18TensorListMetadataILi2EEENS1_11CopyFunctorIN3c1015Float8_e5m2fnuzEsLi2ELi1ELi1EEEJNS0_4CopyIS7_sEEEEEvT_T0_DpT1_: ; @_ZN2at6native12_GLOBAL__N_125multi_tensor_apply_kernelINS1_18TensorListMetadataILi2EEENS1_11CopyFunctorIN3c1015Float8_e5m2fnuzEsLi2ELi1ELi1EEEJNS0_4CopyIS7_sEEEEEvT_T0_DpT1_
; %bb.0:
	v_mov_b32_e32 v1, s15
	s_add_u32 s2, s0, s15
	s_mul_i32 s4, s15, 3
	s_addc_u32 s3, s1, 0
	s_mul_hi_u32 s5, s15, 3
	global_load_u8 v1, v1, s[0:1] offset:1536
	s_add_u32 s2, s2, s4
	s_addc_u32 s3, s3, s5
	s_mov_b32 s17, 0
	s_load_b32 s10, s[2:3], 0x740
	s_waitcnt lgkmcnt(0)
	s_ashr_i32 s11, s10, 31
	s_delay_alu instid0(SALU_CYCLE_1) | instskip(SKIP_2) | instid1(VALU_DEP_1)
	s_lshl_b64 s[8:9], s[10:11], 16
	s_waitcnt vmcnt(0)
	v_readfirstlane_b32 s4, v1
	s_lshl_b32 s4, s4, 3
	s_clause 0x2
	s_load_b64 s[6:7], s[0:1], s4 offset:0x200
	s_load_b64 s[2:3], s[0:1], s4 offset:0x400
	;; [unrolled: 1-line block ×3, first 2 shown]
	s_waitcnt lgkmcnt(0)
	s_add_u32 s14, s6, s8
	s_addc_u32 s15, s7, s9
	s_delay_alu instid0(SALU_CYCLE_1) | instskip(SKIP_2) | instid1(SALU_CYCLE_1)
	s_or_b64 s[4:5], s[2:3], s[14:15]
	s_and_b32 s5, s12, 7
	s_and_b32 s4, s4, 3
	s_or_b32 s16, s4, s5
	s_sub_u32 s4, s2, s8
	s_subb_u32 s5, s3, s9
	s_cmp_eq_u64 s[16:17], 0
	s_mov_b32 s2, -1
	s_cbranch_scc0 .LBB399_37
; %bb.1:
	v_dual_mov_b32 v2, 0 :: v_dual_lshlrev_b32 v1, 2, v0
	s_mov_b32 s3, exec_lo
	s_delay_alu instid0(VALU_DEP_1)
	v_cmpx_gt_i64_e64 s[4:5], v[1:2]
	s_cbranch_execz .LBB399_36
; %bb.2:
	s_load_b32 s2, s[0:1], 0xc5c
	v_lshlrev_b32_e32 v3, 3, v0
	s_lshl_b64 s[16:17], s[10:11], 17
	s_waitcnt lgkmcnt(0)
	s_and_b32 s2, s2, 0xffff
	s_add_u32 s16, s12, s16
	s_addc_u32 s17, s13, s17
	v_add_co_u32 v3, s16, s16, v3
	s_delay_alu instid0(VALU_DEP_1)
	v_add_co_ci_u32_e64 v4, null, s17, 0, s16
	s_mov_b32 s16, 0
	s_lshl_b32 s17, s2, 3
	s_lshl_b32 s18, s2, 2
	s_branch .LBB399_5
.LBB399_3:                              ;   in Loop: Header=BB399_5 Depth=1
	s_or_b32 exec_lo, exec_lo, s20
.LBB399_4:                              ;   in Loop: Header=BB399_5 Depth=1
	s_delay_alu instid0(SALU_CYCLE_1)
	s_or_b32 exec_lo, exec_lo, s2
	v_add_co_u32 v10, vcc_lo, s14, v1
	v_add_co_ci_u32_e32 v11, vcc_lo, s15, v2, vcc_lo
	v_add_co_u32 v1, vcc_lo, s18, v1
	v_add_co_ci_u32_e32 v2, vcc_lo, 0, v2, vcc_lo
	v_lshlrev_b32_e32 v6, 16, v9
	v_lshlrev_b32_e32 v8, 8, v8
	v_and_b32_e32 v7, 0xff, v7
	s_delay_alu instid0(VALU_DEP_4) | instskip(SKIP_3) | instid1(VALU_DEP_3)
	v_cmp_le_i64_e32 vcc_lo, s[4:5], v[1:2]
	v_cmp_lt_u64_e64 s2, 0xffff, v[1:2]
	v_perm_b32 v5, v5, v6, 0x4020c0c
	v_and_b32_e32 v6, 0xff00, v8
	s_or_b32 s2, vcc_lo, s2
	v_add_co_u32 v3, vcc_lo, v3, s17
	s_delay_alu instid0(VALU_DEP_2) | instskip(SKIP_2) | instid1(SALU_CYCLE_1)
	v_or3_b32 v5, v5, v6, v7
	v_add_co_ci_u32_e32 v4, vcc_lo, 0, v4, vcc_lo
	s_and_b32 s2, exec_lo, s2
	s_or_b32 s16, s2, s16
	global_store_b32 v[10:11], v5, off
	s_and_not1_b32 exec_lo, exec_lo, s16
	s_cbranch_execz .LBB399_36
.LBB399_5:                              ; =>This Inner Loop Header: Depth=1
	global_load_b64 v[5:6], v[3:4], off
	v_mov_b32_e32 v8, 0x80
	s_mov_b32 s2, exec_lo
	s_waitcnt vmcnt(0)
	v_bfe_i32 v7, v5, 0, 16
	s_delay_alu instid0(VALU_DEP_1) | instskip(SKIP_1) | instid1(VALU_DEP_2)
	v_cvt_f32_i32_e32 v9, v7
	v_mov_b32_e32 v7, 0x80
	v_and_b32_e32 v10, 0x7fffffff, v9
	s_delay_alu instid0(VALU_DEP_1)
	v_cmpx_gt_u32_e32 0x47800000, v10
	s_cbranch_execz .LBB399_11
; %bb.6:                                ;   in Loop: Header=BB399_5 Depth=1
	v_cmp_lt_u32_e32 vcc_lo, 0x37ffffff, v10
	s_mov_b32 s19, 0
                                        ; implicit-def: $vgpr10
	s_and_saveexec_b32 s20, vcc_lo
	s_delay_alu instid0(SALU_CYCLE_1)
	s_xor_b32 s20, exec_lo, s20
	s_cbranch_execnz .LBB399_27
; %bb.7:                                ;   in Loop: Header=BB399_5 Depth=1
	s_or_saveexec_b32 s20, s20
                                        ; implicit-def: $sgpr21
	s_delay_alu instid0(SALU_CYCLE_1)
	s_xor_b32 exec_lo, exec_lo, s20
	s_cbranch_execnz .LBB399_28
.LBB399_8:                              ;   in Loop: Header=BB399_5 Depth=1
	s_or_b32 exec_lo, exec_lo, s20
	v_mov_b32_e32 v7, s21
	s_and_saveexec_b32 s20, s19
.LBB399_9:                              ;   in Loop: Header=BB399_5 Depth=1
	v_lshrrev_b32_e32 v7, 24, v9
	s_delay_alu instid0(VALU_DEP_1)
	v_and_or_b32 v7, 0x80, v7, v10
.LBB399_10:                             ;   in Loop: Header=BB399_5 Depth=1
	s_or_b32 exec_lo, exec_lo, s20
.LBB399_11:                             ;   in Loop: Header=BB399_5 Depth=1
	s_delay_alu instid0(SALU_CYCLE_1) | instskip(SKIP_2) | instid1(VALU_DEP_1)
	s_or_b32 exec_lo, exec_lo, s2
	v_ashrrev_i32_e32 v5, 16, v5
	s_mov_b32 s2, exec_lo
	v_cvt_f32_i32_e32 v5, v5
	s_delay_alu instid0(VALU_DEP_1) | instskip(NEXT) | instid1(VALU_DEP_1)
	v_and_b32_e32 v9, 0x7fffffff, v5
	v_cmpx_gt_u32_e32 0x47800000, v9
	s_cbranch_execz .LBB399_17
; %bb.12:                               ;   in Loop: Header=BB399_5 Depth=1
	v_cmp_lt_u32_e32 vcc_lo, 0x37ffffff, v9
	s_mov_b32 s19, 0
                                        ; implicit-def: $vgpr9
	s_and_saveexec_b32 s20, vcc_lo
	s_delay_alu instid0(SALU_CYCLE_1)
	s_xor_b32 s20, exec_lo, s20
	s_cbranch_execnz .LBB399_29
; %bb.13:                               ;   in Loop: Header=BB399_5 Depth=1
	s_or_saveexec_b32 s20, s20
                                        ; implicit-def: $sgpr21
	s_delay_alu instid0(SALU_CYCLE_1)
	s_xor_b32 exec_lo, exec_lo, s20
	s_cbranch_execnz .LBB399_30
.LBB399_14:                             ;   in Loop: Header=BB399_5 Depth=1
	s_or_b32 exec_lo, exec_lo, s20
	v_mov_b32_e32 v8, s21
	s_and_saveexec_b32 s20, s19
.LBB399_15:                             ;   in Loop: Header=BB399_5 Depth=1
	v_lshrrev_b32_e32 v5, 24, v5
	s_delay_alu instid0(VALU_DEP_1)
	v_and_or_b32 v8, 0x80, v5, v9
.LBB399_16:                             ;   in Loop: Header=BB399_5 Depth=1
	s_or_b32 exec_lo, exec_lo, s20
.LBB399_17:                             ;   in Loop: Header=BB399_5 Depth=1
	s_delay_alu instid0(SALU_CYCLE_1) | instskip(SKIP_3) | instid1(VALU_DEP_2)
	s_or_b32 exec_lo, exec_lo, s2
	v_bfe_i32 v5, v6, 0, 16
	v_mov_b32_e32 v9, 0x80
	s_mov_b32 s2, exec_lo
	v_cvt_f32_i32_e32 v10, v5
	v_mov_b32_e32 v5, 0x80
	s_delay_alu instid0(VALU_DEP_2) | instskip(NEXT) | instid1(VALU_DEP_1)
	v_and_b32_e32 v11, 0x7fffffff, v10
	v_cmpx_gt_u32_e32 0x47800000, v11
	s_cbranch_execz .LBB399_23
; %bb.18:                               ;   in Loop: Header=BB399_5 Depth=1
	v_cmp_lt_u32_e32 vcc_lo, 0x37ffffff, v11
	s_mov_b32 s19, 0
                                        ; implicit-def: $vgpr11
	s_and_saveexec_b32 s20, vcc_lo
	s_delay_alu instid0(SALU_CYCLE_1)
	s_xor_b32 s20, exec_lo, s20
	s_cbranch_execnz .LBB399_31
; %bb.19:                               ;   in Loop: Header=BB399_5 Depth=1
	s_or_saveexec_b32 s20, s20
                                        ; implicit-def: $sgpr21
	s_delay_alu instid0(SALU_CYCLE_1)
	s_xor_b32 exec_lo, exec_lo, s20
	s_cbranch_execnz .LBB399_32
.LBB399_20:                             ;   in Loop: Header=BB399_5 Depth=1
	s_or_b32 exec_lo, exec_lo, s20
	v_mov_b32_e32 v9, s21
	s_and_saveexec_b32 s20, s19
.LBB399_21:                             ;   in Loop: Header=BB399_5 Depth=1
	v_lshrrev_b32_e32 v9, 24, v10
	s_delay_alu instid0(VALU_DEP_1)
	v_and_or_b32 v9, 0x80, v9, v11
.LBB399_22:                             ;   in Loop: Header=BB399_5 Depth=1
	s_or_b32 exec_lo, exec_lo, s20
.LBB399_23:                             ;   in Loop: Header=BB399_5 Depth=1
	s_delay_alu instid0(SALU_CYCLE_1) | instskip(SKIP_2) | instid1(VALU_DEP_1)
	s_or_b32 exec_lo, exec_lo, s2
	v_ashrrev_i32_e32 v6, 16, v6
	s_mov_b32 s2, exec_lo
	v_cvt_f32_i32_e32 v6, v6
	s_delay_alu instid0(VALU_DEP_1) | instskip(NEXT) | instid1(VALU_DEP_1)
	v_and_b32_e32 v10, 0x7fffffff, v6
	v_cmpx_gt_u32_e32 0x47800000, v10
	s_cbranch_execz .LBB399_4
; %bb.24:                               ;   in Loop: Header=BB399_5 Depth=1
	v_cmp_lt_u32_e32 vcc_lo, 0x37ffffff, v10
	s_mov_b32 s19, 0
                                        ; implicit-def: $vgpr10
	s_and_saveexec_b32 s20, vcc_lo
	s_delay_alu instid0(SALU_CYCLE_1)
	s_xor_b32 s20, exec_lo, s20
	s_cbranch_execnz .LBB399_33
; %bb.25:                               ;   in Loop: Header=BB399_5 Depth=1
	s_or_saveexec_b32 s20, s20
                                        ; implicit-def: $sgpr21
	s_delay_alu instid0(SALU_CYCLE_1)
	s_xor_b32 exec_lo, exec_lo, s20
	s_cbranch_execnz .LBB399_34
.LBB399_26:                             ;   in Loop: Header=BB399_5 Depth=1
	s_or_b32 exec_lo, exec_lo, s20
	v_mov_b32_e32 v5, s21
	s_and_saveexec_b32 s20, s19
	s_cbranch_execz .LBB399_3
	s_branch .LBB399_35
.LBB399_27:                             ;   in Loop: Header=BB399_5 Depth=1
	v_bfe_u32 v7, v9, 21, 1
	s_mov_b32 s19, exec_lo
	s_delay_alu instid0(VALU_DEP_1) | instskip(NEXT) | instid1(VALU_DEP_1)
	v_add3_u32 v7, v9, v7, 0x88fffff
	v_lshrrev_b32_e32 v10, 21, v7
	s_or_saveexec_b32 s20, s20
                                        ; implicit-def: $sgpr21
	s_delay_alu instid0(SALU_CYCLE_1)
	s_xor_b32 exec_lo, exec_lo, s20
	s_cbranch_execz .LBB399_8
.LBB399_28:                             ;   in Loop: Header=BB399_5 Depth=1
	v_add_f32_e64 v7, 0x42800000, |v9|
	s_and_not1_b32 s19, s19, exec_lo
	s_mov_b32 s21, 0
	s_delay_alu instid0(VALU_DEP_1) | instskip(NEXT) | instid1(VALU_DEP_1)
	v_and_b32_e32 v10, 0xff, v7
	v_cmp_ne_u32_e32 vcc_lo, 0, v10
	s_and_b32 s22, vcc_lo, exec_lo
	s_delay_alu instid0(SALU_CYCLE_1)
	s_or_b32 s19, s19, s22
	s_or_b32 exec_lo, exec_lo, s20
	v_mov_b32_e32 v7, s21
	s_and_saveexec_b32 s20, s19
	s_cbranch_execnz .LBB399_9
	s_branch .LBB399_10
.LBB399_29:                             ;   in Loop: Header=BB399_5 Depth=1
	v_bfe_u32 v8, v5, 21, 1
	s_mov_b32 s19, exec_lo
	s_delay_alu instid0(VALU_DEP_1) | instskip(NEXT) | instid1(VALU_DEP_1)
	v_add3_u32 v8, v5, v8, 0x88fffff
	v_lshrrev_b32_e32 v9, 21, v8
	s_or_saveexec_b32 s20, s20
                                        ; implicit-def: $sgpr21
	s_delay_alu instid0(SALU_CYCLE_1)
	s_xor_b32 exec_lo, exec_lo, s20
	s_cbranch_execz .LBB399_14
.LBB399_30:                             ;   in Loop: Header=BB399_5 Depth=1
	v_add_f32_e64 v8, 0x42800000, |v5|
	s_and_not1_b32 s19, s19, exec_lo
	s_mov_b32 s21, 0
	s_delay_alu instid0(VALU_DEP_1) | instskip(NEXT) | instid1(VALU_DEP_1)
	v_and_b32_e32 v9, 0xff, v8
	v_cmp_ne_u32_e32 vcc_lo, 0, v9
	s_and_b32 s22, vcc_lo, exec_lo
	s_delay_alu instid0(SALU_CYCLE_1)
	s_or_b32 s19, s19, s22
	s_or_b32 exec_lo, exec_lo, s20
	v_mov_b32_e32 v8, s21
	s_and_saveexec_b32 s20, s19
	s_cbranch_execnz .LBB399_15
	s_branch .LBB399_16
.LBB399_31:                             ;   in Loop: Header=BB399_5 Depth=1
	v_bfe_u32 v9, v10, 21, 1
	s_mov_b32 s19, exec_lo
	s_delay_alu instid0(VALU_DEP_1) | instskip(NEXT) | instid1(VALU_DEP_1)
	v_add3_u32 v9, v10, v9, 0x88fffff
	v_lshrrev_b32_e32 v11, 21, v9
	s_or_saveexec_b32 s20, s20
                                        ; implicit-def: $sgpr21
	s_delay_alu instid0(SALU_CYCLE_1)
	s_xor_b32 exec_lo, exec_lo, s20
	s_cbranch_execz .LBB399_20
.LBB399_32:                             ;   in Loop: Header=BB399_5 Depth=1
	v_add_f32_e64 v9, 0x42800000, |v10|
	s_and_not1_b32 s19, s19, exec_lo
	s_mov_b32 s21, 0
	s_delay_alu instid0(VALU_DEP_1) | instskip(NEXT) | instid1(VALU_DEP_1)
	v_and_b32_e32 v11, 0xff, v9
	v_cmp_ne_u32_e32 vcc_lo, 0, v11
	s_and_b32 s22, vcc_lo, exec_lo
	s_delay_alu instid0(SALU_CYCLE_1)
	s_or_b32 s19, s19, s22
	s_or_b32 exec_lo, exec_lo, s20
	v_mov_b32_e32 v9, s21
	s_and_saveexec_b32 s20, s19
	s_cbranch_execnz .LBB399_21
	s_branch .LBB399_22
.LBB399_33:                             ;   in Loop: Header=BB399_5 Depth=1
	v_bfe_u32 v5, v6, 21, 1
	s_mov_b32 s19, exec_lo
	s_delay_alu instid0(VALU_DEP_1) | instskip(NEXT) | instid1(VALU_DEP_1)
	v_add3_u32 v5, v6, v5, 0x88fffff
	v_lshrrev_b32_e32 v10, 21, v5
	s_or_saveexec_b32 s20, s20
                                        ; implicit-def: $sgpr21
	s_delay_alu instid0(SALU_CYCLE_1)
	s_xor_b32 exec_lo, exec_lo, s20
	s_cbranch_execz .LBB399_26
.LBB399_34:                             ;   in Loop: Header=BB399_5 Depth=1
	v_add_f32_e64 v5, 0x42800000, |v6|
	s_and_not1_b32 s19, s19, exec_lo
	s_mov_b32 s21, 0
	s_delay_alu instid0(VALU_DEP_1) | instskip(NEXT) | instid1(VALU_DEP_1)
	v_and_b32_e32 v10, 0xff, v5
	v_cmp_ne_u32_e32 vcc_lo, 0, v10
	s_and_b32 s22, vcc_lo, exec_lo
	s_delay_alu instid0(SALU_CYCLE_1)
	s_or_b32 s19, s19, s22
	s_or_b32 exec_lo, exec_lo, s20
	v_mov_b32_e32 v5, s21
	s_and_saveexec_b32 s20, s19
	s_cbranch_execz .LBB399_3
.LBB399_35:                             ;   in Loop: Header=BB399_5 Depth=1
	v_lshrrev_b32_e32 v5, 24, v6
	s_delay_alu instid0(VALU_DEP_1)
	v_and_or_b32 v5, 0x80, v5, v10
	s_branch .LBB399_3
.LBB399_36:
	s_or_b32 exec_lo, exec_lo, s3
	s_mov_b32 s2, 0
.LBB399_37:
	s_delay_alu instid0(SALU_CYCLE_1)
	s_and_not1_b32 vcc_lo, exec_lo, s2
	s_cbranch_vccnz .LBB399_89
; %bb.38:
	v_cmp_lt_i64_e64 s2, s[4:5], 1
	s_delay_alu instid0(VALU_DEP_1)
	s_and_b32 vcc_lo, exec_lo, s2
	s_cbranch_vccnz .LBB399_89
; %bb.39:
	s_load_b32 s0, s[0:1], 0xc5c
	v_cmp_gt_u64_e64 s1, 0x10000, s[4:5]
	v_add_co_u32 v5, s2, s8, v0
	v_lshlrev_b32_e32 v1, 1, v0
	v_add_co_ci_u32_e64 v6, null, s9, 0, s2
	s_delay_alu instid0(VALU_DEP_3) | instskip(NEXT) | instid1(VALU_DEP_2)
	v_add_co_u32 v15, vcc_lo, s6, v5
	v_add_co_ci_u32_e32 v16, vcc_lo, s7, v6, vcc_lo
	s_waitcnt lgkmcnt(0)
	s_and_b32 s0, s0, 0xffff
	s_and_b32 s1, s1, exec_lo
	s_cselect_b32 s3, s5, 0
	s_cselect_b32 s2, s4, 0x10000
	s_lshl_b64 s[10:11], s[10:11], 17
	s_lshl_b32 s14, s0, 1
	s_lshl_b32 s1, s0, 2
	s_add_u32 s12, s12, s10
	s_mul_i32 s15, s0, 3
	s_addc_u32 s11, s13, s11
	s_lshl_b32 s10, s0, 3
	v_add_co_u32 v1, s16, s12, v1
	s_add_u32 s13, s8, s15
	v_add_co_ci_u32_e64 v2, null, s11, 0, s16
	s_addc_u32 s16, s9, 0
	s_add_u32 s13, s6, s13
	s_addc_u32 s16, s7, s16
	v_add_co_u32 v17, s13, s13, v0
	s_delay_alu instid0(VALU_DEP_1) | instskip(SKIP_1) | instid1(VALU_DEP_1)
	v_add_co_ci_u32_e64 v18, null, s16, 0, s13
	v_add_co_u32 v19, s13, s15, v0
	v_add_co_ci_u32_e64 v20, null, 0, 0, s13
	v_add_co_u32 v21, s13, v0, s0
	s_add_u32 s8, s8, s14
	s_addc_u32 s9, s9, 0
	s_add_u32 s8, s6, s8
	s_delay_alu instid0(VALU_DEP_1) | instskip(SKIP_2) | instid1(VALU_DEP_1)
	v_lshlrev_b32_e32 v3, 1, v21
	s_addc_u32 s9, s7, s9
	v_add_co_u32 v22, s8, s8, v0
	v_add_co_ci_u32_e64 v23, null, s9, 0, s8
	v_add_co_u32 v25, s8, s14, v0
	s_add_u32 s6, s6, s0
	v_add_co_ci_u32_e64 v26, null, 0, 0, s8
	v_add_co_u32 v3, s8, s12, v3
	s_addc_u32 s7, s7, 0
	v_add_co_u32 v27, vcc_lo, s6, v5
	v_add_co_ci_u32_e64 v24, null, 0, 0, s13
	v_add_co_ci_u32_e64 v4, null, s11, 0, s8
	v_add_co_ci_u32_e32 v28, vcc_lo, s7, v6, vcc_lo
	s_mul_i32 s8, s0, 6
	s_mov_b64 s[6:7], 0
                                        ; implicit-def: $vgpr5_vgpr6
	s_branch .LBB399_41
.LBB399_40:                             ;   in Loop: Header=BB399_41 Depth=1
	s_or_b32 exec_lo, exec_lo, s0
	s_add_u32 s6, s6, s1
	s_addc_u32 s7, s7, 0
	v_add_co_u32 v1, vcc_lo, v1, s10
	v_cmp_ge_i64_e64 s0, s[6:7], s[4:5]
	v_cmp_lt_u64_e64 s9, 0xffff, s[6:7]
	v_add_co_ci_u32_e32 v2, vcc_lo, 0, v2, vcc_lo
	v_add_co_u32 v3, vcc_lo, v3, s10
	v_add_co_ci_u32_e32 v4, vcc_lo, 0, v4, vcc_lo
	s_delay_alu instid0(VALU_DEP_4) | instskip(NEXT) | instid1(SALU_CYCLE_1)
	s_or_b32 s0, s0, s9
	s_and_b32 vcc_lo, exec_lo, s0
	s_cbranch_vccnz .LBB399_89
.LBB399_41:                             ; =>This Inner Loop Header: Depth=1
	v_add_co_u32 v7, s0, v0, s6
	s_delay_alu instid0(VALU_DEP_1) | instskip(NEXT) | instid1(VALU_DEP_1)
	v_add_co_ci_u32_e64 v8, null, 0, s7, s0
	v_cmp_gt_i64_e32 vcc_lo, s[4:5], v[7:8]
	v_cmp_gt_u64_e64 s0, 0x10000, v[7:8]
	s_delay_alu instid0(VALU_DEP_1) | instskip(NEXT) | instid1(SALU_CYCLE_1)
	s_and_b32 s9, vcc_lo, s0
	s_and_saveexec_b32 s0, s9
	s_cbranch_execz .LBB399_43
; %bb.42:                               ;   in Loop: Header=BB399_41 Depth=1
	global_load_d16_b16 v5, v[1:2], off
.LBB399_43:                             ;   in Loop: Header=BB399_41 Depth=1
	s_or_b32 exec_lo, exec_lo, s0
	v_add_co_u32 v9, vcc_lo, v21, s6
	v_add_co_ci_u32_e32 v10, vcc_lo, s7, v24, vcc_lo
	s_delay_alu instid0(VALU_DEP_1) | instskip(SKIP_1) | instid1(VALU_DEP_1)
	v_cmp_gt_i64_e32 vcc_lo, s[4:5], v[9:10]
	v_cmp_gt_u64_e64 s0, 0x10000, v[9:10]
	s_and_b32 s9, vcc_lo, s0
	s_delay_alu instid0(SALU_CYCLE_1)
	s_and_saveexec_b32 s0, s9
	s_cbranch_execz .LBB399_45
; %bb.44:                               ;   in Loop: Header=BB399_41 Depth=1
	global_load_d16_hi_b16 v5, v[3:4], off
.LBB399_45:                             ;   in Loop: Header=BB399_41 Depth=1
	s_or_b32 exec_lo, exec_lo, s0
	v_add_co_u32 v11, vcc_lo, v25, s6
	v_add_co_ci_u32_e32 v12, vcc_lo, s7, v26, vcc_lo
	s_delay_alu instid0(VALU_DEP_1) | instskip(SKIP_1) | instid1(VALU_DEP_1)
	v_cmp_gt_i64_e32 vcc_lo, s[4:5], v[11:12]
	v_cmp_gt_u64_e64 s0, 0x10000, v[11:12]
	s_and_b32 s9, vcc_lo, s0
	s_delay_alu instid0(SALU_CYCLE_1)
	s_and_saveexec_b32 s0, s9
	s_cbranch_execz .LBB399_47
; %bb.46:                               ;   in Loop: Header=BB399_41 Depth=1
	v_add_co_u32 v13, vcc_lo, v1, s1
	v_add_co_ci_u32_e32 v14, vcc_lo, 0, v2, vcc_lo
	global_load_d16_b16 v6, v[13:14], off
.LBB399_47:                             ;   in Loop: Header=BB399_41 Depth=1
	s_or_b32 exec_lo, exec_lo, s0
	v_add_co_u32 v13, vcc_lo, v19, s6
	v_add_co_ci_u32_e32 v14, vcc_lo, s7, v20, vcc_lo
	s_delay_alu instid0(VALU_DEP_1) | instskip(SKIP_1) | instid1(VALU_DEP_1)
	v_cmp_gt_i64_e32 vcc_lo, s[4:5], v[13:14]
	v_cmp_gt_u64_e64 s0, 0x10000, v[13:14]
	s_and_b32 s9, vcc_lo, s0
	s_delay_alu instid0(SALU_CYCLE_1)
	s_and_saveexec_b32 s0, s9
	s_cbranch_execz .LBB399_49
; %bb.48:                               ;   in Loop: Header=BB399_41 Depth=1
	v_add_co_u32 v29, vcc_lo, v1, s8
	v_add_co_ci_u32_e32 v30, vcc_lo, 0, v2, vcc_lo
	global_load_d16_hi_b16 v6, v[29:30], off
.LBB399_49:                             ;   in Loop: Header=BB399_41 Depth=1
	s_or_b32 exec_lo, exec_lo, s0
	s_waitcnt vmcnt(0)
	v_bfe_i32 v29, v5, 0, 16
	s_mov_b32 s0, exec_lo
	v_mov_b32_e32 v30, 0x80
	s_delay_alu instid0(VALU_DEP_2) | instskip(SKIP_1) | instid1(VALU_DEP_2)
	v_cvt_f32_i32_e32 v31, v29
	v_mov_b32_e32 v29, 0x80
	v_and_b32_e32 v32, 0x7fffffff, v31
	s_delay_alu instid0(VALU_DEP_1)
	v_cmpx_gt_u32_e32 0x47800000, v32
	s_cbranch_execz .LBB399_55
; %bb.50:                               ;   in Loop: Header=BB399_41 Depth=1
	v_cmp_lt_u32_e32 vcc_lo, 0x37ffffff, v32
	s_mov_b32 s9, 0
                                        ; implicit-def: $vgpr32
	s_and_saveexec_b32 s11, vcc_lo
	s_delay_alu instid0(SALU_CYCLE_1)
	s_xor_b32 s11, exec_lo, s11
	s_cbranch_execnz .LBB399_81
; %bb.51:                               ;   in Loop: Header=BB399_41 Depth=1
	s_or_saveexec_b32 s11, s11
                                        ; implicit-def: $sgpr12
	s_delay_alu instid0(SALU_CYCLE_1)
	s_xor_b32 exec_lo, exec_lo, s11
	s_cbranch_execnz .LBB399_82
.LBB399_52:                             ;   in Loop: Header=BB399_41 Depth=1
	s_or_b32 exec_lo, exec_lo, s11
	v_mov_b32_e32 v30, s12
	s_and_saveexec_b32 s11, s9
.LBB399_53:                             ;   in Loop: Header=BB399_41 Depth=1
	v_lshrrev_b32_e32 v30, 24, v31
	s_delay_alu instid0(VALU_DEP_1)
	v_and_or_b32 v30, 0x80, v30, v32
.LBB399_54:                             ;   in Loop: Header=BB399_41 Depth=1
	s_or_b32 exec_lo, exec_lo, s11
.LBB399_55:                             ;   in Loop: Header=BB399_41 Depth=1
	s_delay_alu instid0(SALU_CYCLE_1) | instskip(SKIP_2) | instid1(VALU_DEP_1)
	s_or_b32 exec_lo, exec_lo, s0
	v_ashrrev_i32_e32 v31, 16, v5
	s_mov_b32 s0, exec_lo
	v_cvt_f32_i32_e32 v31, v31
	s_delay_alu instid0(VALU_DEP_1) | instskip(NEXT) | instid1(VALU_DEP_1)
	v_and_b32_e32 v32, 0x7fffffff, v31
	v_cmpx_gt_u32_e32 0x47800000, v32
	s_cbranch_execz .LBB399_61
; %bb.56:                               ;   in Loop: Header=BB399_41 Depth=1
	v_cmp_lt_u32_e32 vcc_lo, 0x37ffffff, v32
	s_mov_b32 s9, 0
                                        ; implicit-def: $vgpr32
	s_and_saveexec_b32 s11, vcc_lo
	s_delay_alu instid0(SALU_CYCLE_1)
	s_xor_b32 s11, exec_lo, s11
	s_cbranch_execnz .LBB399_83
; %bb.57:                               ;   in Loop: Header=BB399_41 Depth=1
	s_or_saveexec_b32 s11, s11
                                        ; implicit-def: $sgpr12
	s_delay_alu instid0(SALU_CYCLE_1)
	s_xor_b32 exec_lo, exec_lo, s11
	s_cbranch_execnz .LBB399_84
.LBB399_58:                             ;   in Loop: Header=BB399_41 Depth=1
	s_or_b32 exec_lo, exec_lo, s11
	v_mov_b32_e32 v29, s12
	s_and_saveexec_b32 s11, s9
.LBB399_59:                             ;   in Loop: Header=BB399_41 Depth=1
	v_lshrrev_b32_e32 v29, 24, v31
	s_delay_alu instid0(VALU_DEP_1)
	v_and_or_b32 v29, 0x80, v29, v32
.LBB399_60:                             ;   in Loop: Header=BB399_41 Depth=1
	s_or_b32 exec_lo, exec_lo, s11
.LBB399_61:                             ;   in Loop: Header=BB399_41 Depth=1
	s_delay_alu instid0(SALU_CYCLE_1) | instskip(SKIP_3) | instid1(VALU_DEP_2)
	s_or_b32 exec_lo, exec_lo, s0
	v_bfe_i32 v31, v6, 0, 16
	s_mov_b32 s0, exec_lo
	v_mov_b32_e32 v32, 0x80
	v_cvt_f32_i32_e32 v33, v31
	v_mov_b32_e32 v31, 0x80
	s_delay_alu instid0(VALU_DEP_2) | instskip(NEXT) | instid1(VALU_DEP_1)
	v_and_b32_e32 v34, 0x7fffffff, v33
	v_cmpx_gt_u32_e32 0x47800000, v34
	s_cbranch_execz .LBB399_67
; %bb.62:                               ;   in Loop: Header=BB399_41 Depth=1
	v_cmp_lt_u32_e32 vcc_lo, 0x37ffffff, v34
	s_mov_b32 s9, 0
                                        ; implicit-def: $vgpr34
	s_and_saveexec_b32 s11, vcc_lo
	s_delay_alu instid0(SALU_CYCLE_1)
	s_xor_b32 s11, exec_lo, s11
	s_cbranch_execnz .LBB399_85
; %bb.63:                               ;   in Loop: Header=BB399_41 Depth=1
	s_or_saveexec_b32 s11, s11
                                        ; implicit-def: $sgpr12
	s_delay_alu instid0(SALU_CYCLE_1)
	s_xor_b32 exec_lo, exec_lo, s11
	s_cbranch_execnz .LBB399_86
.LBB399_64:                             ;   in Loop: Header=BB399_41 Depth=1
	s_or_b32 exec_lo, exec_lo, s11
	v_mov_b32_e32 v32, s12
	s_and_saveexec_b32 s11, s9
.LBB399_65:                             ;   in Loop: Header=BB399_41 Depth=1
	v_lshrrev_b32_e32 v32, 24, v33
	s_delay_alu instid0(VALU_DEP_1)
	v_and_or_b32 v32, 0x80, v32, v34
.LBB399_66:                             ;   in Loop: Header=BB399_41 Depth=1
	s_or_b32 exec_lo, exec_lo, s11
.LBB399_67:                             ;   in Loop: Header=BB399_41 Depth=1
	s_delay_alu instid0(SALU_CYCLE_1) | instskip(SKIP_2) | instid1(VALU_DEP_1)
	s_or_b32 exec_lo, exec_lo, s0
	v_ashrrev_i32_e32 v33, 16, v6
	s_mov_b32 s0, exec_lo
	v_cvt_f32_i32_e32 v33, v33
	s_delay_alu instid0(VALU_DEP_1) | instskip(NEXT) | instid1(VALU_DEP_1)
	v_and_b32_e32 v34, 0x7fffffff, v33
	v_cmpx_gt_u32_e32 0x47800000, v34
	s_cbranch_execz .LBB399_73
; %bb.68:                               ;   in Loop: Header=BB399_41 Depth=1
	v_cmp_lt_u32_e32 vcc_lo, 0x37ffffff, v34
	s_mov_b32 s9, 0
                                        ; implicit-def: $vgpr34
	s_and_saveexec_b32 s11, vcc_lo
	s_delay_alu instid0(SALU_CYCLE_1)
	s_xor_b32 s11, exec_lo, s11
	s_cbranch_execnz .LBB399_87
; %bb.69:                               ;   in Loop: Header=BB399_41 Depth=1
	s_or_saveexec_b32 s11, s11
                                        ; implicit-def: $sgpr12
	s_delay_alu instid0(SALU_CYCLE_1)
	s_xor_b32 exec_lo, exec_lo, s11
	s_cbranch_execnz .LBB399_88
.LBB399_70:                             ;   in Loop: Header=BB399_41 Depth=1
	s_or_b32 exec_lo, exec_lo, s11
	v_mov_b32_e32 v31, s12
	s_and_saveexec_b32 s11, s9
.LBB399_71:                             ;   in Loop: Header=BB399_41 Depth=1
	v_lshrrev_b32_e32 v31, 24, v33
	s_delay_alu instid0(VALU_DEP_1)
	v_and_or_b32 v31, 0x80, v31, v34
.LBB399_72:                             ;   in Loop: Header=BB399_41 Depth=1
	s_or_b32 exec_lo, exec_lo, s11
.LBB399_73:                             ;   in Loop: Header=BB399_41 Depth=1
	s_delay_alu instid0(SALU_CYCLE_1) | instskip(NEXT) | instid1(SALU_CYCLE_1)
	s_or_b32 exec_lo, exec_lo, s0
	s_mov_b32 s0, exec_lo
	v_cmpx_gt_u64_e64 s[2:3], v[7:8]
	s_xor_b32 s0, exec_lo, s0
	s_cbranch_execnz .LBB399_77
; %bb.74:                               ;   in Loop: Header=BB399_41 Depth=1
	s_or_b32 exec_lo, exec_lo, s0
	s_delay_alu instid0(SALU_CYCLE_1)
	s_mov_b32 s0, exec_lo
	v_cmpx_gt_u64_e64 s[2:3], v[9:10]
	s_cbranch_execnz .LBB399_78
.LBB399_75:                             ;   in Loop: Header=BB399_41 Depth=1
	s_or_b32 exec_lo, exec_lo, s0
	s_delay_alu instid0(SALU_CYCLE_1)
	s_mov_b32 s0, exec_lo
	v_cmpx_gt_u64_e64 s[2:3], v[11:12]
	s_cbranch_execnz .LBB399_79
.LBB399_76:                             ;   in Loop: Header=BB399_41 Depth=1
	s_or_b32 exec_lo, exec_lo, s0
	s_delay_alu instid0(SALU_CYCLE_1)
	s_mov_b32 s0, exec_lo
	v_cmpx_gt_u64_e64 s[2:3], v[13:14]
	s_cbranch_execz .LBB399_40
	s_branch .LBB399_80
.LBB399_77:                             ;   in Loop: Header=BB399_41 Depth=1
	v_add_co_u32 v7, vcc_lo, v15, s6
	v_add_co_ci_u32_e32 v8, vcc_lo, s7, v16, vcc_lo
	global_store_b8 v[7:8], v30, off
	s_or_b32 exec_lo, exec_lo, s0
	s_delay_alu instid0(SALU_CYCLE_1)
	s_mov_b32 s0, exec_lo
	v_cmpx_gt_u64_e64 s[2:3], v[9:10]
	s_cbranch_execz .LBB399_75
.LBB399_78:                             ;   in Loop: Header=BB399_41 Depth=1
	v_add_co_u32 v7, vcc_lo, v27, s6
	v_add_co_ci_u32_e32 v8, vcc_lo, s7, v28, vcc_lo
	global_store_b8 v[7:8], v29, off
	s_or_b32 exec_lo, exec_lo, s0
	s_delay_alu instid0(SALU_CYCLE_1)
	s_mov_b32 s0, exec_lo
	v_cmpx_gt_u64_e64 s[2:3], v[11:12]
	s_cbranch_execz .LBB399_76
.LBB399_79:                             ;   in Loop: Header=BB399_41 Depth=1
	v_add_co_u32 v7, vcc_lo, v22, s6
	v_add_co_ci_u32_e32 v8, vcc_lo, s7, v23, vcc_lo
	global_store_b8 v[7:8], v32, off
	s_or_b32 exec_lo, exec_lo, s0
	s_delay_alu instid0(SALU_CYCLE_1)
	s_mov_b32 s0, exec_lo
	v_cmpx_gt_u64_e64 s[2:3], v[13:14]
	s_cbranch_execz .LBB399_40
.LBB399_80:                             ;   in Loop: Header=BB399_41 Depth=1
	v_add_co_u32 v7, vcc_lo, v17, s6
	v_add_co_ci_u32_e32 v8, vcc_lo, s7, v18, vcc_lo
	global_store_b8 v[7:8], v31, off
	s_branch .LBB399_40
.LBB399_81:                             ;   in Loop: Header=BB399_41 Depth=1
	v_bfe_u32 v30, v31, 21, 1
	s_mov_b32 s9, exec_lo
	s_delay_alu instid0(VALU_DEP_1) | instskip(NEXT) | instid1(VALU_DEP_1)
	v_add3_u32 v30, v31, v30, 0x88fffff
	v_lshrrev_b32_e32 v32, 21, v30
	s_or_saveexec_b32 s11, s11
                                        ; implicit-def: $sgpr12
	s_delay_alu instid0(SALU_CYCLE_1)
	s_xor_b32 exec_lo, exec_lo, s11
	s_cbranch_execz .LBB399_52
.LBB399_82:                             ;   in Loop: Header=BB399_41 Depth=1
	v_add_f32_e64 v30, 0x42800000, |v31|
	s_and_not1_b32 s9, s9, exec_lo
	s_mov_b32 s12, 0
	s_delay_alu instid0(VALU_DEP_1) | instskip(NEXT) | instid1(VALU_DEP_1)
	v_and_b32_e32 v32, 0xff, v30
	v_cmp_ne_u32_e32 vcc_lo, 0, v32
	s_and_b32 s13, vcc_lo, exec_lo
	s_delay_alu instid0(SALU_CYCLE_1)
	s_or_b32 s9, s9, s13
	s_or_b32 exec_lo, exec_lo, s11
	v_mov_b32_e32 v30, s12
	s_and_saveexec_b32 s11, s9
	s_cbranch_execnz .LBB399_53
	s_branch .LBB399_54
.LBB399_83:                             ;   in Loop: Header=BB399_41 Depth=1
	v_bfe_u32 v29, v31, 21, 1
	s_mov_b32 s9, exec_lo
	s_delay_alu instid0(VALU_DEP_1) | instskip(NEXT) | instid1(VALU_DEP_1)
	v_add3_u32 v29, v31, v29, 0x88fffff
	v_lshrrev_b32_e32 v32, 21, v29
	s_or_saveexec_b32 s11, s11
                                        ; implicit-def: $sgpr12
	s_delay_alu instid0(SALU_CYCLE_1)
	s_xor_b32 exec_lo, exec_lo, s11
	s_cbranch_execz .LBB399_58
.LBB399_84:                             ;   in Loop: Header=BB399_41 Depth=1
	v_add_f32_e64 v29, 0x42800000, |v31|
	s_and_not1_b32 s9, s9, exec_lo
	s_mov_b32 s12, 0
	s_delay_alu instid0(VALU_DEP_1) | instskip(NEXT) | instid1(VALU_DEP_1)
	v_and_b32_e32 v32, 0xff, v29
	v_cmp_ne_u32_e32 vcc_lo, 0, v32
	s_and_b32 s13, vcc_lo, exec_lo
	s_delay_alu instid0(SALU_CYCLE_1)
	s_or_b32 s9, s9, s13
	s_or_b32 exec_lo, exec_lo, s11
	v_mov_b32_e32 v29, s12
	s_and_saveexec_b32 s11, s9
	s_cbranch_execnz .LBB399_59
	s_branch .LBB399_60
.LBB399_85:                             ;   in Loop: Header=BB399_41 Depth=1
	v_bfe_u32 v32, v33, 21, 1
	s_mov_b32 s9, exec_lo
	s_delay_alu instid0(VALU_DEP_1) | instskip(NEXT) | instid1(VALU_DEP_1)
	v_add3_u32 v32, v33, v32, 0x88fffff
	v_lshrrev_b32_e32 v34, 21, v32
	s_or_saveexec_b32 s11, s11
                                        ; implicit-def: $sgpr12
	s_delay_alu instid0(SALU_CYCLE_1)
	s_xor_b32 exec_lo, exec_lo, s11
	s_cbranch_execz .LBB399_64
.LBB399_86:                             ;   in Loop: Header=BB399_41 Depth=1
	v_add_f32_e64 v32, 0x42800000, |v33|
	s_and_not1_b32 s9, s9, exec_lo
	s_mov_b32 s12, 0
	s_delay_alu instid0(VALU_DEP_1) | instskip(NEXT) | instid1(VALU_DEP_1)
	v_and_b32_e32 v34, 0xff, v32
	v_cmp_ne_u32_e32 vcc_lo, 0, v34
	s_and_b32 s13, vcc_lo, exec_lo
	s_delay_alu instid0(SALU_CYCLE_1)
	s_or_b32 s9, s9, s13
	s_or_b32 exec_lo, exec_lo, s11
	v_mov_b32_e32 v32, s12
	s_and_saveexec_b32 s11, s9
	s_cbranch_execnz .LBB399_65
	s_branch .LBB399_66
.LBB399_87:                             ;   in Loop: Header=BB399_41 Depth=1
	v_bfe_u32 v31, v33, 21, 1
	s_mov_b32 s9, exec_lo
	s_delay_alu instid0(VALU_DEP_1) | instskip(NEXT) | instid1(VALU_DEP_1)
	v_add3_u32 v31, v33, v31, 0x88fffff
	v_lshrrev_b32_e32 v34, 21, v31
	s_or_saveexec_b32 s11, s11
                                        ; implicit-def: $sgpr12
	s_delay_alu instid0(SALU_CYCLE_1)
	s_xor_b32 exec_lo, exec_lo, s11
	s_cbranch_execz .LBB399_70
.LBB399_88:                             ;   in Loop: Header=BB399_41 Depth=1
	v_add_f32_e64 v31, 0x42800000, |v33|
	s_and_not1_b32 s9, s9, exec_lo
	s_mov_b32 s12, 0
	s_delay_alu instid0(VALU_DEP_1) | instskip(NEXT) | instid1(VALU_DEP_1)
	v_and_b32_e32 v34, 0xff, v31
	v_cmp_ne_u32_e32 vcc_lo, 0, v34
	s_and_b32 s13, vcc_lo, exec_lo
	s_delay_alu instid0(SALU_CYCLE_1)
	s_or_b32 s9, s9, s13
	s_or_b32 exec_lo, exec_lo, s11
	v_mov_b32_e32 v31, s12
	s_and_saveexec_b32 s11, s9
	s_cbranch_execnz .LBB399_71
	s_branch .LBB399_72
.LBB399_89:
	s_nop 0
	s_sendmsg sendmsg(MSG_DEALLOC_VGPRS)
	s_endpgm
	.section	.rodata,"a",@progbits
	.p2align	6, 0x0
	.amdhsa_kernel _ZN2at6native12_GLOBAL__N_125multi_tensor_apply_kernelINS1_18TensorListMetadataILi2EEENS1_11CopyFunctorIN3c1015Float8_e5m2fnuzEsLi2ELi1ELi1EEEJNS0_4CopyIS7_sEEEEEvT_T0_DpT1_
		.amdhsa_group_segment_fixed_size 0
		.amdhsa_private_segment_fixed_size 0
		.amdhsa_kernarg_size 3408
		.amdhsa_user_sgpr_count 15
		.amdhsa_user_sgpr_dispatch_ptr 0
		.amdhsa_user_sgpr_queue_ptr 0
		.amdhsa_user_sgpr_kernarg_segment_ptr 1
		.amdhsa_user_sgpr_dispatch_id 0
		.amdhsa_user_sgpr_private_segment_size 0
		.amdhsa_wavefront_size32 1
		.amdhsa_uses_dynamic_stack 0
		.amdhsa_enable_private_segment 0
		.amdhsa_system_sgpr_workgroup_id_x 1
		.amdhsa_system_sgpr_workgroup_id_y 0
		.amdhsa_system_sgpr_workgroup_id_z 0
		.amdhsa_system_sgpr_workgroup_info 0
		.amdhsa_system_vgpr_workitem_id 0
		.amdhsa_next_free_vgpr 35
		.amdhsa_next_free_sgpr 23
		.amdhsa_reserve_vcc 1
		.amdhsa_float_round_mode_32 0
		.amdhsa_float_round_mode_16_64 0
		.amdhsa_float_denorm_mode_32 3
		.amdhsa_float_denorm_mode_16_64 3
		.amdhsa_dx10_clamp 1
		.amdhsa_ieee_mode 1
		.amdhsa_fp16_overflow 0
		.amdhsa_workgroup_processor_mode 1
		.amdhsa_memory_ordered 1
		.amdhsa_forward_progress 0
		.amdhsa_shared_vgpr_count 0
		.amdhsa_exception_fp_ieee_invalid_op 0
		.amdhsa_exception_fp_denorm_src 0
		.amdhsa_exception_fp_ieee_div_zero 0
		.amdhsa_exception_fp_ieee_overflow 0
		.amdhsa_exception_fp_ieee_underflow 0
		.amdhsa_exception_fp_ieee_inexact 0
		.amdhsa_exception_int_div_zero 0
	.end_amdhsa_kernel
	.section	.text._ZN2at6native12_GLOBAL__N_125multi_tensor_apply_kernelINS1_18TensorListMetadataILi2EEENS1_11CopyFunctorIN3c1015Float8_e5m2fnuzEsLi2ELi1ELi1EEEJNS0_4CopyIS7_sEEEEEvT_T0_DpT1_,"axG",@progbits,_ZN2at6native12_GLOBAL__N_125multi_tensor_apply_kernelINS1_18TensorListMetadataILi2EEENS1_11CopyFunctorIN3c1015Float8_e5m2fnuzEsLi2ELi1ELi1EEEJNS0_4CopyIS7_sEEEEEvT_T0_DpT1_,comdat
.Lfunc_end399:
	.size	_ZN2at6native12_GLOBAL__N_125multi_tensor_apply_kernelINS1_18TensorListMetadataILi2EEENS1_11CopyFunctorIN3c1015Float8_e5m2fnuzEsLi2ELi1ELi1EEEJNS0_4CopyIS7_sEEEEEvT_T0_DpT1_, .Lfunc_end399-_ZN2at6native12_GLOBAL__N_125multi_tensor_apply_kernelINS1_18TensorListMetadataILi2EEENS1_11CopyFunctorIN3c1015Float8_e5m2fnuzEsLi2ELi1ELi1EEEJNS0_4CopyIS7_sEEEEEvT_T0_DpT1_
                                        ; -- End function
	.section	.AMDGPU.csdata,"",@progbits
; Kernel info:
; codeLenInByte = 3364
; NumSgprs: 25
; NumVgprs: 35
; ScratchSize: 0
; MemoryBound: 0
; FloatMode: 240
; IeeeMode: 1
; LDSByteSize: 0 bytes/workgroup (compile time only)
; SGPRBlocks: 3
; VGPRBlocks: 4
; NumSGPRsForWavesPerEU: 25
; NumVGPRsForWavesPerEU: 35
; Occupancy: 16
; WaveLimiterHint : 0
; COMPUTE_PGM_RSRC2:SCRATCH_EN: 0
; COMPUTE_PGM_RSRC2:USER_SGPR: 15
; COMPUTE_PGM_RSRC2:TRAP_HANDLER: 0
; COMPUTE_PGM_RSRC2:TGID_X_EN: 1
; COMPUTE_PGM_RSRC2:TGID_Y_EN: 0
; COMPUTE_PGM_RSRC2:TGID_Z_EN: 0
; COMPUTE_PGM_RSRC2:TIDIG_COMP_CNT: 0
	.section	.text._ZN2at6native12_GLOBAL__N_125multi_tensor_apply_kernelINS1_18TensorListMetadataILi2EEENS1_11CopyFunctorIN3c1015Float8_e5m2fnuzEiLi2ELi1ELi1EEEJNS0_4CopyIS7_iEEEEEvT_T0_DpT1_,"axG",@progbits,_ZN2at6native12_GLOBAL__N_125multi_tensor_apply_kernelINS1_18TensorListMetadataILi2EEENS1_11CopyFunctorIN3c1015Float8_e5m2fnuzEiLi2ELi1ELi1EEEJNS0_4CopyIS7_iEEEEEvT_T0_DpT1_,comdat
	.globl	_ZN2at6native12_GLOBAL__N_125multi_tensor_apply_kernelINS1_18TensorListMetadataILi2EEENS1_11CopyFunctorIN3c1015Float8_e5m2fnuzEiLi2ELi1ELi1EEEJNS0_4CopyIS7_iEEEEEvT_T0_DpT1_ ; -- Begin function _ZN2at6native12_GLOBAL__N_125multi_tensor_apply_kernelINS1_18TensorListMetadataILi2EEENS1_11CopyFunctorIN3c1015Float8_e5m2fnuzEiLi2ELi1ELi1EEEJNS0_4CopyIS7_iEEEEEvT_T0_DpT1_
	.p2align	8
	.type	_ZN2at6native12_GLOBAL__N_125multi_tensor_apply_kernelINS1_18TensorListMetadataILi2EEENS1_11CopyFunctorIN3c1015Float8_e5m2fnuzEiLi2ELi1ELi1EEEJNS0_4CopyIS7_iEEEEEvT_T0_DpT1_,@function
_ZN2at6native12_GLOBAL__N_125multi_tensor_apply_kernelINS1_18TensorListMetadataILi2EEENS1_11CopyFunctorIN3c1015Float8_e5m2fnuzEiLi2ELi1ELi1EEEJNS0_4CopyIS7_iEEEEEvT_T0_DpT1_: ; @_ZN2at6native12_GLOBAL__N_125multi_tensor_apply_kernelINS1_18TensorListMetadataILi2EEENS1_11CopyFunctorIN3c1015Float8_e5m2fnuzEiLi2ELi1ELi1EEEJNS0_4CopyIS7_iEEEEEvT_T0_DpT1_
; %bb.0:
	v_mov_b32_e32 v1, s15
	s_add_u32 s2, s0, s15
	s_mul_i32 s4, s15, 3
	s_addc_u32 s3, s1, 0
	s_mul_hi_u32 s5, s15, 3
	global_load_u8 v1, v1, s[0:1] offset:1536
	s_add_u32 s2, s2, s4
	s_addc_u32 s3, s3, s5
	s_mov_b32 s17, 0
	s_load_b32 s10, s[2:3], 0x740
	s_waitcnt lgkmcnt(0)
	s_ashr_i32 s11, s10, 31
	s_delay_alu instid0(SALU_CYCLE_1) | instskip(SKIP_2) | instid1(VALU_DEP_1)
	s_lshl_b64 s[8:9], s[10:11], 16
	s_waitcnt vmcnt(0)
	v_readfirstlane_b32 s4, v1
	s_lshl_b32 s4, s4, 3
	s_clause 0x2
	s_load_b64 s[6:7], s[0:1], s4 offset:0x200
	s_load_b64 s[2:3], s[0:1], s4 offset:0x400
	;; [unrolled: 1-line block ×3, first 2 shown]
	s_waitcnt lgkmcnt(0)
	s_add_u32 s14, s6, s8
	s_addc_u32 s15, s7, s9
	s_delay_alu instid0(SALU_CYCLE_1) | instskip(SKIP_2) | instid1(SALU_CYCLE_1)
	s_or_b64 s[4:5], s[2:3], s[14:15]
	s_and_b32 s5, s12, 15
	s_and_b32 s4, s4, 3
	s_or_b32 s16, s4, s5
	s_sub_u32 s4, s2, s8
	s_subb_u32 s5, s3, s9
	s_cmp_eq_u64 s[16:17], 0
	s_mov_b32 s2, -1
	s_cbranch_scc0 .LBB400_37
; %bb.1:
	v_dual_mov_b32 v6, 0 :: v_dual_lshlrev_b32 v5, 2, v0
	s_mov_b32 s3, exec_lo
	s_delay_alu instid0(VALU_DEP_1)
	v_cmpx_gt_i64_e64 s[4:5], v[5:6]
	s_cbranch_execz .LBB400_36
; %bb.2:
	s_load_b32 s2, s[0:1], 0xc5c
	v_lshlrev_b32_e32 v1, 4, v0
	s_lshl_b64 s[18:19], s[10:11], 18
	s_waitcnt lgkmcnt(0)
	s_and_b32 s2, s2, 0xffff
	s_delay_alu instid0(SALU_CYCLE_1) | instskip(SKIP_3) | instid1(VALU_DEP_1)
	s_lshl_b32 s16, s2, 2
	s_add_u32 s17, s12, s18
	s_addc_u32 s18, s13, s19
	v_add_co_u32 v7, s17, s17, v1
	v_add_co_ci_u32_e64 v8, null, s18, 0, s17
	s_mov_b32 s17, 0
	s_lshl_b32 s18, s2, 4
	s_branch .LBB400_5
.LBB400_3:                              ;   in Loop: Header=BB400_5 Depth=1
	s_or_b32 exec_lo, exec_lo, s20
.LBB400_4:                              ;   in Loop: Header=BB400_5 Depth=1
	s_delay_alu instid0(SALU_CYCLE_1)
	s_or_b32 exec_lo, exec_lo, s2
	v_add_co_u32 v10, vcc_lo, s14, v5
	v_add_co_ci_u32_e32 v11, vcc_lo, s15, v6, vcc_lo
	v_add_co_u32 v5, vcc_lo, s16, v5
	v_add_co_ci_u32_e32 v6, vcc_lo, 0, v6, vcc_lo
	v_lshlrev_b32_e32 v3, 16, v3
	v_lshlrev_b32_e32 v4, 8, v9
	v_and_b32_e32 v1, 0xff, v1
	s_delay_alu instid0(VALU_DEP_4) | instskip(SKIP_3) | instid1(VALU_DEP_3)
	v_cmp_le_i64_e32 vcc_lo, s[4:5], v[5:6]
	v_cmp_lt_u64_e64 s2, 0xffff, v[5:6]
	v_perm_b32 v2, v2, v3, 0x4020c0c
	v_and_b32_e32 v3, 0xff00, v4
	s_or_b32 s2, vcc_lo, s2
	v_add_co_u32 v7, vcc_lo, v7, s18
	s_delay_alu instid0(VALU_DEP_2) | instskip(SKIP_2) | instid1(SALU_CYCLE_1)
	v_or3_b32 v1, v2, v3, v1
	v_add_co_ci_u32_e32 v8, vcc_lo, 0, v8, vcc_lo
	s_and_b32 s2, exec_lo, s2
	s_or_b32 s17, s2, s17
	global_store_b32 v[10:11], v1, off
	s_and_not1_b32 exec_lo, exec_lo, s17
	s_cbranch_execz .LBB400_36
.LBB400_5:                              ; =>This Inner Loop Header: Depth=1
	global_load_b128 v[1:4], v[7:8], off
	v_mov_b32_e32 v9, 0x80
	s_mov_b32 s2, exec_lo
	s_waitcnt vmcnt(0)
	v_cvt_f32_i32_e32 v10, v1
	v_mov_b32_e32 v1, 0x80
	s_delay_alu instid0(VALU_DEP_2) | instskip(NEXT) | instid1(VALU_DEP_1)
	v_and_b32_e32 v11, 0x7fffffff, v10
	v_cmpx_gt_u32_e32 0x47800000, v11
	s_cbranch_execz .LBB400_11
; %bb.6:                                ;   in Loop: Header=BB400_5 Depth=1
	v_cmp_lt_u32_e32 vcc_lo, 0x37ffffff, v11
	s_mov_b32 s19, 0
                                        ; implicit-def: $vgpr11
	s_and_saveexec_b32 s20, vcc_lo
	s_delay_alu instid0(SALU_CYCLE_1)
	s_xor_b32 s20, exec_lo, s20
	s_cbranch_execnz .LBB400_27
; %bb.7:                                ;   in Loop: Header=BB400_5 Depth=1
	s_or_saveexec_b32 s20, s20
                                        ; implicit-def: $sgpr21
	s_delay_alu instid0(SALU_CYCLE_1)
	s_xor_b32 exec_lo, exec_lo, s20
	s_cbranch_execnz .LBB400_28
.LBB400_8:                              ;   in Loop: Header=BB400_5 Depth=1
	s_or_b32 exec_lo, exec_lo, s20
	v_mov_b32_e32 v1, s21
	s_and_saveexec_b32 s20, s19
.LBB400_9:                              ;   in Loop: Header=BB400_5 Depth=1
	v_lshrrev_b32_e32 v1, 24, v10
	s_delay_alu instid0(VALU_DEP_1)
	v_and_or_b32 v1, 0x80, v1, v11
.LBB400_10:                             ;   in Loop: Header=BB400_5 Depth=1
	s_or_b32 exec_lo, exec_lo, s20
.LBB400_11:                             ;   in Loop: Header=BB400_5 Depth=1
	s_delay_alu instid0(SALU_CYCLE_1) | instskip(SKIP_2) | instid1(VALU_DEP_1)
	s_or_b32 exec_lo, exec_lo, s2
	v_cvt_f32_i32_e32 v2, v2
	s_mov_b32 s2, exec_lo
	v_and_b32_e32 v10, 0x7fffffff, v2
	s_delay_alu instid0(VALU_DEP_1)
	v_cmpx_gt_u32_e32 0x47800000, v10
	s_cbranch_execz .LBB400_17
; %bb.12:                               ;   in Loop: Header=BB400_5 Depth=1
	v_cmp_lt_u32_e32 vcc_lo, 0x37ffffff, v10
	s_mov_b32 s19, 0
                                        ; implicit-def: $vgpr10
	s_and_saveexec_b32 s20, vcc_lo
	s_delay_alu instid0(SALU_CYCLE_1)
	s_xor_b32 s20, exec_lo, s20
	s_cbranch_execnz .LBB400_29
; %bb.13:                               ;   in Loop: Header=BB400_5 Depth=1
	s_or_saveexec_b32 s20, s20
                                        ; implicit-def: $sgpr21
	s_delay_alu instid0(SALU_CYCLE_1)
	s_xor_b32 exec_lo, exec_lo, s20
	s_cbranch_execnz .LBB400_30
.LBB400_14:                             ;   in Loop: Header=BB400_5 Depth=1
	s_or_b32 exec_lo, exec_lo, s20
	v_mov_b32_e32 v9, s21
	s_and_saveexec_b32 s20, s19
.LBB400_15:                             ;   in Loop: Header=BB400_5 Depth=1
	v_lshrrev_b32_e32 v2, 24, v2
	s_delay_alu instid0(VALU_DEP_1)
	v_and_or_b32 v9, 0x80, v2, v10
.LBB400_16:                             ;   in Loop: Header=BB400_5 Depth=1
	s_or_b32 exec_lo, exec_lo, s20
.LBB400_17:                             ;   in Loop: Header=BB400_5 Depth=1
	s_delay_alu instid0(SALU_CYCLE_1) | instskip(SKIP_3) | instid1(VALU_DEP_2)
	s_or_b32 exec_lo, exec_lo, s2
	v_cvt_f32_i32_e32 v10, v3
	v_dual_mov_b32 v2, 0x80 :: v_dual_mov_b32 v3, 0x80
	s_mov_b32 s2, exec_lo
	v_and_b32_e32 v11, 0x7fffffff, v10
	s_delay_alu instid0(VALU_DEP_1)
	v_cmpx_gt_u32_e32 0x47800000, v11
	s_cbranch_execz .LBB400_23
; %bb.18:                               ;   in Loop: Header=BB400_5 Depth=1
	v_cmp_lt_u32_e32 vcc_lo, 0x37ffffff, v11
	s_mov_b32 s19, 0
                                        ; implicit-def: $vgpr11
	s_and_saveexec_b32 s20, vcc_lo
	s_delay_alu instid0(SALU_CYCLE_1)
	s_xor_b32 s20, exec_lo, s20
	s_cbranch_execnz .LBB400_31
; %bb.19:                               ;   in Loop: Header=BB400_5 Depth=1
	s_or_saveexec_b32 s20, s20
                                        ; implicit-def: $sgpr21
	s_delay_alu instid0(SALU_CYCLE_1)
	s_xor_b32 exec_lo, exec_lo, s20
	s_cbranch_execnz .LBB400_32
.LBB400_20:                             ;   in Loop: Header=BB400_5 Depth=1
	s_or_b32 exec_lo, exec_lo, s20
	v_mov_b32_e32 v3, s21
	s_and_saveexec_b32 s20, s19
.LBB400_21:                             ;   in Loop: Header=BB400_5 Depth=1
	v_lshrrev_b32_e32 v3, 24, v10
	s_delay_alu instid0(VALU_DEP_1)
	v_and_or_b32 v3, 0x80, v3, v11
.LBB400_22:                             ;   in Loop: Header=BB400_5 Depth=1
	s_or_b32 exec_lo, exec_lo, s20
.LBB400_23:                             ;   in Loop: Header=BB400_5 Depth=1
	s_delay_alu instid0(SALU_CYCLE_1) | instskip(SKIP_2) | instid1(VALU_DEP_1)
	s_or_b32 exec_lo, exec_lo, s2
	v_cvt_f32_i32_e32 v4, v4
	s_mov_b32 s2, exec_lo
	v_and_b32_e32 v10, 0x7fffffff, v4
	s_delay_alu instid0(VALU_DEP_1)
	v_cmpx_gt_u32_e32 0x47800000, v10
	s_cbranch_execz .LBB400_4
; %bb.24:                               ;   in Loop: Header=BB400_5 Depth=1
	v_cmp_lt_u32_e32 vcc_lo, 0x37ffffff, v10
	s_mov_b32 s19, 0
                                        ; implicit-def: $vgpr10
	s_and_saveexec_b32 s20, vcc_lo
	s_delay_alu instid0(SALU_CYCLE_1)
	s_xor_b32 s20, exec_lo, s20
	s_cbranch_execnz .LBB400_33
; %bb.25:                               ;   in Loop: Header=BB400_5 Depth=1
	s_or_saveexec_b32 s20, s20
                                        ; implicit-def: $sgpr21
	s_delay_alu instid0(SALU_CYCLE_1)
	s_xor_b32 exec_lo, exec_lo, s20
	s_cbranch_execnz .LBB400_34
.LBB400_26:                             ;   in Loop: Header=BB400_5 Depth=1
	s_or_b32 exec_lo, exec_lo, s20
	v_mov_b32_e32 v2, s21
	s_and_saveexec_b32 s20, s19
	s_cbranch_execz .LBB400_3
	s_branch .LBB400_35
.LBB400_27:                             ;   in Loop: Header=BB400_5 Depth=1
	v_bfe_u32 v1, v10, 21, 1
	s_mov_b32 s19, exec_lo
	s_delay_alu instid0(VALU_DEP_1) | instskip(NEXT) | instid1(VALU_DEP_1)
	v_add3_u32 v1, v10, v1, 0x88fffff
	v_lshrrev_b32_e32 v11, 21, v1
	s_or_saveexec_b32 s20, s20
                                        ; implicit-def: $sgpr21
	s_delay_alu instid0(SALU_CYCLE_1)
	s_xor_b32 exec_lo, exec_lo, s20
	s_cbranch_execz .LBB400_8
.LBB400_28:                             ;   in Loop: Header=BB400_5 Depth=1
	v_add_f32_e64 v1, 0x42800000, |v10|
	s_and_not1_b32 s19, s19, exec_lo
	s_mov_b32 s21, 0
	s_delay_alu instid0(VALU_DEP_1) | instskip(NEXT) | instid1(VALU_DEP_1)
	v_and_b32_e32 v11, 0xff, v1
	v_cmp_ne_u32_e32 vcc_lo, 0, v11
	s_and_b32 s22, vcc_lo, exec_lo
	s_delay_alu instid0(SALU_CYCLE_1)
	s_or_b32 s19, s19, s22
	s_or_b32 exec_lo, exec_lo, s20
	v_mov_b32_e32 v1, s21
	s_and_saveexec_b32 s20, s19
	s_cbranch_execnz .LBB400_9
	s_branch .LBB400_10
.LBB400_29:                             ;   in Loop: Header=BB400_5 Depth=1
	v_bfe_u32 v9, v2, 21, 1
	s_mov_b32 s19, exec_lo
	s_delay_alu instid0(VALU_DEP_1) | instskip(NEXT) | instid1(VALU_DEP_1)
	v_add3_u32 v9, v2, v9, 0x88fffff
	v_lshrrev_b32_e32 v10, 21, v9
	s_or_saveexec_b32 s20, s20
                                        ; implicit-def: $sgpr21
	s_delay_alu instid0(SALU_CYCLE_1)
	s_xor_b32 exec_lo, exec_lo, s20
	s_cbranch_execz .LBB400_14
.LBB400_30:                             ;   in Loop: Header=BB400_5 Depth=1
	v_add_f32_e64 v9, 0x42800000, |v2|
	s_and_not1_b32 s19, s19, exec_lo
	s_mov_b32 s21, 0
	s_delay_alu instid0(VALU_DEP_1) | instskip(NEXT) | instid1(VALU_DEP_1)
	v_and_b32_e32 v10, 0xff, v9
	v_cmp_ne_u32_e32 vcc_lo, 0, v10
	s_and_b32 s22, vcc_lo, exec_lo
	s_delay_alu instid0(SALU_CYCLE_1)
	s_or_b32 s19, s19, s22
	s_or_b32 exec_lo, exec_lo, s20
	v_mov_b32_e32 v9, s21
	s_and_saveexec_b32 s20, s19
	s_cbranch_execnz .LBB400_15
	s_branch .LBB400_16
.LBB400_31:                             ;   in Loop: Header=BB400_5 Depth=1
	v_bfe_u32 v3, v10, 21, 1
	s_mov_b32 s19, exec_lo
	s_delay_alu instid0(VALU_DEP_1) | instskip(NEXT) | instid1(VALU_DEP_1)
	v_add3_u32 v3, v10, v3, 0x88fffff
	v_lshrrev_b32_e32 v11, 21, v3
	s_or_saveexec_b32 s20, s20
                                        ; implicit-def: $sgpr21
	s_delay_alu instid0(SALU_CYCLE_1)
	s_xor_b32 exec_lo, exec_lo, s20
	s_cbranch_execz .LBB400_20
.LBB400_32:                             ;   in Loop: Header=BB400_5 Depth=1
	v_add_f32_e64 v3, 0x42800000, |v10|
	s_and_not1_b32 s19, s19, exec_lo
	s_mov_b32 s21, 0
	s_delay_alu instid0(VALU_DEP_1) | instskip(NEXT) | instid1(VALU_DEP_1)
	v_and_b32_e32 v11, 0xff, v3
	v_cmp_ne_u32_e32 vcc_lo, 0, v11
	s_and_b32 s22, vcc_lo, exec_lo
	s_delay_alu instid0(SALU_CYCLE_1)
	s_or_b32 s19, s19, s22
	s_or_b32 exec_lo, exec_lo, s20
	v_mov_b32_e32 v3, s21
	s_and_saveexec_b32 s20, s19
	s_cbranch_execnz .LBB400_21
	s_branch .LBB400_22
.LBB400_33:                             ;   in Loop: Header=BB400_5 Depth=1
	v_bfe_u32 v2, v4, 21, 1
	s_mov_b32 s19, exec_lo
	s_delay_alu instid0(VALU_DEP_1) | instskip(NEXT) | instid1(VALU_DEP_1)
	v_add3_u32 v2, v4, v2, 0x88fffff
	v_lshrrev_b32_e32 v10, 21, v2
	s_or_saveexec_b32 s20, s20
                                        ; implicit-def: $sgpr21
	s_delay_alu instid0(SALU_CYCLE_1)
	s_xor_b32 exec_lo, exec_lo, s20
	s_cbranch_execz .LBB400_26
.LBB400_34:                             ;   in Loop: Header=BB400_5 Depth=1
	v_add_f32_e64 v2, 0x42800000, |v4|
	s_and_not1_b32 s19, s19, exec_lo
	s_mov_b32 s21, 0
	s_delay_alu instid0(VALU_DEP_1) | instskip(NEXT) | instid1(VALU_DEP_1)
	v_and_b32_e32 v10, 0xff, v2
	v_cmp_ne_u32_e32 vcc_lo, 0, v10
	s_and_b32 s22, vcc_lo, exec_lo
	s_delay_alu instid0(SALU_CYCLE_1)
	s_or_b32 s19, s19, s22
	s_or_b32 exec_lo, exec_lo, s20
	v_mov_b32_e32 v2, s21
	s_and_saveexec_b32 s20, s19
	s_cbranch_execz .LBB400_3
.LBB400_35:                             ;   in Loop: Header=BB400_5 Depth=1
	v_lshrrev_b32_e32 v2, 24, v4
	s_delay_alu instid0(VALU_DEP_1)
	v_and_or_b32 v2, 0x80, v2, v10
	s_branch .LBB400_3
.LBB400_36:
	s_or_b32 exec_lo, exec_lo, s3
	s_mov_b32 s2, 0
.LBB400_37:
	s_delay_alu instid0(SALU_CYCLE_1)
	s_and_not1_b32 vcc_lo, exec_lo, s2
	s_cbranch_vccnz .LBB400_89
; %bb.38:
	v_cmp_lt_i64_e64 s2, s[4:5], 1
	s_delay_alu instid0(VALU_DEP_1)
	s_and_b32 vcc_lo, exec_lo, s2
	s_cbranch_vccnz .LBB400_89
; %bb.39:
	s_load_b32 s0, s[0:1], 0xc5c
	v_cmp_gt_u64_e64 s1, 0x10000, s[4:5]
	v_add_co_u32 v5, s2, s8, v0
	v_lshlrev_b32_e32 v1, 2, v0
	v_add_co_ci_u32_e64 v6, null, s9, 0, s2
	s_delay_alu instid0(VALU_DEP_3) | instskip(NEXT) | instid1(VALU_DEP_2)
	v_add_co_u32 v13, vcc_lo, s6, v5
                                        ; implicit-def: $vgpr29
                                        ; implicit-def: $vgpr30
                                        ; implicit-def: $vgpr27
                                        ; implicit-def: $vgpr28
	v_add_co_ci_u32_e32 v14, vcc_lo, s7, v6, vcc_lo
	s_waitcnt lgkmcnt(0)
	s_and_b32 s0, s0, 0xffff
	s_and_b32 s1, s1, exec_lo
	s_cselect_b32 s3, s5, 0
	s_cselect_b32 s2, s4, 0x10000
	s_lshl_b64 s[10:11], s[10:11], 18
	s_lshl_b32 s14, s0, 1
	s_lshl_b32 s1, s0, 2
	s_add_u32 s12, s12, s10
	s_mul_i32 s15, s0, 3
	s_addc_u32 s13, s13, s11
	s_lshl_b32 s10, s0, 4
	v_add_co_u32 v1, s16, s12, v1
	s_add_u32 s11, s8, s15
	v_add_co_ci_u32_e64 v2, null, s13, 0, s16
	s_addc_u32 s16, s9, 0
	s_add_u32 s11, s6, s11
	s_addc_u32 s16, s7, s16
	v_add_co_u32 v15, s11, s11, v0
	s_delay_alu instid0(VALU_DEP_1)
	v_add_co_ci_u32_e64 v16, null, s16, 0, s11
	v_add_co_u32 v17, s11, s15, v0
	v_add_co_u32 v19, s15, v0, s0
	v_add_co_ci_u32_e64 v18, null, 0, 0, s11
	s_lshl_b32 s11, s0, 3
	s_add_u32 s8, s8, s14
	s_addc_u32 s9, s9, 0
	s_add_u32 s8, s6, s8
	v_lshlrev_b32_e32 v3, 2, v19
	s_addc_u32 s9, s7, s9
	v_add_co_u32 v20, s8, s8, v0
	s_delay_alu instid0(VALU_DEP_1)
	v_add_co_ci_u32_e64 v21, null, s9, 0, s8
	v_add_co_u32 v23, s8, s14, v0
	s_add_u32 s6, s6, s0
	v_add_co_ci_u32_e64 v24, null, 0, 0, s8
	v_add_co_u32 v3, s8, s12, v3
	s_addc_u32 s7, s7, 0
	v_add_co_u32 v25, vcc_lo, s6, v5
	v_add_co_ci_u32_e64 v22, null, 0, 0, s15
	v_add_co_ci_u32_e64 v4, null, s13, 0, s8
	v_add_co_ci_u32_e32 v26, vcc_lo, s7, v6, vcc_lo
	s_mul_i32 s8, s0, 12
	s_mov_b64 s[6:7], 0
	s_branch .LBB400_41
.LBB400_40:                             ;   in Loop: Header=BB400_41 Depth=1
	s_or_b32 exec_lo, exec_lo, s0
	s_add_u32 s6, s6, s1
	s_addc_u32 s7, s7, 0
	v_add_co_u32 v1, vcc_lo, v1, s10
	v_cmp_ge_i64_e64 s0, s[6:7], s[4:5]
	v_cmp_lt_u64_e64 s9, 0xffff, s[6:7]
	v_add_co_ci_u32_e32 v2, vcc_lo, 0, v2, vcc_lo
	v_add_co_u32 v3, vcc_lo, v3, s10
	v_add_co_ci_u32_e32 v4, vcc_lo, 0, v4, vcc_lo
	s_delay_alu instid0(VALU_DEP_4) | instskip(NEXT) | instid1(SALU_CYCLE_1)
	s_or_b32 s0, s0, s9
	s_and_b32 vcc_lo, exec_lo, s0
	s_cbranch_vccnz .LBB400_89
.LBB400_41:                             ; =>This Inner Loop Header: Depth=1
	v_add_co_u32 v5, s0, v0, s6
	s_delay_alu instid0(VALU_DEP_1) | instskip(NEXT) | instid1(VALU_DEP_1)
	v_add_co_ci_u32_e64 v6, null, 0, s7, s0
	v_cmp_gt_i64_e32 vcc_lo, s[4:5], v[5:6]
	v_cmp_gt_u64_e64 s0, 0x10000, v[5:6]
	s_delay_alu instid0(VALU_DEP_1) | instskip(NEXT) | instid1(SALU_CYCLE_1)
	s_and_b32 s9, vcc_lo, s0
	s_and_saveexec_b32 s0, s9
	s_cbranch_execz .LBB400_43
; %bb.42:                               ;   in Loop: Header=BB400_41 Depth=1
	global_load_b32 v28, v[1:2], off
.LBB400_43:                             ;   in Loop: Header=BB400_41 Depth=1
	s_or_b32 exec_lo, exec_lo, s0
	v_add_co_u32 v7, vcc_lo, v19, s6
	v_add_co_ci_u32_e32 v8, vcc_lo, s7, v22, vcc_lo
	s_delay_alu instid0(VALU_DEP_1) | instskip(SKIP_1) | instid1(VALU_DEP_1)
	v_cmp_gt_i64_e32 vcc_lo, s[4:5], v[7:8]
	v_cmp_gt_u64_e64 s0, 0x10000, v[7:8]
	s_and_b32 s9, vcc_lo, s0
	s_delay_alu instid0(SALU_CYCLE_1)
	s_and_saveexec_b32 s0, s9
	s_cbranch_execz .LBB400_45
; %bb.44:                               ;   in Loop: Header=BB400_41 Depth=1
	global_load_b32 v27, v[3:4], off
.LBB400_45:                             ;   in Loop: Header=BB400_41 Depth=1
	s_or_b32 exec_lo, exec_lo, s0
	v_add_co_u32 v9, vcc_lo, v23, s6
	v_add_co_ci_u32_e32 v10, vcc_lo, s7, v24, vcc_lo
	s_delay_alu instid0(VALU_DEP_1) | instskip(SKIP_1) | instid1(VALU_DEP_1)
	v_cmp_gt_i64_e32 vcc_lo, s[4:5], v[9:10]
	v_cmp_gt_u64_e64 s0, 0x10000, v[9:10]
	s_and_b32 s9, vcc_lo, s0
	s_delay_alu instid0(SALU_CYCLE_1)
	s_and_saveexec_b32 s0, s9
	s_cbranch_execz .LBB400_47
; %bb.46:                               ;   in Loop: Header=BB400_41 Depth=1
	v_add_co_u32 v11, vcc_lo, v1, s11
	v_add_co_ci_u32_e32 v12, vcc_lo, 0, v2, vcc_lo
	global_load_b32 v30, v[11:12], off
.LBB400_47:                             ;   in Loop: Header=BB400_41 Depth=1
	s_or_b32 exec_lo, exec_lo, s0
	v_add_co_u32 v11, vcc_lo, v17, s6
	v_add_co_ci_u32_e32 v12, vcc_lo, s7, v18, vcc_lo
	s_delay_alu instid0(VALU_DEP_1) | instskip(SKIP_1) | instid1(VALU_DEP_1)
	v_cmp_gt_i64_e32 vcc_lo, s[4:5], v[11:12]
	v_cmp_gt_u64_e64 s0, 0x10000, v[11:12]
	s_and_b32 s9, vcc_lo, s0
	s_delay_alu instid0(SALU_CYCLE_1)
	s_and_saveexec_b32 s0, s9
	s_cbranch_execz .LBB400_49
; %bb.48:                               ;   in Loop: Header=BB400_41 Depth=1
	v_add_co_u32 v31, vcc_lo, v1, s8
	v_add_co_ci_u32_e32 v32, vcc_lo, 0, v2, vcc_lo
	global_load_b32 v29, v[31:32], off
.LBB400_49:                             ;   in Loop: Header=BB400_41 Depth=1
	s_or_b32 exec_lo, exec_lo, s0
	s_waitcnt vmcnt(0)
	v_cvt_f32_i32_e32 v33, v28
	v_dual_mov_b32 v31, 0x80 :: v_dual_mov_b32 v32, 0x80
	s_mov_b32 s0, exec_lo
	s_delay_alu instid0(VALU_DEP_2) | instskip(NEXT) | instid1(VALU_DEP_1)
	v_and_b32_e32 v34, 0x7fffffff, v33
	v_cmpx_gt_u32_e32 0x47800000, v34
	s_cbranch_execz .LBB400_55
; %bb.50:                               ;   in Loop: Header=BB400_41 Depth=1
	v_cmp_lt_u32_e32 vcc_lo, 0x37ffffff, v34
	s_mov_b32 s9, 0
                                        ; implicit-def: $vgpr34
	s_and_saveexec_b32 s12, vcc_lo
	s_delay_alu instid0(SALU_CYCLE_1)
	s_xor_b32 s12, exec_lo, s12
	s_cbranch_execnz .LBB400_81
; %bb.51:                               ;   in Loop: Header=BB400_41 Depth=1
	s_or_saveexec_b32 s12, s12
                                        ; implicit-def: $sgpr13
	s_delay_alu instid0(SALU_CYCLE_1)
	s_xor_b32 exec_lo, exec_lo, s12
	s_cbranch_execnz .LBB400_82
.LBB400_52:                             ;   in Loop: Header=BB400_41 Depth=1
	s_or_b32 exec_lo, exec_lo, s12
	v_mov_b32_e32 v32, s13
	s_and_saveexec_b32 s12, s9
.LBB400_53:                             ;   in Loop: Header=BB400_41 Depth=1
	v_lshrrev_b32_e32 v32, 24, v33
	s_delay_alu instid0(VALU_DEP_1)
	v_and_or_b32 v32, 0x80, v32, v34
.LBB400_54:                             ;   in Loop: Header=BB400_41 Depth=1
	s_or_b32 exec_lo, exec_lo, s12
.LBB400_55:                             ;   in Loop: Header=BB400_41 Depth=1
	s_delay_alu instid0(SALU_CYCLE_1) | instskip(SKIP_2) | instid1(VALU_DEP_1)
	s_or_b32 exec_lo, exec_lo, s0
	v_cvt_f32_i32_e32 v33, v27
	s_mov_b32 s0, exec_lo
	v_and_b32_e32 v34, 0x7fffffff, v33
	s_delay_alu instid0(VALU_DEP_1)
	v_cmpx_gt_u32_e32 0x47800000, v34
	s_cbranch_execz .LBB400_61
; %bb.56:                               ;   in Loop: Header=BB400_41 Depth=1
	v_cmp_lt_u32_e32 vcc_lo, 0x37ffffff, v34
	s_mov_b32 s9, 0
                                        ; implicit-def: $vgpr34
	s_and_saveexec_b32 s12, vcc_lo
	s_delay_alu instid0(SALU_CYCLE_1)
	s_xor_b32 s12, exec_lo, s12
	s_cbranch_execnz .LBB400_83
; %bb.57:                               ;   in Loop: Header=BB400_41 Depth=1
	s_or_saveexec_b32 s12, s12
                                        ; implicit-def: $sgpr13
	s_delay_alu instid0(SALU_CYCLE_1)
	s_xor_b32 exec_lo, exec_lo, s12
	s_cbranch_execnz .LBB400_84
.LBB400_58:                             ;   in Loop: Header=BB400_41 Depth=1
	s_or_b32 exec_lo, exec_lo, s12
	v_mov_b32_e32 v31, s13
	s_and_saveexec_b32 s12, s9
.LBB400_59:                             ;   in Loop: Header=BB400_41 Depth=1
	v_lshrrev_b32_e32 v31, 24, v33
	s_delay_alu instid0(VALU_DEP_1)
	v_and_or_b32 v31, 0x80, v31, v34
.LBB400_60:                             ;   in Loop: Header=BB400_41 Depth=1
	s_or_b32 exec_lo, exec_lo, s12
.LBB400_61:                             ;   in Loop: Header=BB400_41 Depth=1
	s_delay_alu instid0(SALU_CYCLE_1) | instskip(SKIP_3) | instid1(VALU_DEP_2)
	s_or_b32 exec_lo, exec_lo, s0
	v_cvt_f32_i32_e32 v35, v30
	v_dual_mov_b32 v33, 0x80 :: v_dual_mov_b32 v34, 0x80
	s_mov_b32 s0, exec_lo
	v_and_b32_e32 v36, 0x7fffffff, v35
	s_delay_alu instid0(VALU_DEP_1)
	v_cmpx_gt_u32_e32 0x47800000, v36
	s_cbranch_execz .LBB400_67
; %bb.62:                               ;   in Loop: Header=BB400_41 Depth=1
	v_cmp_lt_u32_e32 vcc_lo, 0x37ffffff, v36
	s_mov_b32 s9, 0
                                        ; implicit-def: $vgpr36
	s_and_saveexec_b32 s12, vcc_lo
	s_delay_alu instid0(SALU_CYCLE_1)
	s_xor_b32 s12, exec_lo, s12
	s_cbranch_execnz .LBB400_85
; %bb.63:                               ;   in Loop: Header=BB400_41 Depth=1
	s_or_saveexec_b32 s12, s12
                                        ; implicit-def: $sgpr13
	s_delay_alu instid0(SALU_CYCLE_1)
	s_xor_b32 exec_lo, exec_lo, s12
	s_cbranch_execnz .LBB400_86
.LBB400_64:                             ;   in Loop: Header=BB400_41 Depth=1
	s_or_b32 exec_lo, exec_lo, s12
	v_mov_b32_e32 v34, s13
	s_and_saveexec_b32 s12, s9
.LBB400_65:                             ;   in Loop: Header=BB400_41 Depth=1
	v_lshrrev_b32_e32 v34, 24, v35
	s_delay_alu instid0(VALU_DEP_1)
	v_and_or_b32 v34, 0x80, v34, v36
.LBB400_66:                             ;   in Loop: Header=BB400_41 Depth=1
	s_or_b32 exec_lo, exec_lo, s12
.LBB400_67:                             ;   in Loop: Header=BB400_41 Depth=1
	s_delay_alu instid0(SALU_CYCLE_1) | instskip(SKIP_2) | instid1(VALU_DEP_1)
	s_or_b32 exec_lo, exec_lo, s0
	v_cvt_f32_i32_e32 v35, v29
	s_mov_b32 s0, exec_lo
	v_and_b32_e32 v36, 0x7fffffff, v35
	s_delay_alu instid0(VALU_DEP_1)
	v_cmpx_gt_u32_e32 0x47800000, v36
	s_cbranch_execz .LBB400_73
; %bb.68:                               ;   in Loop: Header=BB400_41 Depth=1
	v_cmp_lt_u32_e32 vcc_lo, 0x37ffffff, v36
	s_mov_b32 s9, 0
                                        ; implicit-def: $vgpr36
	s_and_saveexec_b32 s12, vcc_lo
	s_delay_alu instid0(SALU_CYCLE_1)
	s_xor_b32 s12, exec_lo, s12
	s_cbranch_execnz .LBB400_87
; %bb.69:                               ;   in Loop: Header=BB400_41 Depth=1
	s_or_saveexec_b32 s12, s12
                                        ; implicit-def: $sgpr13
	s_delay_alu instid0(SALU_CYCLE_1)
	s_xor_b32 exec_lo, exec_lo, s12
	s_cbranch_execnz .LBB400_88
.LBB400_70:                             ;   in Loop: Header=BB400_41 Depth=1
	s_or_b32 exec_lo, exec_lo, s12
	v_mov_b32_e32 v33, s13
	s_and_saveexec_b32 s12, s9
.LBB400_71:                             ;   in Loop: Header=BB400_41 Depth=1
	v_lshrrev_b32_e32 v33, 24, v35
	s_delay_alu instid0(VALU_DEP_1)
	v_and_or_b32 v33, 0x80, v33, v36
.LBB400_72:                             ;   in Loop: Header=BB400_41 Depth=1
	s_or_b32 exec_lo, exec_lo, s12
.LBB400_73:                             ;   in Loop: Header=BB400_41 Depth=1
	s_delay_alu instid0(SALU_CYCLE_1) | instskip(NEXT) | instid1(SALU_CYCLE_1)
	s_or_b32 exec_lo, exec_lo, s0
	s_mov_b32 s0, exec_lo
	v_cmpx_gt_u64_e64 s[2:3], v[5:6]
	s_xor_b32 s0, exec_lo, s0
	s_cbranch_execnz .LBB400_77
; %bb.74:                               ;   in Loop: Header=BB400_41 Depth=1
	s_or_b32 exec_lo, exec_lo, s0
	s_delay_alu instid0(SALU_CYCLE_1)
	s_mov_b32 s0, exec_lo
	v_cmpx_gt_u64_e64 s[2:3], v[7:8]
	s_cbranch_execnz .LBB400_78
.LBB400_75:                             ;   in Loop: Header=BB400_41 Depth=1
	s_or_b32 exec_lo, exec_lo, s0
	s_delay_alu instid0(SALU_CYCLE_1)
	s_mov_b32 s0, exec_lo
	v_cmpx_gt_u64_e64 s[2:3], v[9:10]
	s_cbranch_execnz .LBB400_79
.LBB400_76:                             ;   in Loop: Header=BB400_41 Depth=1
	s_or_b32 exec_lo, exec_lo, s0
	s_delay_alu instid0(SALU_CYCLE_1)
	s_mov_b32 s0, exec_lo
	v_cmpx_gt_u64_e64 s[2:3], v[11:12]
	s_cbranch_execz .LBB400_40
	s_branch .LBB400_80
.LBB400_77:                             ;   in Loop: Header=BB400_41 Depth=1
	v_add_co_u32 v5, vcc_lo, v13, s6
	v_add_co_ci_u32_e32 v6, vcc_lo, s7, v14, vcc_lo
	global_store_b8 v[5:6], v32, off
	s_or_b32 exec_lo, exec_lo, s0
	s_delay_alu instid0(SALU_CYCLE_1)
	s_mov_b32 s0, exec_lo
	v_cmpx_gt_u64_e64 s[2:3], v[7:8]
	s_cbranch_execz .LBB400_75
.LBB400_78:                             ;   in Loop: Header=BB400_41 Depth=1
	v_add_co_u32 v5, vcc_lo, v25, s6
	v_add_co_ci_u32_e32 v6, vcc_lo, s7, v26, vcc_lo
	global_store_b8 v[5:6], v31, off
	s_or_b32 exec_lo, exec_lo, s0
	s_delay_alu instid0(SALU_CYCLE_1)
	s_mov_b32 s0, exec_lo
	v_cmpx_gt_u64_e64 s[2:3], v[9:10]
	s_cbranch_execz .LBB400_76
.LBB400_79:                             ;   in Loop: Header=BB400_41 Depth=1
	v_add_co_u32 v5, vcc_lo, v20, s6
	v_add_co_ci_u32_e32 v6, vcc_lo, s7, v21, vcc_lo
	global_store_b8 v[5:6], v34, off
	s_or_b32 exec_lo, exec_lo, s0
	s_delay_alu instid0(SALU_CYCLE_1)
	s_mov_b32 s0, exec_lo
	v_cmpx_gt_u64_e64 s[2:3], v[11:12]
	s_cbranch_execz .LBB400_40
.LBB400_80:                             ;   in Loop: Header=BB400_41 Depth=1
	v_add_co_u32 v5, vcc_lo, v15, s6
	v_add_co_ci_u32_e32 v6, vcc_lo, s7, v16, vcc_lo
	global_store_b8 v[5:6], v33, off
	s_branch .LBB400_40
.LBB400_81:                             ;   in Loop: Header=BB400_41 Depth=1
	v_bfe_u32 v32, v33, 21, 1
	s_mov_b32 s9, exec_lo
	s_delay_alu instid0(VALU_DEP_1) | instskip(NEXT) | instid1(VALU_DEP_1)
	v_add3_u32 v32, v33, v32, 0x88fffff
	v_lshrrev_b32_e32 v34, 21, v32
	s_or_saveexec_b32 s12, s12
                                        ; implicit-def: $sgpr13
	s_delay_alu instid0(SALU_CYCLE_1)
	s_xor_b32 exec_lo, exec_lo, s12
	s_cbranch_execz .LBB400_52
.LBB400_82:                             ;   in Loop: Header=BB400_41 Depth=1
	v_add_f32_e64 v32, 0x42800000, |v33|
	s_and_not1_b32 s9, s9, exec_lo
	s_mov_b32 s13, 0
	s_delay_alu instid0(VALU_DEP_1) | instskip(NEXT) | instid1(VALU_DEP_1)
	v_and_b32_e32 v34, 0xff, v32
	v_cmp_ne_u32_e32 vcc_lo, 0, v34
	s_and_b32 s14, vcc_lo, exec_lo
	s_delay_alu instid0(SALU_CYCLE_1)
	s_or_b32 s9, s9, s14
	s_or_b32 exec_lo, exec_lo, s12
	v_mov_b32_e32 v32, s13
	s_and_saveexec_b32 s12, s9
	s_cbranch_execnz .LBB400_53
	s_branch .LBB400_54
.LBB400_83:                             ;   in Loop: Header=BB400_41 Depth=1
	v_bfe_u32 v31, v33, 21, 1
	s_mov_b32 s9, exec_lo
	s_delay_alu instid0(VALU_DEP_1) | instskip(NEXT) | instid1(VALU_DEP_1)
	v_add3_u32 v31, v33, v31, 0x88fffff
	v_lshrrev_b32_e32 v34, 21, v31
	s_or_saveexec_b32 s12, s12
                                        ; implicit-def: $sgpr13
	s_delay_alu instid0(SALU_CYCLE_1)
	s_xor_b32 exec_lo, exec_lo, s12
	s_cbranch_execz .LBB400_58
.LBB400_84:                             ;   in Loop: Header=BB400_41 Depth=1
	v_add_f32_e64 v31, 0x42800000, |v33|
	s_and_not1_b32 s9, s9, exec_lo
	s_mov_b32 s13, 0
	s_delay_alu instid0(VALU_DEP_1) | instskip(NEXT) | instid1(VALU_DEP_1)
	v_and_b32_e32 v34, 0xff, v31
	v_cmp_ne_u32_e32 vcc_lo, 0, v34
	s_and_b32 s14, vcc_lo, exec_lo
	s_delay_alu instid0(SALU_CYCLE_1)
	s_or_b32 s9, s9, s14
	s_or_b32 exec_lo, exec_lo, s12
	v_mov_b32_e32 v31, s13
	s_and_saveexec_b32 s12, s9
	s_cbranch_execnz .LBB400_59
	s_branch .LBB400_60
.LBB400_85:                             ;   in Loop: Header=BB400_41 Depth=1
	v_bfe_u32 v34, v35, 21, 1
	s_mov_b32 s9, exec_lo
	s_delay_alu instid0(VALU_DEP_1) | instskip(NEXT) | instid1(VALU_DEP_1)
	v_add3_u32 v34, v35, v34, 0x88fffff
	v_lshrrev_b32_e32 v36, 21, v34
	s_or_saveexec_b32 s12, s12
                                        ; implicit-def: $sgpr13
	s_delay_alu instid0(SALU_CYCLE_1)
	s_xor_b32 exec_lo, exec_lo, s12
	s_cbranch_execz .LBB400_64
.LBB400_86:                             ;   in Loop: Header=BB400_41 Depth=1
	v_add_f32_e64 v34, 0x42800000, |v35|
	s_and_not1_b32 s9, s9, exec_lo
	s_mov_b32 s13, 0
	s_delay_alu instid0(VALU_DEP_1) | instskip(NEXT) | instid1(VALU_DEP_1)
	v_and_b32_e32 v36, 0xff, v34
	v_cmp_ne_u32_e32 vcc_lo, 0, v36
	s_and_b32 s14, vcc_lo, exec_lo
	s_delay_alu instid0(SALU_CYCLE_1)
	s_or_b32 s9, s9, s14
	s_or_b32 exec_lo, exec_lo, s12
	v_mov_b32_e32 v34, s13
	s_and_saveexec_b32 s12, s9
	s_cbranch_execnz .LBB400_65
	s_branch .LBB400_66
.LBB400_87:                             ;   in Loop: Header=BB400_41 Depth=1
	v_bfe_u32 v33, v35, 21, 1
	s_mov_b32 s9, exec_lo
	s_delay_alu instid0(VALU_DEP_1) | instskip(NEXT) | instid1(VALU_DEP_1)
	v_add3_u32 v33, v35, v33, 0x88fffff
	v_lshrrev_b32_e32 v36, 21, v33
	s_or_saveexec_b32 s12, s12
                                        ; implicit-def: $sgpr13
	s_delay_alu instid0(SALU_CYCLE_1)
	s_xor_b32 exec_lo, exec_lo, s12
	s_cbranch_execz .LBB400_70
.LBB400_88:                             ;   in Loop: Header=BB400_41 Depth=1
	v_add_f32_e64 v33, 0x42800000, |v35|
	s_and_not1_b32 s9, s9, exec_lo
	s_mov_b32 s13, 0
	s_delay_alu instid0(VALU_DEP_1) | instskip(NEXT) | instid1(VALU_DEP_1)
	v_and_b32_e32 v36, 0xff, v33
	v_cmp_ne_u32_e32 vcc_lo, 0, v36
	s_and_b32 s14, vcc_lo, exec_lo
	s_delay_alu instid0(SALU_CYCLE_1)
	s_or_b32 s9, s9, s14
	s_or_b32 exec_lo, exec_lo, s12
	v_mov_b32_e32 v33, s13
	s_and_saveexec_b32 s12, s9
	s_cbranch_execnz .LBB400_71
	s_branch .LBB400_72
.LBB400_89:
	s_nop 0
	s_sendmsg sendmsg(MSG_DEALLOC_VGPRS)
	s_endpgm
	.section	.rodata,"a",@progbits
	.p2align	6, 0x0
	.amdhsa_kernel _ZN2at6native12_GLOBAL__N_125multi_tensor_apply_kernelINS1_18TensorListMetadataILi2EEENS1_11CopyFunctorIN3c1015Float8_e5m2fnuzEiLi2ELi1ELi1EEEJNS0_4CopyIS7_iEEEEEvT_T0_DpT1_
		.amdhsa_group_segment_fixed_size 0
		.amdhsa_private_segment_fixed_size 0
		.amdhsa_kernarg_size 3408
		.amdhsa_user_sgpr_count 15
		.amdhsa_user_sgpr_dispatch_ptr 0
		.amdhsa_user_sgpr_queue_ptr 0
		.amdhsa_user_sgpr_kernarg_segment_ptr 1
		.amdhsa_user_sgpr_dispatch_id 0
		.amdhsa_user_sgpr_private_segment_size 0
		.amdhsa_wavefront_size32 1
		.amdhsa_uses_dynamic_stack 0
		.amdhsa_enable_private_segment 0
		.amdhsa_system_sgpr_workgroup_id_x 1
		.amdhsa_system_sgpr_workgroup_id_y 0
		.amdhsa_system_sgpr_workgroup_id_z 0
		.amdhsa_system_sgpr_workgroup_info 0
		.amdhsa_system_vgpr_workitem_id 0
		.amdhsa_next_free_vgpr 37
		.amdhsa_next_free_sgpr 23
		.amdhsa_reserve_vcc 1
		.amdhsa_float_round_mode_32 0
		.amdhsa_float_round_mode_16_64 0
		.amdhsa_float_denorm_mode_32 3
		.amdhsa_float_denorm_mode_16_64 3
		.amdhsa_dx10_clamp 1
		.amdhsa_ieee_mode 1
		.amdhsa_fp16_overflow 0
		.amdhsa_workgroup_processor_mode 1
		.amdhsa_memory_ordered 1
		.amdhsa_forward_progress 0
		.amdhsa_shared_vgpr_count 0
		.amdhsa_exception_fp_ieee_invalid_op 0
		.amdhsa_exception_fp_denorm_src 0
		.amdhsa_exception_fp_ieee_div_zero 0
		.amdhsa_exception_fp_ieee_overflow 0
		.amdhsa_exception_fp_ieee_underflow 0
		.amdhsa_exception_fp_ieee_inexact 0
		.amdhsa_exception_int_div_zero 0
	.end_amdhsa_kernel
	.section	.text._ZN2at6native12_GLOBAL__N_125multi_tensor_apply_kernelINS1_18TensorListMetadataILi2EEENS1_11CopyFunctorIN3c1015Float8_e5m2fnuzEiLi2ELi1ELi1EEEJNS0_4CopyIS7_iEEEEEvT_T0_DpT1_,"axG",@progbits,_ZN2at6native12_GLOBAL__N_125multi_tensor_apply_kernelINS1_18TensorListMetadataILi2EEENS1_11CopyFunctorIN3c1015Float8_e5m2fnuzEiLi2ELi1ELi1EEEJNS0_4CopyIS7_iEEEEEvT_T0_DpT1_,comdat
.Lfunc_end400:
	.size	_ZN2at6native12_GLOBAL__N_125multi_tensor_apply_kernelINS1_18TensorListMetadataILi2EEENS1_11CopyFunctorIN3c1015Float8_e5m2fnuzEiLi2ELi1ELi1EEEJNS0_4CopyIS7_iEEEEEvT_T0_DpT1_, .Lfunc_end400-_ZN2at6native12_GLOBAL__N_125multi_tensor_apply_kernelINS1_18TensorListMetadataILi2EEENS1_11CopyFunctorIN3c1015Float8_e5m2fnuzEiLi2ELi1ELi1EEEJNS0_4CopyIS7_iEEEEEvT_T0_DpT1_
                                        ; -- End function
	.section	.AMDGPU.csdata,"",@progbits
; Kernel info:
; codeLenInByte = 3300
; NumSgprs: 25
; NumVgprs: 37
; ScratchSize: 0
; MemoryBound: 0
; FloatMode: 240
; IeeeMode: 1
; LDSByteSize: 0 bytes/workgroup (compile time only)
; SGPRBlocks: 3
; VGPRBlocks: 4
; NumSGPRsForWavesPerEU: 25
; NumVGPRsForWavesPerEU: 37
; Occupancy: 16
; WaveLimiterHint : 0
; COMPUTE_PGM_RSRC2:SCRATCH_EN: 0
; COMPUTE_PGM_RSRC2:USER_SGPR: 15
; COMPUTE_PGM_RSRC2:TRAP_HANDLER: 0
; COMPUTE_PGM_RSRC2:TGID_X_EN: 1
; COMPUTE_PGM_RSRC2:TGID_Y_EN: 0
; COMPUTE_PGM_RSRC2:TGID_Z_EN: 0
; COMPUTE_PGM_RSRC2:TIDIG_COMP_CNT: 0
	.section	.text._ZN2at6native12_GLOBAL__N_125multi_tensor_apply_kernelINS1_18TensorListMetadataILi2EEENS1_11CopyFunctorIN3c1015Float8_e5m2fnuzEdLi2ELi1ELi1EEEJNS0_4CopyIS7_dEEEEEvT_T0_DpT1_,"axG",@progbits,_ZN2at6native12_GLOBAL__N_125multi_tensor_apply_kernelINS1_18TensorListMetadataILi2EEENS1_11CopyFunctorIN3c1015Float8_e5m2fnuzEdLi2ELi1ELi1EEEJNS0_4CopyIS7_dEEEEEvT_T0_DpT1_,comdat
	.globl	_ZN2at6native12_GLOBAL__N_125multi_tensor_apply_kernelINS1_18TensorListMetadataILi2EEENS1_11CopyFunctorIN3c1015Float8_e5m2fnuzEdLi2ELi1ELi1EEEJNS0_4CopyIS7_dEEEEEvT_T0_DpT1_ ; -- Begin function _ZN2at6native12_GLOBAL__N_125multi_tensor_apply_kernelINS1_18TensorListMetadataILi2EEENS1_11CopyFunctorIN3c1015Float8_e5m2fnuzEdLi2ELi1ELi1EEEJNS0_4CopyIS7_dEEEEEvT_T0_DpT1_
	.p2align	8
	.type	_ZN2at6native12_GLOBAL__N_125multi_tensor_apply_kernelINS1_18TensorListMetadataILi2EEENS1_11CopyFunctorIN3c1015Float8_e5m2fnuzEdLi2ELi1ELi1EEEJNS0_4CopyIS7_dEEEEEvT_T0_DpT1_,@function
_ZN2at6native12_GLOBAL__N_125multi_tensor_apply_kernelINS1_18TensorListMetadataILi2EEENS1_11CopyFunctorIN3c1015Float8_e5m2fnuzEdLi2ELi1ELi1EEEJNS0_4CopyIS7_dEEEEEvT_T0_DpT1_: ; @_ZN2at6native12_GLOBAL__N_125multi_tensor_apply_kernelINS1_18TensorListMetadataILi2EEENS1_11CopyFunctorIN3c1015Float8_e5m2fnuzEdLi2ELi1ELi1EEEJNS0_4CopyIS7_dEEEEEvT_T0_DpT1_
; %bb.0:
	v_mov_b32_e32 v1, s15
	s_add_u32 s2, s0, s15
	s_mul_i32 s4, s15, 3
	s_addc_u32 s3, s1, 0
	s_mul_hi_u32 s5, s15, 3
	global_load_u8 v1, v1, s[0:1] offset:1536
	s_add_u32 s2, s2, s4
	s_addc_u32 s3, s3, s5
	s_mov_b32 s17, 0
	s_load_b32 s10, s[2:3], 0x740
	s_waitcnt lgkmcnt(0)
	s_ashr_i32 s11, s10, 31
	s_delay_alu instid0(SALU_CYCLE_1) | instskip(SKIP_2) | instid1(VALU_DEP_1)
	s_lshl_b64 s[8:9], s[10:11], 16
	s_waitcnt vmcnt(0)
	v_readfirstlane_b32 s4, v1
	s_lshl_b32 s4, s4, 3
	s_clause 0x2
	s_load_b64 s[6:7], s[0:1], s4 offset:0x200
	s_load_b64 s[2:3], s[0:1], s4 offset:0x400
	;; [unrolled: 1-line block ×3, first 2 shown]
	s_waitcnt lgkmcnt(0)
	s_add_u32 s14, s6, s8
	s_addc_u32 s15, s7, s9
	s_delay_alu instid0(SALU_CYCLE_1) | instskip(SKIP_2) | instid1(SALU_CYCLE_1)
	s_or_b64 s[4:5], s[2:3], s[14:15]
	s_and_b32 s5, s12, 31
	s_and_b32 s4, s4, 3
	s_or_b32 s16, s4, s5
	s_sub_u32 s4, s2, s8
	s_subb_u32 s5, s3, s9
	s_cmp_eq_u64 s[16:17], 0
	s_mov_b32 s2, -1
	s_cbranch_scc0 .LBB401_37
; %bb.1:
	v_dual_mov_b32 v10, 0 :: v_dual_lshlrev_b32 v9, 2, v0
	s_mov_b32 s3, exec_lo
	s_delay_alu instid0(VALU_DEP_1)
	v_cmpx_gt_i64_e64 s[4:5], v[9:10]
	s_cbranch_execz .LBB401_36
; %bb.2:
	s_load_b32 s2, s[0:1], 0xc5c
	v_lshlrev_b32_e32 v1, 5, v0
	s_lshl_b64 s[18:19], s[10:11], 19
	s_waitcnt lgkmcnt(0)
	s_and_b32 s2, s2, 0xffff
	s_delay_alu instid0(SALU_CYCLE_1) | instskip(SKIP_3) | instid1(VALU_DEP_1)
	s_lshl_b32 s16, s2, 2
	s_add_u32 s17, s12, s18
	s_addc_u32 s18, s13, s19
	v_add_co_u32 v11, s17, s17, v1
	v_add_co_ci_u32_e64 v12, null, s18, 0, s17
	s_mov_b32 s17, 0
	s_lshl_b32 s18, s2, 5
	s_branch .LBB401_5
.LBB401_3:                              ;   in Loop: Header=BB401_5 Depth=1
	s_or_b32 exec_lo, exec_lo, s20
.LBB401_4:                              ;   in Loop: Header=BB401_5 Depth=1
	s_delay_alu instid0(SALU_CYCLE_1)
	s_or_b32 exec_lo, exec_lo, s2
	v_add_co_u32 v3, vcc_lo, s14, v9
	v_add_co_ci_u32_e32 v4, vcc_lo, s15, v10, vcc_lo
	v_add_co_u32 v9, vcc_lo, s16, v9
	v_add_co_ci_u32_e32 v10, vcc_lo, 0, v10, vcc_lo
	v_lshlrev_b32_e32 v2, 16, v2
	v_lshlrev_b32_e32 v6, 8, v6
	v_and_b32_e32 v5, 0xff, v5
	s_delay_alu instid0(VALU_DEP_4) | instskip(SKIP_3) | instid1(VALU_DEP_3)
	v_cmp_le_i64_e32 vcc_lo, s[4:5], v[9:10]
	v_cmp_lt_u64_e64 s2, 0xffff, v[9:10]
	v_perm_b32 v1, v1, v2, 0x4020c0c
	v_and_b32_e32 v2, 0xff00, v6
	s_or_b32 s2, vcc_lo, s2
	v_add_co_u32 v11, vcc_lo, v11, s18
	s_delay_alu instid0(VALU_DEP_2) | instskip(SKIP_2) | instid1(SALU_CYCLE_1)
	v_or3_b32 v1, v1, v2, v5
	v_add_co_ci_u32_e32 v12, vcc_lo, 0, v12, vcc_lo
	s_and_b32 s2, exec_lo, s2
	s_or_b32 s17, s2, s17
	global_store_b32 v[3:4], v1, off
	s_and_not1_b32 exec_lo, exec_lo, s17
	s_cbranch_execz .LBB401_36
.LBB401_5:                              ; =>This Inner Loop Header: Depth=1
	s_clause 0x1
	global_load_b128 v[5:8], v[11:12], off
	global_load_b128 v[1:4], v[11:12], off offset:16
	s_mov_b32 s2, exec_lo
	s_waitcnt vmcnt(1)
	v_cvt_f32_f64_e32 v13, v[5:6]
	v_dual_mov_b32 v6, 0x80 :: v_dual_mov_b32 v5, 0x80
	s_delay_alu instid0(VALU_DEP_2) | instskip(NEXT) | instid1(VALU_DEP_1)
	v_and_b32_e32 v14, 0x7fffffff, v13
	v_cmpx_gt_u32_e32 0x47800000, v14
	s_cbranch_execz .LBB401_11
; %bb.6:                                ;   in Loop: Header=BB401_5 Depth=1
	v_cmp_lt_u32_e32 vcc_lo, 0x37ffffff, v14
	s_mov_b32 s19, 0
                                        ; implicit-def: $vgpr14
	s_and_saveexec_b32 s20, vcc_lo
	s_delay_alu instid0(SALU_CYCLE_1)
	s_xor_b32 s20, exec_lo, s20
	s_cbranch_execnz .LBB401_27
; %bb.7:                                ;   in Loop: Header=BB401_5 Depth=1
	s_or_saveexec_b32 s20, s20
                                        ; implicit-def: $sgpr21
	s_delay_alu instid0(SALU_CYCLE_1)
	s_xor_b32 exec_lo, exec_lo, s20
	s_cbranch_execnz .LBB401_28
.LBB401_8:                              ;   in Loop: Header=BB401_5 Depth=1
	s_or_b32 exec_lo, exec_lo, s20
	v_mov_b32_e32 v5, s21
	s_and_saveexec_b32 s20, s19
.LBB401_9:                              ;   in Loop: Header=BB401_5 Depth=1
	v_lshrrev_b32_e32 v5, 24, v13
	s_delay_alu instid0(VALU_DEP_1)
	v_and_or_b32 v5, 0x80, v5, v14
.LBB401_10:                             ;   in Loop: Header=BB401_5 Depth=1
	s_or_b32 exec_lo, exec_lo, s20
.LBB401_11:                             ;   in Loop: Header=BB401_5 Depth=1
	s_delay_alu instid0(SALU_CYCLE_1) | instskip(SKIP_2) | instid1(VALU_DEP_1)
	s_or_b32 exec_lo, exec_lo, s2
	v_cvt_f32_f64_e32 v7, v[7:8]
	s_mov_b32 s2, exec_lo
	v_and_b32_e32 v8, 0x7fffffff, v7
	s_delay_alu instid0(VALU_DEP_1)
	v_cmpx_gt_u32_e32 0x47800000, v8
	s_cbranch_execz .LBB401_17
; %bb.12:                               ;   in Loop: Header=BB401_5 Depth=1
	v_cmp_lt_u32_e32 vcc_lo, 0x37ffffff, v8
	s_mov_b32 s19, 0
                                        ; implicit-def: $vgpr8
	s_and_saveexec_b32 s20, vcc_lo
	s_delay_alu instid0(SALU_CYCLE_1)
	s_xor_b32 s20, exec_lo, s20
	s_cbranch_execnz .LBB401_29
; %bb.13:                               ;   in Loop: Header=BB401_5 Depth=1
	s_or_saveexec_b32 s20, s20
                                        ; implicit-def: $sgpr21
	s_delay_alu instid0(SALU_CYCLE_1)
	s_xor_b32 exec_lo, exec_lo, s20
	s_cbranch_execnz .LBB401_30
.LBB401_14:                             ;   in Loop: Header=BB401_5 Depth=1
	s_or_b32 exec_lo, exec_lo, s20
	v_mov_b32_e32 v6, s21
	s_and_saveexec_b32 s20, s19
.LBB401_15:                             ;   in Loop: Header=BB401_5 Depth=1
	v_lshrrev_b32_e32 v6, 24, v7
	s_delay_alu instid0(VALU_DEP_1)
	v_and_or_b32 v6, 0x80, v6, v8
.LBB401_16:                             ;   in Loop: Header=BB401_5 Depth=1
	s_or_b32 exec_lo, exec_lo, s20
.LBB401_17:                             ;   in Loop: Header=BB401_5 Depth=1
	s_delay_alu instid0(SALU_CYCLE_1) | instskip(SKIP_4) | instid1(VALU_DEP_2)
	s_or_b32 exec_lo, exec_lo, s2
	s_waitcnt vmcnt(0)
	v_cvt_f32_f64_e32 v7, v[1:2]
	v_dual_mov_b32 v1, 0x80 :: v_dual_mov_b32 v2, 0x80
	s_mov_b32 s2, exec_lo
	v_and_b32_e32 v8, 0x7fffffff, v7
	s_delay_alu instid0(VALU_DEP_1)
	v_cmpx_gt_u32_e32 0x47800000, v8
	s_cbranch_execz .LBB401_23
; %bb.18:                               ;   in Loop: Header=BB401_5 Depth=1
	v_cmp_lt_u32_e32 vcc_lo, 0x37ffffff, v8
	s_mov_b32 s19, 0
                                        ; implicit-def: $vgpr8
	s_and_saveexec_b32 s20, vcc_lo
	s_delay_alu instid0(SALU_CYCLE_1)
	s_xor_b32 s20, exec_lo, s20
	s_cbranch_execnz .LBB401_31
; %bb.19:                               ;   in Loop: Header=BB401_5 Depth=1
	s_or_saveexec_b32 s20, s20
                                        ; implicit-def: $sgpr21
	s_delay_alu instid0(SALU_CYCLE_1)
	s_xor_b32 exec_lo, exec_lo, s20
	s_cbranch_execnz .LBB401_32
.LBB401_20:                             ;   in Loop: Header=BB401_5 Depth=1
	s_or_b32 exec_lo, exec_lo, s20
	v_mov_b32_e32 v2, s21
	s_and_saveexec_b32 s20, s19
.LBB401_21:                             ;   in Loop: Header=BB401_5 Depth=1
	v_lshrrev_b32_e32 v2, 24, v7
	s_delay_alu instid0(VALU_DEP_1)
	v_and_or_b32 v2, 0x80, v2, v8
.LBB401_22:                             ;   in Loop: Header=BB401_5 Depth=1
	s_or_b32 exec_lo, exec_lo, s20
.LBB401_23:                             ;   in Loop: Header=BB401_5 Depth=1
	s_delay_alu instid0(SALU_CYCLE_1) | instskip(SKIP_2) | instid1(VALU_DEP_1)
	s_or_b32 exec_lo, exec_lo, s2
	v_cvt_f32_f64_e32 v3, v[3:4]
	s_mov_b32 s2, exec_lo
	v_and_b32_e32 v4, 0x7fffffff, v3
	s_delay_alu instid0(VALU_DEP_1)
	v_cmpx_gt_u32_e32 0x47800000, v4
	s_cbranch_execz .LBB401_4
; %bb.24:                               ;   in Loop: Header=BB401_5 Depth=1
	v_cmp_lt_u32_e32 vcc_lo, 0x37ffffff, v4
	s_mov_b32 s19, 0
                                        ; implicit-def: $vgpr4
	s_and_saveexec_b32 s20, vcc_lo
	s_delay_alu instid0(SALU_CYCLE_1)
	s_xor_b32 s20, exec_lo, s20
	s_cbranch_execnz .LBB401_33
; %bb.25:                               ;   in Loop: Header=BB401_5 Depth=1
	s_or_saveexec_b32 s20, s20
                                        ; implicit-def: $sgpr21
	s_delay_alu instid0(SALU_CYCLE_1)
	s_xor_b32 exec_lo, exec_lo, s20
	s_cbranch_execnz .LBB401_34
.LBB401_26:                             ;   in Loop: Header=BB401_5 Depth=1
	s_or_b32 exec_lo, exec_lo, s20
	v_mov_b32_e32 v1, s21
	s_and_saveexec_b32 s20, s19
	s_cbranch_execz .LBB401_3
	s_branch .LBB401_35
.LBB401_27:                             ;   in Loop: Header=BB401_5 Depth=1
	v_bfe_u32 v5, v13, 21, 1
	s_mov_b32 s19, exec_lo
	s_delay_alu instid0(VALU_DEP_1) | instskip(NEXT) | instid1(VALU_DEP_1)
	v_add3_u32 v5, v13, v5, 0x88fffff
	v_lshrrev_b32_e32 v14, 21, v5
	s_or_saveexec_b32 s20, s20
                                        ; implicit-def: $sgpr21
	s_delay_alu instid0(SALU_CYCLE_1)
	s_xor_b32 exec_lo, exec_lo, s20
	s_cbranch_execz .LBB401_8
.LBB401_28:                             ;   in Loop: Header=BB401_5 Depth=1
	v_add_f32_e64 v5, 0x42800000, |v13|
	s_and_not1_b32 s19, s19, exec_lo
	s_mov_b32 s21, 0
	s_delay_alu instid0(VALU_DEP_1) | instskip(NEXT) | instid1(VALU_DEP_1)
	v_and_b32_e32 v14, 0xff, v5
	v_cmp_ne_u32_e32 vcc_lo, 0, v14
	s_and_b32 s22, vcc_lo, exec_lo
	s_delay_alu instid0(SALU_CYCLE_1)
	s_or_b32 s19, s19, s22
	s_or_b32 exec_lo, exec_lo, s20
	v_mov_b32_e32 v5, s21
	s_and_saveexec_b32 s20, s19
	s_cbranch_execnz .LBB401_9
	s_branch .LBB401_10
.LBB401_29:                             ;   in Loop: Header=BB401_5 Depth=1
	v_bfe_u32 v6, v7, 21, 1
	s_mov_b32 s19, exec_lo
	s_delay_alu instid0(VALU_DEP_1) | instskip(NEXT) | instid1(VALU_DEP_1)
	v_add3_u32 v6, v7, v6, 0x88fffff
	v_lshrrev_b32_e32 v8, 21, v6
	s_or_saveexec_b32 s20, s20
                                        ; implicit-def: $sgpr21
	s_delay_alu instid0(SALU_CYCLE_1)
	s_xor_b32 exec_lo, exec_lo, s20
	s_cbranch_execz .LBB401_14
.LBB401_30:                             ;   in Loop: Header=BB401_5 Depth=1
	v_add_f32_e64 v6, 0x42800000, |v7|
	s_and_not1_b32 s19, s19, exec_lo
	s_mov_b32 s21, 0
	s_delay_alu instid0(VALU_DEP_1) | instskip(NEXT) | instid1(VALU_DEP_1)
	v_and_b32_e32 v8, 0xff, v6
	v_cmp_ne_u32_e32 vcc_lo, 0, v8
	s_and_b32 s22, vcc_lo, exec_lo
	s_delay_alu instid0(SALU_CYCLE_1)
	s_or_b32 s19, s19, s22
	s_or_b32 exec_lo, exec_lo, s20
	v_mov_b32_e32 v6, s21
	s_and_saveexec_b32 s20, s19
	s_cbranch_execnz .LBB401_15
	s_branch .LBB401_16
.LBB401_31:                             ;   in Loop: Header=BB401_5 Depth=1
	v_bfe_u32 v2, v7, 21, 1
	s_mov_b32 s19, exec_lo
	s_delay_alu instid0(VALU_DEP_1) | instskip(NEXT) | instid1(VALU_DEP_1)
	v_add3_u32 v2, v7, v2, 0x88fffff
	v_lshrrev_b32_e32 v8, 21, v2
	s_or_saveexec_b32 s20, s20
                                        ; implicit-def: $sgpr21
	s_delay_alu instid0(SALU_CYCLE_1)
	s_xor_b32 exec_lo, exec_lo, s20
	s_cbranch_execz .LBB401_20
.LBB401_32:                             ;   in Loop: Header=BB401_5 Depth=1
	v_add_f32_e64 v2, 0x42800000, |v7|
	s_and_not1_b32 s19, s19, exec_lo
	s_mov_b32 s21, 0
	s_delay_alu instid0(VALU_DEP_1) | instskip(NEXT) | instid1(VALU_DEP_1)
	v_and_b32_e32 v8, 0xff, v2
	v_cmp_ne_u32_e32 vcc_lo, 0, v8
	s_and_b32 s22, vcc_lo, exec_lo
	s_delay_alu instid0(SALU_CYCLE_1)
	s_or_b32 s19, s19, s22
	s_or_b32 exec_lo, exec_lo, s20
	v_mov_b32_e32 v2, s21
	s_and_saveexec_b32 s20, s19
	s_cbranch_execnz .LBB401_21
	s_branch .LBB401_22
.LBB401_33:                             ;   in Loop: Header=BB401_5 Depth=1
	v_bfe_u32 v1, v3, 21, 1
	s_mov_b32 s19, exec_lo
	s_delay_alu instid0(VALU_DEP_1) | instskip(NEXT) | instid1(VALU_DEP_1)
	v_add3_u32 v1, v3, v1, 0x88fffff
	v_lshrrev_b32_e32 v4, 21, v1
	s_or_saveexec_b32 s20, s20
                                        ; implicit-def: $sgpr21
	s_delay_alu instid0(SALU_CYCLE_1)
	s_xor_b32 exec_lo, exec_lo, s20
	s_cbranch_execz .LBB401_26
.LBB401_34:                             ;   in Loop: Header=BB401_5 Depth=1
	v_add_f32_e64 v1, 0x42800000, |v3|
	s_and_not1_b32 s19, s19, exec_lo
	s_mov_b32 s21, 0
	s_delay_alu instid0(VALU_DEP_1) | instskip(NEXT) | instid1(VALU_DEP_1)
	v_and_b32_e32 v4, 0xff, v1
	v_cmp_ne_u32_e32 vcc_lo, 0, v4
	s_and_b32 s22, vcc_lo, exec_lo
	s_delay_alu instid0(SALU_CYCLE_1)
	s_or_b32 s19, s19, s22
	s_or_b32 exec_lo, exec_lo, s20
	v_mov_b32_e32 v1, s21
	s_and_saveexec_b32 s20, s19
	s_cbranch_execz .LBB401_3
.LBB401_35:                             ;   in Loop: Header=BB401_5 Depth=1
	v_lshrrev_b32_e32 v1, 24, v3
	s_delay_alu instid0(VALU_DEP_1)
	v_and_or_b32 v1, 0x80, v1, v4
	s_branch .LBB401_3
.LBB401_36:
	s_or_b32 exec_lo, exec_lo, s3
	s_mov_b32 s2, 0
.LBB401_37:
	s_delay_alu instid0(SALU_CYCLE_1)
	s_and_not1_b32 vcc_lo, exec_lo, s2
	s_cbranch_vccnz .LBB401_89
; %bb.38:
	v_cmp_lt_i64_e64 s2, s[4:5], 1
	s_delay_alu instid0(VALU_DEP_1)
	s_and_b32 vcc_lo, exec_lo, s2
	s_cbranch_vccnz .LBB401_89
; %bb.39:
	s_load_b32 s0, s[0:1], 0xc5c
	v_cmp_gt_u64_e64 s1, 0x10000, s[4:5]
	v_add_co_u32 v5, s2, s8, v0
	v_lshlrev_b32_e32 v1, 3, v0
	v_add_co_ci_u32_e64 v6, null, s9, 0, s2
	s_delay_alu instid0(VALU_DEP_3) | instskip(NEXT) | instid1(VALU_DEP_2)
	v_add_co_u32 v21, vcc_lo, s6, v5
                                        ; implicit-def: $vgpr9_vgpr10
                                        ; implicit-def: $vgpr11_vgpr12
                                        ; implicit-def: $vgpr7_vgpr8
	v_add_co_ci_u32_e32 v22, vcc_lo, s7, v6, vcc_lo
	s_waitcnt lgkmcnt(0)
	s_and_b32 s0, s0, 0xffff
	s_and_b32 s1, s1, exec_lo
	s_cselect_b32 s3, s5, 0
	s_cselect_b32 s2, s4, 0x10000
	s_lshl_b64 s[10:11], s[10:11], 19
	s_lshl_b32 s14, s0, 1
	s_lshl_b32 s1, s0, 2
	s_add_u32 s12, s12, s10
	s_mul_i32 s15, s0, 3
	s_addc_u32 s13, s13, s11
	s_lshl_b32 s10, s0, 5
	v_add_co_u32 v1, s16, s12, v1
	s_add_u32 s11, s8, s15
	v_add_co_ci_u32_e64 v2, null, s13, 0, s16
	s_addc_u32 s16, s9, 0
	s_add_u32 s11, s6, s11
	s_addc_u32 s16, s7, s16
	v_add_co_u32 v23, s11, s11, v0
	s_delay_alu instid0(VALU_DEP_1)
	v_add_co_ci_u32_e64 v24, null, s16, 0, s11
	v_add_co_u32 v25, s11, s15, v0
	v_add_co_u32 v27, s15, v0, s0
	v_add_co_ci_u32_e64 v26, null, 0, 0, s11
	s_lshl_b32 s11, s0, 4
	s_add_u32 s8, s8, s14
	s_addc_u32 s9, s9, 0
	s_add_u32 s8, s6, s8
	v_lshlrev_b32_e32 v3, 3, v27
	s_addc_u32 s9, s7, s9
	v_add_co_u32 v28, s8, s8, v0
	s_delay_alu instid0(VALU_DEP_1)
	v_add_co_ci_u32_e64 v29, null, s9, 0, s8
	v_add_co_u32 v31, s8, s14, v0
	s_add_u32 s6, s6, s0
	v_add_co_ci_u32_e64 v32, null, 0, 0, s8
	v_add_co_u32 v3, s8, s12, v3
	s_addc_u32 s7, s7, 0
	v_add_co_u32 v33, vcc_lo, s6, v5
	v_add_co_ci_u32_e64 v30, null, 0, 0, s15
	v_add_co_ci_u32_e64 v4, null, s13, 0, s8
	v_add_co_ci_u32_e32 v34, vcc_lo, s7, v6, vcc_lo
	s_mul_i32 s8, s0, 24
	s_mov_b64 s[6:7], 0
                                        ; implicit-def: $vgpr5_vgpr6
	s_branch .LBB401_41
.LBB401_40:                             ;   in Loop: Header=BB401_41 Depth=1
	s_or_b32 exec_lo, exec_lo, s0
	s_add_u32 s6, s6, s1
	s_addc_u32 s7, s7, 0
	v_add_co_u32 v1, vcc_lo, v1, s10
	v_cmp_ge_i64_e64 s0, s[6:7], s[4:5]
	v_cmp_lt_u64_e64 s9, 0xffff, s[6:7]
	v_add_co_ci_u32_e32 v2, vcc_lo, 0, v2, vcc_lo
	v_add_co_u32 v3, vcc_lo, v3, s10
	v_add_co_ci_u32_e32 v4, vcc_lo, 0, v4, vcc_lo
	s_delay_alu instid0(VALU_DEP_4) | instskip(NEXT) | instid1(SALU_CYCLE_1)
	s_or_b32 s0, s0, s9
	s_and_b32 vcc_lo, exec_lo, s0
	s_cbranch_vccnz .LBB401_89
.LBB401_41:                             ; =>This Inner Loop Header: Depth=1
	v_add_co_u32 v13, s0, v0, s6
	s_delay_alu instid0(VALU_DEP_1) | instskip(NEXT) | instid1(VALU_DEP_1)
	v_add_co_ci_u32_e64 v14, null, 0, s7, s0
	v_cmp_gt_i64_e32 vcc_lo, s[4:5], v[13:14]
	v_cmp_gt_u64_e64 s0, 0x10000, v[13:14]
	s_delay_alu instid0(VALU_DEP_1) | instskip(NEXT) | instid1(SALU_CYCLE_1)
	s_and_b32 s9, vcc_lo, s0
	s_and_saveexec_b32 s0, s9
	s_cbranch_execz .LBB401_43
; %bb.42:                               ;   in Loop: Header=BB401_41 Depth=1
	global_load_b64 v[7:8], v[1:2], off
.LBB401_43:                             ;   in Loop: Header=BB401_41 Depth=1
	s_or_b32 exec_lo, exec_lo, s0
	v_add_co_u32 v15, vcc_lo, v27, s6
	v_add_co_ci_u32_e32 v16, vcc_lo, s7, v30, vcc_lo
	s_delay_alu instid0(VALU_DEP_1) | instskip(SKIP_1) | instid1(VALU_DEP_1)
	v_cmp_gt_i64_e32 vcc_lo, s[4:5], v[15:16]
	v_cmp_gt_u64_e64 s0, 0x10000, v[15:16]
	s_and_b32 s9, vcc_lo, s0
	s_delay_alu instid0(SALU_CYCLE_1)
	s_and_saveexec_b32 s0, s9
	s_cbranch_execz .LBB401_45
; %bb.44:                               ;   in Loop: Header=BB401_41 Depth=1
	global_load_b64 v[5:6], v[3:4], off
.LBB401_45:                             ;   in Loop: Header=BB401_41 Depth=1
	s_or_b32 exec_lo, exec_lo, s0
	v_add_co_u32 v17, vcc_lo, v31, s6
	v_add_co_ci_u32_e32 v18, vcc_lo, s7, v32, vcc_lo
	s_delay_alu instid0(VALU_DEP_1) | instskip(SKIP_1) | instid1(VALU_DEP_1)
	v_cmp_gt_i64_e32 vcc_lo, s[4:5], v[17:18]
	v_cmp_gt_u64_e64 s0, 0x10000, v[17:18]
	s_and_b32 s9, vcc_lo, s0
	s_delay_alu instid0(SALU_CYCLE_1)
	s_and_saveexec_b32 s0, s9
	s_cbranch_execz .LBB401_47
; %bb.46:                               ;   in Loop: Header=BB401_41 Depth=1
	v_add_co_u32 v11, vcc_lo, v1, s11
	v_add_co_ci_u32_e32 v12, vcc_lo, 0, v2, vcc_lo
	global_load_b64 v[11:12], v[11:12], off
.LBB401_47:                             ;   in Loop: Header=BB401_41 Depth=1
	s_or_b32 exec_lo, exec_lo, s0
	v_add_co_u32 v19, vcc_lo, v25, s6
	v_add_co_ci_u32_e32 v20, vcc_lo, s7, v26, vcc_lo
	s_delay_alu instid0(VALU_DEP_1) | instskip(SKIP_1) | instid1(VALU_DEP_1)
	v_cmp_gt_i64_e32 vcc_lo, s[4:5], v[19:20]
	v_cmp_gt_u64_e64 s0, 0x10000, v[19:20]
	s_and_b32 s9, vcc_lo, s0
	s_delay_alu instid0(SALU_CYCLE_1)
	s_and_saveexec_b32 s0, s9
	s_cbranch_execz .LBB401_49
; %bb.48:                               ;   in Loop: Header=BB401_41 Depth=1
	v_add_co_u32 v9, vcc_lo, v1, s8
	v_add_co_ci_u32_e32 v10, vcc_lo, 0, v2, vcc_lo
	global_load_b64 v[9:10], v[9:10], off
.LBB401_49:                             ;   in Loop: Header=BB401_41 Depth=1
	s_or_b32 exec_lo, exec_lo, s0
	s_waitcnt vmcnt(0)
	v_cvt_f32_f64_e32 v37, v[7:8]
	v_dual_mov_b32 v35, 0x80 :: v_dual_mov_b32 v36, 0x80
	s_mov_b32 s0, exec_lo
	s_delay_alu instid0(VALU_DEP_2) | instskip(NEXT) | instid1(VALU_DEP_1)
	v_and_b32_e32 v38, 0x7fffffff, v37
	v_cmpx_gt_u32_e32 0x47800000, v38
	s_cbranch_execz .LBB401_55
; %bb.50:                               ;   in Loop: Header=BB401_41 Depth=1
	v_cmp_lt_u32_e32 vcc_lo, 0x37ffffff, v38
	s_mov_b32 s9, 0
                                        ; implicit-def: $vgpr38
	s_and_saveexec_b32 s12, vcc_lo
	s_delay_alu instid0(SALU_CYCLE_1)
	s_xor_b32 s12, exec_lo, s12
	s_cbranch_execnz .LBB401_81
; %bb.51:                               ;   in Loop: Header=BB401_41 Depth=1
	s_or_saveexec_b32 s12, s12
                                        ; implicit-def: $sgpr13
	s_delay_alu instid0(SALU_CYCLE_1)
	s_xor_b32 exec_lo, exec_lo, s12
	s_cbranch_execnz .LBB401_82
.LBB401_52:                             ;   in Loop: Header=BB401_41 Depth=1
	s_or_b32 exec_lo, exec_lo, s12
	v_mov_b32_e32 v36, s13
	s_and_saveexec_b32 s12, s9
.LBB401_53:                             ;   in Loop: Header=BB401_41 Depth=1
	v_lshrrev_b32_e32 v36, 24, v37
	s_delay_alu instid0(VALU_DEP_1)
	v_and_or_b32 v36, 0x80, v36, v38
.LBB401_54:                             ;   in Loop: Header=BB401_41 Depth=1
	s_or_b32 exec_lo, exec_lo, s12
.LBB401_55:                             ;   in Loop: Header=BB401_41 Depth=1
	s_delay_alu instid0(SALU_CYCLE_1) | instskip(SKIP_2) | instid1(VALU_DEP_1)
	s_or_b32 exec_lo, exec_lo, s0
	v_cvt_f32_f64_e32 v37, v[5:6]
	s_mov_b32 s0, exec_lo
	v_and_b32_e32 v38, 0x7fffffff, v37
	s_delay_alu instid0(VALU_DEP_1)
	v_cmpx_gt_u32_e32 0x47800000, v38
	s_cbranch_execz .LBB401_61
; %bb.56:                               ;   in Loop: Header=BB401_41 Depth=1
	v_cmp_lt_u32_e32 vcc_lo, 0x37ffffff, v38
	s_mov_b32 s9, 0
                                        ; implicit-def: $vgpr38
	s_and_saveexec_b32 s12, vcc_lo
	s_delay_alu instid0(SALU_CYCLE_1)
	s_xor_b32 s12, exec_lo, s12
	s_cbranch_execnz .LBB401_83
; %bb.57:                               ;   in Loop: Header=BB401_41 Depth=1
	s_or_saveexec_b32 s12, s12
                                        ; implicit-def: $sgpr13
	s_delay_alu instid0(SALU_CYCLE_1)
	s_xor_b32 exec_lo, exec_lo, s12
	s_cbranch_execnz .LBB401_84
.LBB401_58:                             ;   in Loop: Header=BB401_41 Depth=1
	s_or_b32 exec_lo, exec_lo, s12
	v_mov_b32_e32 v35, s13
	s_and_saveexec_b32 s12, s9
.LBB401_59:                             ;   in Loop: Header=BB401_41 Depth=1
	v_lshrrev_b32_e32 v35, 24, v37
	s_delay_alu instid0(VALU_DEP_1)
	v_and_or_b32 v35, 0x80, v35, v38
.LBB401_60:                             ;   in Loop: Header=BB401_41 Depth=1
	s_or_b32 exec_lo, exec_lo, s12
.LBB401_61:                             ;   in Loop: Header=BB401_41 Depth=1
	s_delay_alu instid0(SALU_CYCLE_1) | instskip(SKIP_3) | instid1(VALU_DEP_2)
	s_or_b32 exec_lo, exec_lo, s0
	v_cvt_f32_f64_e32 v39, v[11:12]
	v_dual_mov_b32 v37, 0x80 :: v_dual_mov_b32 v38, 0x80
	s_mov_b32 s0, exec_lo
	v_and_b32_e32 v40, 0x7fffffff, v39
	s_delay_alu instid0(VALU_DEP_1)
	v_cmpx_gt_u32_e32 0x47800000, v40
	s_cbranch_execz .LBB401_67
; %bb.62:                               ;   in Loop: Header=BB401_41 Depth=1
	v_cmp_lt_u32_e32 vcc_lo, 0x37ffffff, v40
	s_mov_b32 s9, 0
                                        ; implicit-def: $vgpr40
	s_and_saveexec_b32 s12, vcc_lo
	s_delay_alu instid0(SALU_CYCLE_1)
	s_xor_b32 s12, exec_lo, s12
	s_cbranch_execnz .LBB401_85
; %bb.63:                               ;   in Loop: Header=BB401_41 Depth=1
	s_or_saveexec_b32 s12, s12
                                        ; implicit-def: $sgpr13
	s_delay_alu instid0(SALU_CYCLE_1)
	s_xor_b32 exec_lo, exec_lo, s12
	s_cbranch_execnz .LBB401_86
.LBB401_64:                             ;   in Loop: Header=BB401_41 Depth=1
	s_or_b32 exec_lo, exec_lo, s12
	v_mov_b32_e32 v38, s13
	s_and_saveexec_b32 s12, s9
.LBB401_65:                             ;   in Loop: Header=BB401_41 Depth=1
	v_lshrrev_b32_e32 v38, 24, v39
	s_delay_alu instid0(VALU_DEP_1)
	v_and_or_b32 v38, 0x80, v38, v40
.LBB401_66:                             ;   in Loop: Header=BB401_41 Depth=1
	s_or_b32 exec_lo, exec_lo, s12
.LBB401_67:                             ;   in Loop: Header=BB401_41 Depth=1
	s_delay_alu instid0(SALU_CYCLE_1) | instskip(SKIP_2) | instid1(VALU_DEP_1)
	s_or_b32 exec_lo, exec_lo, s0
	v_cvt_f32_f64_e32 v39, v[9:10]
	s_mov_b32 s0, exec_lo
	v_and_b32_e32 v40, 0x7fffffff, v39
	s_delay_alu instid0(VALU_DEP_1)
	v_cmpx_gt_u32_e32 0x47800000, v40
	s_cbranch_execz .LBB401_73
; %bb.68:                               ;   in Loop: Header=BB401_41 Depth=1
	v_cmp_lt_u32_e32 vcc_lo, 0x37ffffff, v40
	s_mov_b32 s9, 0
                                        ; implicit-def: $vgpr40
	s_and_saveexec_b32 s12, vcc_lo
	s_delay_alu instid0(SALU_CYCLE_1)
	s_xor_b32 s12, exec_lo, s12
	s_cbranch_execnz .LBB401_87
; %bb.69:                               ;   in Loop: Header=BB401_41 Depth=1
	s_or_saveexec_b32 s12, s12
                                        ; implicit-def: $sgpr13
	s_delay_alu instid0(SALU_CYCLE_1)
	s_xor_b32 exec_lo, exec_lo, s12
	s_cbranch_execnz .LBB401_88
.LBB401_70:                             ;   in Loop: Header=BB401_41 Depth=1
	s_or_b32 exec_lo, exec_lo, s12
	v_mov_b32_e32 v37, s13
	s_and_saveexec_b32 s12, s9
.LBB401_71:                             ;   in Loop: Header=BB401_41 Depth=1
	v_lshrrev_b32_e32 v37, 24, v39
	s_delay_alu instid0(VALU_DEP_1)
	v_and_or_b32 v37, 0x80, v37, v40
.LBB401_72:                             ;   in Loop: Header=BB401_41 Depth=1
	s_or_b32 exec_lo, exec_lo, s12
.LBB401_73:                             ;   in Loop: Header=BB401_41 Depth=1
	s_delay_alu instid0(SALU_CYCLE_1) | instskip(NEXT) | instid1(SALU_CYCLE_1)
	s_or_b32 exec_lo, exec_lo, s0
	s_mov_b32 s0, exec_lo
	v_cmpx_gt_u64_e64 s[2:3], v[13:14]
	s_xor_b32 s0, exec_lo, s0
	s_cbranch_execnz .LBB401_77
; %bb.74:                               ;   in Loop: Header=BB401_41 Depth=1
	s_or_b32 exec_lo, exec_lo, s0
	s_delay_alu instid0(SALU_CYCLE_1)
	s_mov_b32 s0, exec_lo
	v_cmpx_gt_u64_e64 s[2:3], v[15:16]
	s_cbranch_execnz .LBB401_78
.LBB401_75:                             ;   in Loop: Header=BB401_41 Depth=1
	s_or_b32 exec_lo, exec_lo, s0
	s_delay_alu instid0(SALU_CYCLE_1)
	s_mov_b32 s0, exec_lo
	v_cmpx_gt_u64_e64 s[2:3], v[17:18]
	s_cbranch_execnz .LBB401_79
.LBB401_76:                             ;   in Loop: Header=BB401_41 Depth=1
	s_or_b32 exec_lo, exec_lo, s0
	s_delay_alu instid0(SALU_CYCLE_1)
	s_mov_b32 s0, exec_lo
	v_cmpx_gt_u64_e64 s[2:3], v[19:20]
	s_cbranch_execz .LBB401_40
	s_branch .LBB401_80
.LBB401_77:                             ;   in Loop: Header=BB401_41 Depth=1
	v_add_co_u32 v13, vcc_lo, v21, s6
	v_add_co_ci_u32_e32 v14, vcc_lo, s7, v22, vcc_lo
	global_store_b8 v[13:14], v36, off
	s_or_b32 exec_lo, exec_lo, s0
	s_delay_alu instid0(SALU_CYCLE_1)
	s_mov_b32 s0, exec_lo
	v_cmpx_gt_u64_e64 s[2:3], v[15:16]
	s_cbranch_execz .LBB401_75
.LBB401_78:                             ;   in Loop: Header=BB401_41 Depth=1
	v_add_co_u32 v13, vcc_lo, v33, s6
	v_add_co_ci_u32_e32 v14, vcc_lo, s7, v34, vcc_lo
	global_store_b8 v[13:14], v35, off
	s_or_b32 exec_lo, exec_lo, s0
	s_delay_alu instid0(SALU_CYCLE_1)
	s_mov_b32 s0, exec_lo
	v_cmpx_gt_u64_e64 s[2:3], v[17:18]
	s_cbranch_execz .LBB401_76
.LBB401_79:                             ;   in Loop: Header=BB401_41 Depth=1
	v_add_co_u32 v13, vcc_lo, v28, s6
	v_add_co_ci_u32_e32 v14, vcc_lo, s7, v29, vcc_lo
	global_store_b8 v[13:14], v38, off
	s_or_b32 exec_lo, exec_lo, s0
	s_delay_alu instid0(SALU_CYCLE_1)
	s_mov_b32 s0, exec_lo
	v_cmpx_gt_u64_e64 s[2:3], v[19:20]
	s_cbranch_execz .LBB401_40
.LBB401_80:                             ;   in Loop: Header=BB401_41 Depth=1
	v_add_co_u32 v13, vcc_lo, v23, s6
	v_add_co_ci_u32_e32 v14, vcc_lo, s7, v24, vcc_lo
	global_store_b8 v[13:14], v37, off
	s_branch .LBB401_40
.LBB401_81:                             ;   in Loop: Header=BB401_41 Depth=1
	v_bfe_u32 v36, v37, 21, 1
	s_mov_b32 s9, exec_lo
	s_delay_alu instid0(VALU_DEP_1) | instskip(NEXT) | instid1(VALU_DEP_1)
	v_add3_u32 v36, v37, v36, 0x88fffff
	v_lshrrev_b32_e32 v38, 21, v36
	s_or_saveexec_b32 s12, s12
                                        ; implicit-def: $sgpr13
	s_delay_alu instid0(SALU_CYCLE_1)
	s_xor_b32 exec_lo, exec_lo, s12
	s_cbranch_execz .LBB401_52
.LBB401_82:                             ;   in Loop: Header=BB401_41 Depth=1
	v_add_f32_e64 v36, 0x42800000, |v37|
	s_and_not1_b32 s9, s9, exec_lo
	s_mov_b32 s13, 0
	s_delay_alu instid0(VALU_DEP_1) | instskip(NEXT) | instid1(VALU_DEP_1)
	v_and_b32_e32 v38, 0xff, v36
	v_cmp_ne_u32_e32 vcc_lo, 0, v38
	s_and_b32 s14, vcc_lo, exec_lo
	s_delay_alu instid0(SALU_CYCLE_1)
	s_or_b32 s9, s9, s14
	s_or_b32 exec_lo, exec_lo, s12
	v_mov_b32_e32 v36, s13
	s_and_saveexec_b32 s12, s9
	s_cbranch_execnz .LBB401_53
	s_branch .LBB401_54
.LBB401_83:                             ;   in Loop: Header=BB401_41 Depth=1
	v_bfe_u32 v35, v37, 21, 1
	s_mov_b32 s9, exec_lo
	s_delay_alu instid0(VALU_DEP_1) | instskip(NEXT) | instid1(VALU_DEP_1)
	v_add3_u32 v35, v37, v35, 0x88fffff
	v_lshrrev_b32_e32 v38, 21, v35
	s_or_saveexec_b32 s12, s12
                                        ; implicit-def: $sgpr13
	s_delay_alu instid0(SALU_CYCLE_1)
	s_xor_b32 exec_lo, exec_lo, s12
	s_cbranch_execz .LBB401_58
.LBB401_84:                             ;   in Loop: Header=BB401_41 Depth=1
	v_add_f32_e64 v35, 0x42800000, |v37|
	s_and_not1_b32 s9, s9, exec_lo
	s_mov_b32 s13, 0
	s_delay_alu instid0(VALU_DEP_1) | instskip(NEXT) | instid1(VALU_DEP_1)
	v_and_b32_e32 v38, 0xff, v35
	v_cmp_ne_u32_e32 vcc_lo, 0, v38
	s_and_b32 s14, vcc_lo, exec_lo
	s_delay_alu instid0(SALU_CYCLE_1)
	s_or_b32 s9, s9, s14
	s_or_b32 exec_lo, exec_lo, s12
	v_mov_b32_e32 v35, s13
	s_and_saveexec_b32 s12, s9
	s_cbranch_execnz .LBB401_59
	s_branch .LBB401_60
.LBB401_85:                             ;   in Loop: Header=BB401_41 Depth=1
	v_bfe_u32 v38, v39, 21, 1
	s_mov_b32 s9, exec_lo
	s_delay_alu instid0(VALU_DEP_1) | instskip(NEXT) | instid1(VALU_DEP_1)
	v_add3_u32 v38, v39, v38, 0x88fffff
	v_lshrrev_b32_e32 v40, 21, v38
	s_or_saveexec_b32 s12, s12
                                        ; implicit-def: $sgpr13
	s_delay_alu instid0(SALU_CYCLE_1)
	s_xor_b32 exec_lo, exec_lo, s12
	s_cbranch_execz .LBB401_64
.LBB401_86:                             ;   in Loop: Header=BB401_41 Depth=1
	v_add_f32_e64 v38, 0x42800000, |v39|
	s_and_not1_b32 s9, s9, exec_lo
	s_mov_b32 s13, 0
	s_delay_alu instid0(VALU_DEP_1) | instskip(NEXT) | instid1(VALU_DEP_1)
	v_and_b32_e32 v40, 0xff, v38
	v_cmp_ne_u32_e32 vcc_lo, 0, v40
	s_and_b32 s14, vcc_lo, exec_lo
	s_delay_alu instid0(SALU_CYCLE_1)
	s_or_b32 s9, s9, s14
	s_or_b32 exec_lo, exec_lo, s12
	v_mov_b32_e32 v38, s13
	s_and_saveexec_b32 s12, s9
	s_cbranch_execnz .LBB401_65
	s_branch .LBB401_66
.LBB401_87:                             ;   in Loop: Header=BB401_41 Depth=1
	v_bfe_u32 v37, v39, 21, 1
	s_mov_b32 s9, exec_lo
	s_delay_alu instid0(VALU_DEP_1) | instskip(NEXT) | instid1(VALU_DEP_1)
	v_add3_u32 v37, v39, v37, 0x88fffff
	v_lshrrev_b32_e32 v40, 21, v37
	s_or_saveexec_b32 s12, s12
                                        ; implicit-def: $sgpr13
	s_delay_alu instid0(SALU_CYCLE_1)
	s_xor_b32 exec_lo, exec_lo, s12
	s_cbranch_execz .LBB401_70
.LBB401_88:                             ;   in Loop: Header=BB401_41 Depth=1
	v_add_f32_e64 v37, 0x42800000, |v39|
	s_and_not1_b32 s9, s9, exec_lo
	s_mov_b32 s13, 0
	s_delay_alu instid0(VALU_DEP_1) | instskip(NEXT) | instid1(VALU_DEP_1)
	v_and_b32_e32 v40, 0xff, v37
	v_cmp_ne_u32_e32 vcc_lo, 0, v40
	s_and_b32 s14, vcc_lo, exec_lo
	s_delay_alu instid0(SALU_CYCLE_1)
	s_or_b32 s9, s9, s14
	s_or_b32 exec_lo, exec_lo, s12
	v_mov_b32_e32 v37, s13
	s_and_saveexec_b32 s12, s9
	s_cbranch_execnz .LBB401_71
	s_branch .LBB401_72
.LBB401_89:
	s_nop 0
	s_sendmsg sendmsg(MSG_DEALLOC_VGPRS)
	s_endpgm
	.section	.rodata,"a",@progbits
	.p2align	6, 0x0
	.amdhsa_kernel _ZN2at6native12_GLOBAL__N_125multi_tensor_apply_kernelINS1_18TensorListMetadataILi2EEENS1_11CopyFunctorIN3c1015Float8_e5m2fnuzEdLi2ELi1ELi1EEEJNS0_4CopyIS7_dEEEEEvT_T0_DpT1_
		.amdhsa_group_segment_fixed_size 0
		.amdhsa_private_segment_fixed_size 0
		.amdhsa_kernarg_size 3408
		.amdhsa_user_sgpr_count 15
		.amdhsa_user_sgpr_dispatch_ptr 0
		.amdhsa_user_sgpr_queue_ptr 0
		.amdhsa_user_sgpr_kernarg_segment_ptr 1
		.amdhsa_user_sgpr_dispatch_id 0
		.amdhsa_user_sgpr_private_segment_size 0
		.amdhsa_wavefront_size32 1
		.amdhsa_uses_dynamic_stack 0
		.amdhsa_enable_private_segment 0
		.amdhsa_system_sgpr_workgroup_id_x 1
		.amdhsa_system_sgpr_workgroup_id_y 0
		.amdhsa_system_sgpr_workgroup_id_z 0
		.amdhsa_system_sgpr_workgroup_info 0
		.amdhsa_system_vgpr_workitem_id 0
		.amdhsa_next_free_vgpr 41
		.amdhsa_next_free_sgpr 23
		.amdhsa_reserve_vcc 1
		.amdhsa_float_round_mode_32 0
		.amdhsa_float_round_mode_16_64 0
		.amdhsa_float_denorm_mode_32 3
		.amdhsa_float_denorm_mode_16_64 3
		.amdhsa_dx10_clamp 1
		.amdhsa_ieee_mode 1
		.amdhsa_fp16_overflow 0
		.amdhsa_workgroup_processor_mode 1
		.amdhsa_memory_ordered 1
		.amdhsa_forward_progress 0
		.amdhsa_shared_vgpr_count 0
		.amdhsa_exception_fp_ieee_invalid_op 0
		.amdhsa_exception_fp_denorm_src 0
		.amdhsa_exception_fp_ieee_div_zero 0
		.amdhsa_exception_fp_ieee_overflow 0
		.amdhsa_exception_fp_ieee_underflow 0
		.amdhsa_exception_fp_ieee_inexact 0
		.amdhsa_exception_int_div_zero 0
	.end_amdhsa_kernel
	.section	.text._ZN2at6native12_GLOBAL__N_125multi_tensor_apply_kernelINS1_18TensorListMetadataILi2EEENS1_11CopyFunctorIN3c1015Float8_e5m2fnuzEdLi2ELi1ELi1EEEJNS0_4CopyIS7_dEEEEEvT_T0_DpT1_,"axG",@progbits,_ZN2at6native12_GLOBAL__N_125multi_tensor_apply_kernelINS1_18TensorListMetadataILi2EEENS1_11CopyFunctorIN3c1015Float8_e5m2fnuzEdLi2ELi1ELi1EEEJNS0_4CopyIS7_dEEEEEvT_T0_DpT1_,comdat
.Lfunc_end401:
	.size	_ZN2at6native12_GLOBAL__N_125multi_tensor_apply_kernelINS1_18TensorListMetadataILi2EEENS1_11CopyFunctorIN3c1015Float8_e5m2fnuzEdLi2ELi1ELi1EEEJNS0_4CopyIS7_dEEEEEvT_T0_DpT1_, .Lfunc_end401-_ZN2at6native12_GLOBAL__N_125multi_tensor_apply_kernelINS1_18TensorListMetadataILi2EEENS1_11CopyFunctorIN3c1015Float8_e5m2fnuzEdLi2ELi1ELi1EEEJNS0_4CopyIS7_dEEEEEvT_T0_DpT1_
                                        ; -- End function
	.section	.AMDGPU.csdata,"",@progbits
; Kernel info:
; codeLenInByte = 3312
; NumSgprs: 25
; NumVgprs: 41
; ScratchSize: 0
; MemoryBound: 1
; FloatMode: 240
; IeeeMode: 1
; LDSByteSize: 0 bytes/workgroup (compile time only)
; SGPRBlocks: 3
; VGPRBlocks: 5
; NumSGPRsForWavesPerEU: 25
; NumVGPRsForWavesPerEU: 41
; Occupancy: 16
; WaveLimiterHint : 0
; COMPUTE_PGM_RSRC2:SCRATCH_EN: 0
; COMPUTE_PGM_RSRC2:USER_SGPR: 15
; COMPUTE_PGM_RSRC2:TRAP_HANDLER: 0
; COMPUTE_PGM_RSRC2:TGID_X_EN: 1
; COMPUTE_PGM_RSRC2:TGID_Y_EN: 0
; COMPUTE_PGM_RSRC2:TGID_Z_EN: 0
; COMPUTE_PGM_RSRC2:TIDIG_COMP_CNT: 0
	.section	.text._ZN2at6native12_GLOBAL__N_125multi_tensor_apply_kernelINS1_18TensorListMetadataILi2EEENS1_11CopyFunctorIN3c1015Float8_e5m2fnuzEfLi2ELi1ELi1EEEJNS0_4CopyIS7_fEEEEEvT_T0_DpT1_,"axG",@progbits,_ZN2at6native12_GLOBAL__N_125multi_tensor_apply_kernelINS1_18TensorListMetadataILi2EEENS1_11CopyFunctorIN3c1015Float8_e5m2fnuzEfLi2ELi1ELi1EEEJNS0_4CopyIS7_fEEEEEvT_T0_DpT1_,comdat
	.globl	_ZN2at6native12_GLOBAL__N_125multi_tensor_apply_kernelINS1_18TensorListMetadataILi2EEENS1_11CopyFunctorIN3c1015Float8_e5m2fnuzEfLi2ELi1ELi1EEEJNS0_4CopyIS7_fEEEEEvT_T0_DpT1_ ; -- Begin function _ZN2at6native12_GLOBAL__N_125multi_tensor_apply_kernelINS1_18TensorListMetadataILi2EEENS1_11CopyFunctorIN3c1015Float8_e5m2fnuzEfLi2ELi1ELi1EEEJNS0_4CopyIS7_fEEEEEvT_T0_DpT1_
	.p2align	8
	.type	_ZN2at6native12_GLOBAL__N_125multi_tensor_apply_kernelINS1_18TensorListMetadataILi2EEENS1_11CopyFunctorIN3c1015Float8_e5m2fnuzEfLi2ELi1ELi1EEEJNS0_4CopyIS7_fEEEEEvT_T0_DpT1_,@function
_ZN2at6native12_GLOBAL__N_125multi_tensor_apply_kernelINS1_18TensorListMetadataILi2EEENS1_11CopyFunctorIN3c1015Float8_e5m2fnuzEfLi2ELi1ELi1EEEJNS0_4CopyIS7_fEEEEEvT_T0_DpT1_: ; @_ZN2at6native12_GLOBAL__N_125multi_tensor_apply_kernelINS1_18TensorListMetadataILi2EEENS1_11CopyFunctorIN3c1015Float8_e5m2fnuzEfLi2ELi1ELi1EEEJNS0_4CopyIS7_fEEEEEvT_T0_DpT1_
; %bb.0:
	v_mov_b32_e32 v1, s15
	s_add_u32 s2, s0, s15
	s_mul_i32 s4, s15, 3
	s_addc_u32 s3, s1, 0
	s_mul_hi_u32 s5, s15, 3
	global_load_u8 v1, v1, s[0:1] offset:1536
	s_add_u32 s2, s2, s4
	s_addc_u32 s3, s3, s5
	s_mov_b32 s17, 0
	s_load_b32 s10, s[2:3], 0x740
	s_waitcnt lgkmcnt(0)
	s_ashr_i32 s11, s10, 31
	s_delay_alu instid0(SALU_CYCLE_1) | instskip(SKIP_2) | instid1(VALU_DEP_1)
	s_lshl_b64 s[8:9], s[10:11], 16
	s_waitcnt vmcnt(0)
	v_readfirstlane_b32 s4, v1
	s_lshl_b32 s4, s4, 3
	s_clause 0x2
	s_load_b64 s[6:7], s[0:1], s4 offset:0x200
	s_load_b64 s[2:3], s[0:1], s4 offset:0x400
	;; [unrolled: 1-line block ×3, first 2 shown]
	s_waitcnt lgkmcnt(0)
	s_add_u32 s14, s6, s8
	s_addc_u32 s15, s7, s9
	s_delay_alu instid0(SALU_CYCLE_1) | instskip(SKIP_2) | instid1(SALU_CYCLE_1)
	s_or_b64 s[4:5], s[2:3], s[14:15]
	s_and_b32 s5, s12, 15
	s_and_b32 s4, s4, 3
	s_or_b32 s16, s4, s5
	s_sub_u32 s4, s2, s8
	s_subb_u32 s5, s3, s9
	s_cmp_eq_u64 s[16:17], 0
	s_mov_b32 s2, -1
	s_cbranch_scc0 .LBB402_37
; %bb.1:
	v_dual_mov_b32 v6, 0 :: v_dual_lshlrev_b32 v5, 2, v0
	s_mov_b32 s3, exec_lo
	s_delay_alu instid0(VALU_DEP_1)
	v_cmpx_gt_i64_e64 s[4:5], v[5:6]
	s_cbranch_execz .LBB402_36
; %bb.2:
	s_load_b32 s2, s[0:1], 0xc5c
	v_lshlrev_b32_e32 v1, 4, v0
	s_lshl_b64 s[18:19], s[10:11], 18
	s_waitcnt lgkmcnt(0)
	s_and_b32 s2, s2, 0xffff
	s_delay_alu instid0(SALU_CYCLE_1) | instskip(SKIP_3) | instid1(VALU_DEP_1)
	s_lshl_b32 s16, s2, 2
	s_add_u32 s17, s12, s18
	s_addc_u32 s18, s13, s19
	v_add_co_u32 v7, s17, s17, v1
	v_add_co_ci_u32_e64 v8, null, s18, 0, s17
	s_mov_b32 s17, 0
	s_lshl_b32 s18, s2, 4
	s_branch .LBB402_5
.LBB402_3:                              ;   in Loop: Header=BB402_5 Depth=1
	s_or_b32 exec_lo, exec_lo, s20
.LBB402_4:                              ;   in Loop: Header=BB402_5 Depth=1
	s_delay_alu instid0(SALU_CYCLE_1)
	s_or_b32 exec_lo, exec_lo, s2
	v_add_co_u32 v3, vcc_lo, s14, v5
	v_add_co_ci_u32_e32 v4, vcc_lo, s15, v6, vcc_lo
	v_add_co_u32 v5, vcc_lo, s16, v5
	v_add_co_ci_u32_e32 v6, vcc_lo, 0, v6, vcc_lo
	v_lshlrev_b32_e32 v2, 16, v2
	v_lshlrev_b32_e32 v10, 8, v10
	v_and_b32_e32 v9, 0xff, v9
	s_delay_alu instid0(VALU_DEP_4) | instskip(SKIP_3) | instid1(VALU_DEP_3)
	v_cmp_le_i64_e32 vcc_lo, s[4:5], v[5:6]
	v_cmp_lt_u64_e64 s2, 0xffff, v[5:6]
	v_perm_b32 v1, v1, v2, 0x4020c0c
	v_and_b32_e32 v2, 0xff00, v10
	s_or_b32 s2, vcc_lo, s2
	v_add_co_u32 v7, vcc_lo, v7, s18
	s_delay_alu instid0(VALU_DEP_2) | instskip(SKIP_2) | instid1(SALU_CYCLE_1)
	v_or3_b32 v1, v1, v2, v9
	v_add_co_ci_u32_e32 v8, vcc_lo, 0, v8, vcc_lo
	s_and_b32 s2, exec_lo, s2
	s_or_b32 s17, s2, s17
	global_store_b32 v[3:4], v1, off
	s_and_not1_b32 exec_lo, exec_lo, s17
	s_cbranch_execz .LBB402_36
.LBB402_5:                              ; =>This Inner Loop Header: Depth=1
	global_load_b128 v[1:4], v[7:8], off
	v_dual_mov_b32 v10, 0x80 :: v_dual_mov_b32 v9, 0x80
	s_mov_b32 s2, exec_lo
	s_waitcnt vmcnt(0)
	v_and_b32_e32 v11, 0x7fffffff, v1
	s_delay_alu instid0(VALU_DEP_1)
	v_cmpx_gt_u32_e32 0x47800000, v11
	s_cbranch_execz .LBB402_11
; %bb.6:                                ;   in Loop: Header=BB402_5 Depth=1
	v_cmp_lt_u32_e32 vcc_lo, 0x37ffffff, v11
	s_mov_b32 s19, 0
                                        ; implicit-def: $vgpr11
	s_and_saveexec_b32 s20, vcc_lo
	s_delay_alu instid0(SALU_CYCLE_1)
	s_xor_b32 s20, exec_lo, s20
	s_cbranch_execnz .LBB402_27
; %bb.7:                                ;   in Loop: Header=BB402_5 Depth=1
	s_or_saveexec_b32 s20, s20
                                        ; implicit-def: $sgpr21
	s_delay_alu instid0(SALU_CYCLE_1)
	s_xor_b32 exec_lo, exec_lo, s20
	s_cbranch_execnz .LBB402_28
.LBB402_8:                              ;   in Loop: Header=BB402_5 Depth=1
	s_or_b32 exec_lo, exec_lo, s20
	v_mov_b32_e32 v9, s21
	s_and_saveexec_b32 s20, s19
.LBB402_9:                              ;   in Loop: Header=BB402_5 Depth=1
	v_lshrrev_b32_e32 v1, 24, v1
	s_delay_alu instid0(VALU_DEP_1)
	v_and_or_b32 v9, 0x80, v1, v11
.LBB402_10:                             ;   in Loop: Header=BB402_5 Depth=1
	s_or_b32 exec_lo, exec_lo, s20
.LBB402_11:                             ;   in Loop: Header=BB402_5 Depth=1
	s_delay_alu instid0(SALU_CYCLE_1) | instskip(SKIP_2) | instid1(VALU_DEP_1)
	s_or_b32 exec_lo, exec_lo, s2
	v_and_b32_e32 v1, 0x7fffffff, v2
	s_mov_b32 s2, exec_lo
	v_cmpx_gt_u32_e32 0x47800000, v1
	s_cbranch_execz .LBB402_17
; %bb.12:                               ;   in Loop: Header=BB402_5 Depth=1
	v_cmp_lt_u32_e32 vcc_lo, 0x37ffffff, v1
	s_mov_b32 s19, 0
                                        ; implicit-def: $vgpr1
	s_and_saveexec_b32 s20, vcc_lo
	s_delay_alu instid0(SALU_CYCLE_1)
	s_xor_b32 s20, exec_lo, s20
	s_cbranch_execnz .LBB402_29
; %bb.13:                               ;   in Loop: Header=BB402_5 Depth=1
	s_or_saveexec_b32 s20, s20
                                        ; implicit-def: $sgpr21
	s_delay_alu instid0(SALU_CYCLE_1)
	s_xor_b32 exec_lo, exec_lo, s20
	s_cbranch_execnz .LBB402_30
.LBB402_14:                             ;   in Loop: Header=BB402_5 Depth=1
	s_or_b32 exec_lo, exec_lo, s20
	v_mov_b32_e32 v10, s21
	s_and_saveexec_b32 s20, s19
.LBB402_15:                             ;   in Loop: Header=BB402_5 Depth=1
	v_lshrrev_b32_e32 v2, 24, v2
	s_delay_alu instid0(VALU_DEP_1)
	v_and_or_b32 v10, 0x80, v2, v1
.LBB402_16:                             ;   in Loop: Header=BB402_5 Depth=1
	s_or_b32 exec_lo, exec_lo, s20
.LBB402_17:                             ;   in Loop: Header=BB402_5 Depth=1
	s_delay_alu instid0(SALU_CYCLE_1) | instskip(SKIP_3) | instid1(VALU_DEP_2)
	s_or_b32 exec_lo, exec_lo, s2
	v_and_b32_e32 v11, 0x7fffffff, v3
	v_dual_mov_b32 v1, 0x80 :: v_dual_mov_b32 v2, 0x80
	s_mov_b32 s2, exec_lo
	v_cmpx_gt_u32_e32 0x47800000, v11
	s_cbranch_execz .LBB402_23
; %bb.18:                               ;   in Loop: Header=BB402_5 Depth=1
	v_cmp_lt_u32_e32 vcc_lo, 0x37ffffff, v11
	s_mov_b32 s19, 0
                                        ; implicit-def: $vgpr11
	s_and_saveexec_b32 s20, vcc_lo
	s_delay_alu instid0(SALU_CYCLE_1)
	s_xor_b32 s20, exec_lo, s20
	s_cbranch_execnz .LBB402_31
; %bb.19:                               ;   in Loop: Header=BB402_5 Depth=1
	s_or_saveexec_b32 s20, s20
                                        ; implicit-def: $sgpr21
	s_delay_alu instid0(SALU_CYCLE_1)
	s_xor_b32 exec_lo, exec_lo, s20
	s_cbranch_execnz .LBB402_32
.LBB402_20:                             ;   in Loop: Header=BB402_5 Depth=1
	s_or_b32 exec_lo, exec_lo, s20
	v_mov_b32_e32 v2, s21
	s_and_saveexec_b32 s20, s19
.LBB402_21:                             ;   in Loop: Header=BB402_5 Depth=1
	v_lshrrev_b32_e32 v2, 24, v3
	s_delay_alu instid0(VALU_DEP_1)
	v_and_or_b32 v2, 0x80, v2, v11
.LBB402_22:                             ;   in Loop: Header=BB402_5 Depth=1
	s_or_b32 exec_lo, exec_lo, s20
.LBB402_23:                             ;   in Loop: Header=BB402_5 Depth=1
	s_delay_alu instid0(SALU_CYCLE_1) | instskip(SKIP_2) | instid1(VALU_DEP_1)
	s_or_b32 exec_lo, exec_lo, s2
	v_and_b32_e32 v3, 0x7fffffff, v4
	s_mov_b32 s2, exec_lo
	v_cmpx_gt_u32_e32 0x47800000, v3
	s_cbranch_execz .LBB402_4
; %bb.24:                               ;   in Loop: Header=BB402_5 Depth=1
	v_cmp_lt_u32_e32 vcc_lo, 0x37ffffff, v3
	s_mov_b32 s19, 0
                                        ; implicit-def: $vgpr3
	s_and_saveexec_b32 s20, vcc_lo
	s_delay_alu instid0(SALU_CYCLE_1)
	s_xor_b32 s20, exec_lo, s20
	s_cbranch_execnz .LBB402_33
; %bb.25:                               ;   in Loop: Header=BB402_5 Depth=1
	s_or_saveexec_b32 s20, s20
                                        ; implicit-def: $sgpr21
	s_delay_alu instid0(SALU_CYCLE_1)
	s_xor_b32 exec_lo, exec_lo, s20
	s_cbranch_execnz .LBB402_34
.LBB402_26:                             ;   in Loop: Header=BB402_5 Depth=1
	s_or_b32 exec_lo, exec_lo, s20
	v_mov_b32_e32 v1, s21
	s_and_saveexec_b32 s20, s19
	s_cbranch_execz .LBB402_3
	s_branch .LBB402_35
.LBB402_27:                             ;   in Loop: Header=BB402_5 Depth=1
	v_bfe_u32 v9, v1, 21, 1
	s_mov_b32 s19, exec_lo
	s_delay_alu instid0(VALU_DEP_1) | instskip(NEXT) | instid1(VALU_DEP_1)
	v_add3_u32 v9, v1, v9, 0x88fffff
	v_lshrrev_b32_e32 v11, 21, v9
	s_or_saveexec_b32 s20, s20
                                        ; implicit-def: $sgpr21
	s_delay_alu instid0(SALU_CYCLE_1)
	s_xor_b32 exec_lo, exec_lo, s20
	s_cbranch_execz .LBB402_8
.LBB402_28:                             ;   in Loop: Header=BB402_5 Depth=1
	v_add_f32_e64 v9, 0x42800000, |v1|
	s_and_not1_b32 s19, s19, exec_lo
	s_mov_b32 s21, 0
	s_delay_alu instid0(VALU_DEP_1) | instskip(NEXT) | instid1(VALU_DEP_1)
	v_and_b32_e32 v11, 0xff, v9
	v_cmp_ne_u32_e32 vcc_lo, 0, v11
	s_and_b32 s22, vcc_lo, exec_lo
	s_delay_alu instid0(SALU_CYCLE_1)
	s_or_b32 s19, s19, s22
	s_or_b32 exec_lo, exec_lo, s20
	v_mov_b32_e32 v9, s21
	s_and_saveexec_b32 s20, s19
	s_cbranch_execnz .LBB402_9
	s_branch .LBB402_10
.LBB402_29:                             ;   in Loop: Header=BB402_5 Depth=1
	v_bfe_u32 v1, v2, 21, 1
	s_mov_b32 s19, exec_lo
	s_delay_alu instid0(VALU_DEP_1) | instskip(NEXT) | instid1(VALU_DEP_1)
	v_add3_u32 v1, v2, v1, 0x88fffff
	v_lshrrev_b32_e32 v1, 21, v1
	s_or_saveexec_b32 s20, s20
                                        ; implicit-def: $sgpr21
	s_delay_alu instid0(SALU_CYCLE_1)
	s_xor_b32 exec_lo, exec_lo, s20
	s_cbranch_execz .LBB402_14
.LBB402_30:                             ;   in Loop: Header=BB402_5 Depth=1
	v_add_f32_e64 v1, 0x42800000, |v2|
	s_and_not1_b32 s19, s19, exec_lo
	s_mov_b32 s21, 0
	s_delay_alu instid0(VALU_DEP_1) | instskip(NEXT) | instid1(VALU_DEP_1)
	v_and_b32_e32 v1, 0xff, v1
	v_cmp_ne_u32_e32 vcc_lo, 0, v1
	s_and_b32 s22, vcc_lo, exec_lo
	s_delay_alu instid0(SALU_CYCLE_1)
	s_or_b32 s19, s19, s22
	s_or_b32 exec_lo, exec_lo, s20
	v_mov_b32_e32 v10, s21
	s_and_saveexec_b32 s20, s19
	s_cbranch_execnz .LBB402_15
	s_branch .LBB402_16
.LBB402_31:                             ;   in Loop: Header=BB402_5 Depth=1
	v_bfe_u32 v2, v3, 21, 1
	s_mov_b32 s19, exec_lo
	s_delay_alu instid0(VALU_DEP_1) | instskip(NEXT) | instid1(VALU_DEP_1)
	v_add3_u32 v2, v3, v2, 0x88fffff
	v_lshrrev_b32_e32 v11, 21, v2
	s_or_saveexec_b32 s20, s20
                                        ; implicit-def: $sgpr21
	s_delay_alu instid0(SALU_CYCLE_1)
	s_xor_b32 exec_lo, exec_lo, s20
	s_cbranch_execz .LBB402_20
.LBB402_32:                             ;   in Loop: Header=BB402_5 Depth=1
	v_add_f32_e64 v2, 0x42800000, |v3|
	s_and_not1_b32 s19, s19, exec_lo
	s_mov_b32 s21, 0
	s_delay_alu instid0(VALU_DEP_1) | instskip(NEXT) | instid1(VALU_DEP_1)
	v_and_b32_e32 v11, 0xff, v2
	v_cmp_ne_u32_e32 vcc_lo, 0, v11
	s_and_b32 s22, vcc_lo, exec_lo
	s_delay_alu instid0(SALU_CYCLE_1)
	s_or_b32 s19, s19, s22
	s_or_b32 exec_lo, exec_lo, s20
	v_mov_b32_e32 v2, s21
	s_and_saveexec_b32 s20, s19
	s_cbranch_execnz .LBB402_21
	s_branch .LBB402_22
.LBB402_33:                             ;   in Loop: Header=BB402_5 Depth=1
	v_bfe_u32 v1, v4, 21, 1
	s_mov_b32 s19, exec_lo
	s_delay_alu instid0(VALU_DEP_1) | instskip(NEXT) | instid1(VALU_DEP_1)
	v_add3_u32 v1, v4, v1, 0x88fffff
	v_lshrrev_b32_e32 v3, 21, v1
	s_or_saveexec_b32 s20, s20
                                        ; implicit-def: $sgpr21
	s_delay_alu instid0(SALU_CYCLE_1)
	s_xor_b32 exec_lo, exec_lo, s20
	s_cbranch_execz .LBB402_26
.LBB402_34:                             ;   in Loop: Header=BB402_5 Depth=1
	v_add_f32_e64 v1, 0x42800000, |v4|
	s_and_not1_b32 s19, s19, exec_lo
	s_mov_b32 s21, 0
	s_delay_alu instid0(VALU_DEP_1) | instskip(NEXT) | instid1(VALU_DEP_1)
	v_and_b32_e32 v3, 0xff, v1
	v_cmp_ne_u32_e32 vcc_lo, 0, v3
	s_and_b32 s22, vcc_lo, exec_lo
	s_delay_alu instid0(SALU_CYCLE_1)
	s_or_b32 s19, s19, s22
	s_or_b32 exec_lo, exec_lo, s20
	v_mov_b32_e32 v1, s21
	s_and_saveexec_b32 s20, s19
	s_cbranch_execz .LBB402_3
.LBB402_35:                             ;   in Loop: Header=BB402_5 Depth=1
	v_lshrrev_b32_e32 v1, 24, v4
	s_delay_alu instid0(VALU_DEP_1)
	v_and_or_b32 v1, 0x80, v1, v3
	s_branch .LBB402_3
.LBB402_36:
	s_or_b32 exec_lo, exec_lo, s3
	s_mov_b32 s2, 0
.LBB402_37:
	s_delay_alu instid0(SALU_CYCLE_1)
	s_and_not1_b32 vcc_lo, exec_lo, s2
	s_cbranch_vccnz .LBB402_89
; %bb.38:
	v_cmp_lt_i64_e64 s2, s[4:5], 1
	s_delay_alu instid0(VALU_DEP_1)
	s_and_b32 vcc_lo, exec_lo, s2
	s_cbranch_vccnz .LBB402_89
; %bb.39:
	s_load_b32 s0, s[0:1], 0xc5c
	v_cmp_gt_u64_e64 s1, 0x10000, s[4:5]
	v_add_co_u32 v5, s2, s8, v0
	v_lshlrev_b32_e32 v1, 2, v0
	v_add_co_ci_u32_e64 v6, null, s9, 0, s2
	s_delay_alu instid0(VALU_DEP_3) | instskip(NEXT) | instid1(VALU_DEP_2)
	v_add_co_u32 v13, vcc_lo, s6, v5
                                        ; implicit-def: $vgpr29
                                        ; implicit-def: $vgpr30
                                        ; implicit-def: $vgpr27
                                        ; implicit-def: $vgpr28
	v_add_co_ci_u32_e32 v14, vcc_lo, s7, v6, vcc_lo
	s_waitcnt lgkmcnt(0)
	s_and_b32 s0, s0, 0xffff
	s_and_b32 s1, s1, exec_lo
	s_cselect_b32 s3, s5, 0
	s_cselect_b32 s2, s4, 0x10000
	s_lshl_b64 s[10:11], s[10:11], 18
	s_lshl_b32 s14, s0, 1
	s_lshl_b32 s1, s0, 2
	s_add_u32 s12, s12, s10
	s_mul_i32 s15, s0, 3
	s_addc_u32 s13, s13, s11
	s_lshl_b32 s10, s0, 4
	v_add_co_u32 v1, s16, s12, v1
	s_add_u32 s11, s8, s15
	v_add_co_ci_u32_e64 v2, null, s13, 0, s16
	s_addc_u32 s16, s9, 0
	s_add_u32 s11, s6, s11
	s_addc_u32 s16, s7, s16
	v_add_co_u32 v15, s11, s11, v0
	s_delay_alu instid0(VALU_DEP_1)
	v_add_co_ci_u32_e64 v16, null, s16, 0, s11
	v_add_co_u32 v17, s11, s15, v0
	v_add_co_u32 v19, s15, v0, s0
	v_add_co_ci_u32_e64 v18, null, 0, 0, s11
	s_lshl_b32 s11, s0, 3
	s_add_u32 s8, s8, s14
	s_addc_u32 s9, s9, 0
	s_add_u32 s8, s6, s8
	v_lshlrev_b32_e32 v3, 2, v19
	s_addc_u32 s9, s7, s9
	v_add_co_u32 v20, s8, s8, v0
	s_delay_alu instid0(VALU_DEP_1)
	v_add_co_ci_u32_e64 v21, null, s9, 0, s8
	v_add_co_u32 v23, s8, s14, v0
	s_add_u32 s6, s6, s0
	v_add_co_ci_u32_e64 v24, null, 0, 0, s8
	v_add_co_u32 v3, s8, s12, v3
	s_addc_u32 s7, s7, 0
	v_add_co_u32 v25, vcc_lo, s6, v5
	v_add_co_ci_u32_e64 v22, null, 0, 0, s15
	v_add_co_ci_u32_e64 v4, null, s13, 0, s8
	v_add_co_ci_u32_e32 v26, vcc_lo, s7, v6, vcc_lo
	s_mul_i32 s8, s0, 12
	s_mov_b64 s[6:7], 0
	s_branch .LBB402_41
.LBB402_40:                             ;   in Loop: Header=BB402_41 Depth=1
	s_or_b32 exec_lo, exec_lo, s0
	s_add_u32 s6, s6, s1
	s_addc_u32 s7, s7, 0
	v_add_co_u32 v1, vcc_lo, v1, s10
	v_cmp_ge_i64_e64 s0, s[6:7], s[4:5]
	v_cmp_lt_u64_e64 s9, 0xffff, s[6:7]
	v_add_co_ci_u32_e32 v2, vcc_lo, 0, v2, vcc_lo
	v_add_co_u32 v3, vcc_lo, v3, s10
	v_add_co_ci_u32_e32 v4, vcc_lo, 0, v4, vcc_lo
	s_delay_alu instid0(VALU_DEP_4) | instskip(NEXT) | instid1(SALU_CYCLE_1)
	s_or_b32 s0, s0, s9
	s_and_b32 vcc_lo, exec_lo, s0
	s_cbranch_vccnz .LBB402_89
.LBB402_41:                             ; =>This Inner Loop Header: Depth=1
	v_add_co_u32 v5, s0, v0, s6
	s_delay_alu instid0(VALU_DEP_1) | instskip(NEXT) | instid1(VALU_DEP_1)
	v_add_co_ci_u32_e64 v6, null, 0, s7, s0
	v_cmp_gt_i64_e32 vcc_lo, s[4:5], v[5:6]
	v_cmp_gt_u64_e64 s0, 0x10000, v[5:6]
	s_delay_alu instid0(VALU_DEP_1) | instskip(NEXT) | instid1(SALU_CYCLE_1)
	s_and_b32 s9, vcc_lo, s0
	s_and_saveexec_b32 s0, s9
	s_cbranch_execz .LBB402_43
; %bb.42:                               ;   in Loop: Header=BB402_41 Depth=1
	global_load_b32 v28, v[1:2], off
.LBB402_43:                             ;   in Loop: Header=BB402_41 Depth=1
	s_or_b32 exec_lo, exec_lo, s0
	v_add_co_u32 v7, vcc_lo, v19, s6
	v_add_co_ci_u32_e32 v8, vcc_lo, s7, v22, vcc_lo
	s_delay_alu instid0(VALU_DEP_1) | instskip(SKIP_1) | instid1(VALU_DEP_1)
	v_cmp_gt_i64_e32 vcc_lo, s[4:5], v[7:8]
	v_cmp_gt_u64_e64 s0, 0x10000, v[7:8]
	s_and_b32 s9, vcc_lo, s0
	s_delay_alu instid0(SALU_CYCLE_1)
	s_and_saveexec_b32 s0, s9
	s_cbranch_execz .LBB402_45
; %bb.44:                               ;   in Loop: Header=BB402_41 Depth=1
	global_load_b32 v27, v[3:4], off
.LBB402_45:                             ;   in Loop: Header=BB402_41 Depth=1
	s_or_b32 exec_lo, exec_lo, s0
	v_add_co_u32 v9, vcc_lo, v23, s6
	v_add_co_ci_u32_e32 v10, vcc_lo, s7, v24, vcc_lo
	s_delay_alu instid0(VALU_DEP_1) | instskip(SKIP_1) | instid1(VALU_DEP_1)
	v_cmp_gt_i64_e32 vcc_lo, s[4:5], v[9:10]
	v_cmp_gt_u64_e64 s0, 0x10000, v[9:10]
	s_and_b32 s9, vcc_lo, s0
	s_delay_alu instid0(SALU_CYCLE_1)
	s_and_saveexec_b32 s0, s9
	s_cbranch_execz .LBB402_47
; %bb.46:                               ;   in Loop: Header=BB402_41 Depth=1
	v_add_co_u32 v11, vcc_lo, v1, s11
	v_add_co_ci_u32_e32 v12, vcc_lo, 0, v2, vcc_lo
	global_load_b32 v30, v[11:12], off
.LBB402_47:                             ;   in Loop: Header=BB402_41 Depth=1
	s_or_b32 exec_lo, exec_lo, s0
	v_add_co_u32 v11, vcc_lo, v17, s6
	v_add_co_ci_u32_e32 v12, vcc_lo, s7, v18, vcc_lo
	s_delay_alu instid0(VALU_DEP_1) | instskip(SKIP_1) | instid1(VALU_DEP_1)
	v_cmp_gt_i64_e32 vcc_lo, s[4:5], v[11:12]
	v_cmp_gt_u64_e64 s0, 0x10000, v[11:12]
	s_and_b32 s9, vcc_lo, s0
	s_delay_alu instid0(SALU_CYCLE_1)
	s_and_saveexec_b32 s0, s9
	s_cbranch_execz .LBB402_49
; %bb.48:                               ;   in Loop: Header=BB402_41 Depth=1
	v_add_co_u32 v31, vcc_lo, v1, s8
	v_add_co_ci_u32_e32 v32, vcc_lo, 0, v2, vcc_lo
	global_load_b32 v29, v[31:32], off
.LBB402_49:                             ;   in Loop: Header=BB402_41 Depth=1
	s_or_b32 exec_lo, exec_lo, s0
	s_waitcnt vmcnt(0)
	v_and_b32_e32 v33, 0x7fffffff, v28
	v_dual_mov_b32 v31, 0x80 :: v_dual_mov_b32 v32, 0x80
	s_mov_b32 s0, exec_lo
	s_delay_alu instid0(VALU_DEP_2)
	v_cmpx_gt_u32_e32 0x47800000, v33
	s_cbranch_execz .LBB402_55
; %bb.50:                               ;   in Loop: Header=BB402_41 Depth=1
	v_cmp_lt_u32_e32 vcc_lo, 0x37ffffff, v33
	s_mov_b32 s9, 0
                                        ; implicit-def: $vgpr33
	s_and_saveexec_b32 s12, vcc_lo
	s_delay_alu instid0(SALU_CYCLE_1)
	s_xor_b32 s12, exec_lo, s12
	s_cbranch_execnz .LBB402_81
; %bb.51:                               ;   in Loop: Header=BB402_41 Depth=1
	s_or_saveexec_b32 s12, s12
                                        ; implicit-def: $sgpr13
	s_delay_alu instid0(SALU_CYCLE_1)
	s_xor_b32 exec_lo, exec_lo, s12
	s_cbranch_execnz .LBB402_82
.LBB402_52:                             ;   in Loop: Header=BB402_41 Depth=1
	s_or_b32 exec_lo, exec_lo, s12
	v_mov_b32_e32 v32, s13
	s_and_saveexec_b32 s12, s9
.LBB402_53:                             ;   in Loop: Header=BB402_41 Depth=1
	v_lshrrev_b32_e32 v32, 24, v28
	s_delay_alu instid0(VALU_DEP_1)
	v_and_or_b32 v32, 0x80, v32, v33
.LBB402_54:                             ;   in Loop: Header=BB402_41 Depth=1
	s_or_b32 exec_lo, exec_lo, s12
.LBB402_55:                             ;   in Loop: Header=BB402_41 Depth=1
	s_delay_alu instid0(SALU_CYCLE_1) | instskip(SKIP_2) | instid1(VALU_DEP_1)
	s_or_b32 exec_lo, exec_lo, s0
	v_and_b32_e32 v33, 0x7fffffff, v27
	s_mov_b32 s0, exec_lo
	v_cmpx_gt_u32_e32 0x47800000, v33
	s_cbranch_execz .LBB402_61
; %bb.56:                               ;   in Loop: Header=BB402_41 Depth=1
	v_cmp_lt_u32_e32 vcc_lo, 0x37ffffff, v33
	s_mov_b32 s9, 0
                                        ; implicit-def: $vgpr33
	s_and_saveexec_b32 s12, vcc_lo
	s_delay_alu instid0(SALU_CYCLE_1)
	s_xor_b32 s12, exec_lo, s12
	s_cbranch_execnz .LBB402_83
; %bb.57:                               ;   in Loop: Header=BB402_41 Depth=1
	s_or_saveexec_b32 s12, s12
                                        ; implicit-def: $sgpr13
	s_delay_alu instid0(SALU_CYCLE_1)
	s_xor_b32 exec_lo, exec_lo, s12
	s_cbranch_execnz .LBB402_84
.LBB402_58:                             ;   in Loop: Header=BB402_41 Depth=1
	s_or_b32 exec_lo, exec_lo, s12
	v_mov_b32_e32 v31, s13
	s_and_saveexec_b32 s12, s9
.LBB402_59:                             ;   in Loop: Header=BB402_41 Depth=1
	v_lshrrev_b32_e32 v31, 24, v27
	s_delay_alu instid0(VALU_DEP_1)
	v_and_or_b32 v31, 0x80, v31, v33
.LBB402_60:                             ;   in Loop: Header=BB402_41 Depth=1
	s_or_b32 exec_lo, exec_lo, s12
.LBB402_61:                             ;   in Loop: Header=BB402_41 Depth=1
	s_delay_alu instid0(SALU_CYCLE_1) | instskip(SKIP_3) | instid1(VALU_DEP_2)
	s_or_b32 exec_lo, exec_lo, s0
	v_and_b32_e32 v35, 0x7fffffff, v30
	v_dual_mov_b32 v33, 0x80 :: v_dual_mov_b32 v34, 0x80
	s_mov_b32 s0, exec_lo
	v_cmpx_gt_u32_e32 0x47800000, v35
	s_cbranch_execz .LBB402_67
; %bb.62:                               ;   in Loop: Header=BB402_41 Depth=1
	v_cmp_lt_u32_e32 vcc_lo, 0x37ffffff, v35
	s_mov_b32 s9, 0
                                        ; implicit-def: $vgpr35
	s_and_saveexec_b32 s12, vcc_lo
	s_delay_alu instid0(SALU_CYCLE_1)
	s_xor_b32 s12, exec_lo, s12
	s_cbranch_execnz .LBB402_85
; %bb.63:                               ;   in Loop: Header=BB402_41 Depth=1
	s_or_saveexec_b32 s12, s12
                                        ; implicit-def: $sgpr13
	s_delay_alu instid0(SALU_CYCLE_1)
	s_xor_b32 exec_lo, exec_lo, s12
	s_cbranch_execnz .LBB402_86
.LBB402_64:                             ;   in Loop: Header=BB402_41 Depth=1
	s_or_b32 exec_lo, exec_lo, s12
	v_mov_b32_e32 v34, s13
	s_and_saveexec_b32 s12, s9
.LBB402_65:                             ;   in Loop: Header=BB402_41 Depth=1
	v_lshrrev_b32_e32 v34, 24, v30
	s_delay_alu instid0(VALU_DEP_1)
	v_and_or_b32 v34, 0x80, v34, v35
.LBB402_66:                             ;   in Loop: Header=BB402_41 Depth=1
	s_or_b32 exec_lo, exec_lo, s12
.LBB402_67:                             ;   in Loop: Header=BB402_41 Depth=1
	s_delay_alu instid0(SALU_CYCLE_1) | instskip(SKIP_2) | instid1(VALU_DEP_1)
	s_or_b32 exec_lo, exec_lo, s0
	v_and_b32_e32 v35, 0x7fffffff, v29
	s_mov_b32 s0, exec_lo
	v_cmpx_gt_u32_e32 0x47800000, v35
	s_cbranch_execz .LBB402_73
; %bb.68:                               ;   in Loop: Header=BB402_41 Depth=1
	v_cmp_lt_u32_e32 vcc_lo, 0x37ffffff, v35
	s_mov_b32 s9, 0
                                        ; implicit-def: $vgpr35
	s_and_saveexec_b32 s12, vcc_lo
	s_delay_alu instid0(SALU_CYCLE_1)
	s_xor_b32 s12, exec_lo, s12
	s_cbranch_execnz .LBB402_87
; %bb.69:                               ;   in Loop: Header=BB402_41 Depth=1
	s_or_saveexec_b32 s12, s12
                                        ; implicit-def: $sgpr13
	s_delay_alu instid0(SALU_CYCLE_1)
	s_xor_b32 exec_lo, exec_lo, s12
	s_cbranch_execnz .LBB402_88
.LBB402_70:                             ;   in Loop: Header=BB402_41 Depth=1
	s_or_b32 exec_lo, exec_lo, s12
	v_mov_b32_e32 v33, s13
	s_and_saveexec_b32 s12, s9
.LBB402_71:                             ;   in Loop: Header=BB402_41 Depth=1
	v_lshrrev_b32_e32 v33, 24, v29
	s_delay_alu instid0(VALU_DEP_1)
	v_and_or_b32 v33, 0x80, v33, v35
.LBB402_72:                             ;   in Loop: Header=BB402_41 Depth=1
	s_or_b32 exec_lo, exec_lo, s12
.LBB402_73:                             ;   in Loop: Header=BB402_41 Depth=1
	s_delay_alu instid0(SALU_CYCLE_1) | instskip(NEXT) | instid1(SALU_CYCLE_1)
	s_or_b32 exec_lo, exec_lo, s0
	s_mov_b32 s0, exec_lo
	v_cmpx_gt_u64_e64 s[2:3], v[5:6]
	s_xor_b32 s0, exec_lo, s0
	s_cbranch_execnz .LBB402_77
; %bb.74:                               ;   in Loop: Header=BB402_41 Depth=1
	s_or_b32 exec_lo, exec_lo, s0
	s_delay_alu instid0(SALU_CYCLE_1)
	s_mov_b32 s0, exec_lo
	v_cmpx_gt_u64_e64 s[2:3], v[7:8]
	s_cbranch_execnz .LBB402_78
.LBB402_75:                             ;   in Loop: Header=BB402_41 Depth=1
	s_or_b32 exec_lo, exec_lo, s0
	s_delay_alu instid0(SALU_CYCLE_1)
	s_mov_b32 s0, exec_lo
	v_cmpx_gt_u64_e64 s[2:3], v[9:10]
	s_cbranch_execnz .LBB402_79
.LBB402_76:                             ;   in Loop: Header=BB402_41 Depth=1
	s_or_b32 exec_lo, exec_lo, s0
	s_delay_alu instid0(SALU_CYCLE_1)
	s_mov_b32 s0, exec_lo
	v_cmpx_gt_u64_e64 s[2:3], v[11:12]
	s_cbranch_execz .LBB402_40
	s_branch .LBB402_80
.LBB402_77:                             ;   in Loop: Header=BB402_41 Depth=1
	v_add_co_u32 v5, vcc_lo, v13, s6
	v_add_co_ci_u32_e32 v6, vcc_lo, s7, v14, vcc_lo
	global_store_b8 v[5:6], v32, off
	s_or_b32 exec_lo, exec_lo, s0
	s_delay_alu instid0(SALU_CYCLE_1)
	s_mov_b32 s0, exec_lo
	v_cmpx_gt_u64_e64 s[2:3], v[7:8]
	s_cbranch_execz .LBB402_75
.LBB402_78:                             ;   in Loop: Header=BB402_41 Depth=1
	v_add_co_u32 v5, vcc_lo, v25, s6
	v_add_co_ci_u32_e32 v6, vcc_lo, s7, v26, vcc_lo
	global_store_b8 v[5:6], v31, off
	s_or_b32 exec_lo, exec_lo, s0
	s_delay_alu instid0(SALU_CYCLE_1)
	s_mov_b32 s0, exec_lo
	v_cmpx_gt_u64_e64 s[2:3], v[9:10]
	s_cbranch_execz .LBB402_76
.LBB402_79:                             ;   in Loop: Header=BB402_41 Depth=1
	v_add_co_u32 v5, vcc_lo, v20, s6
	v_add_co_ci_u32_e32 v6, vcc_lo, s7, v21, vcc_lo
	global_store_b8 v[5:6], v34, off
	s_or_b32 exec_lo, exec_lo, s0
	s_delay_alu instid0(SALU_CYCLE_1)
	s_mov_b32 s0, exec_lo
	v_cmpx_gt_u64_e64 s[2:3], v[11:12]
	s_cbranch_execz .LBB402_40
.LBB402_80:                             ;   in Loop: Header=BB402_41 Depth=1
	v_add_co_u32 v5, vcc_lo, v15, s6
	v_add_co_ci_u32_e32 v6, vcc_lo, s7, v16, vcc_lo
	global_store_b8 v[5:6], v33, off
	s_branch .LBB402_40
.LBB402_81:                             ;   in Loop: Header=BB402_41 Depth=1
	v_bfe_u32 v32, v28, 21, 1
	s_mov_b32 s9, exec_lo
	s_delay_alu instid0(VALU_DEP_1) | instskip(NEXT) | instid1(VALU_DEP_1)
	v_add3_u32 v32, v28, v32, 0x88fffff
	v_lshrrev_b32_e32 v33, 21, v32
	s_or_saveexec_b32 s12, s12
                                        ; implicit-def: $sgpr13
	s_delay_alu instid0(SALU_CYCLE_1)
	s_xor_b32 exec_lo, exec_lo, s12
	s_cbranch_execz .LBB402_52
.LBB402_82:                             ;   in Loop: Header=BB402_41 Depth=1
	v_add_f32_e64 v32, 0x42800000, |v28|
	s_and_not1_b32 s9, s9, exec_lo
	s_mov_b32 s13, 0
	s_delay_alu instid0(VALU_DEP_1) | instskip(NEXT) | instid1(VALU_DEP_1)
	v_and_b32_e32 v33, 0xff, v32
	v_cmp_ne_u32_e32 vcc_lo, 0, v33
	s_and_b32 s14, vcc_lo, exec_lo
	s_delay_alu instid0(SALU_CYCLE_1)
	s_or_b32 s9, s9, s14
	s_or_b32 exec_lo, exec_lo, s12
	v_mov_b32_e32 v32, s13
	s_and_saveexec_b32 s12, s9
	s_cbranch_execnz .LBB402_53
	s_branch .LBB402_54
.LBB402_83:                             ;   in Loop: Header=BB402_41 Depth=1
	v_bfe_u32 v31, v27, 21, 1
	s_mov_b32 s9, exec_lo
	s_delay_alu instid0(VALU_DEP_1) | instskip(NEXT) | instid1(VALU_DEP_1)
	v_add3_u32 v31, v27, v31, 0x88fffff
	v_lshrrev_b32_e32 v33, 21, v31
	s_or_saveexec_b32 s12, s12
                                        ; implicit-def: $sgpr13
	s_delay_alu instid0(SALU_CYCLE_1)
	s_xor_b32 exec_lo, exec_lo, s12
	s_cbranch_execz .LBB402_58
.LBB402_84:                             ;   in Loop: Header=BB402_41 Depth=1
	v_add_f32_e64 v31, 0x42800000, |v27|
	s_and_not1_b32 s9, s9, exec_lo
	s_mov_b32 s13, 0
	s_delay_alu instid0(VALU_DEP_1) | instskip(NEXT) | instid1(VALU_DEP_1)
	v_and_b32_e32 v33, 0xff, v31
	v_cmp_ne_u32_e32 vcc_lo, 0, v33
	s_and_b32 s14, vcc_lo, exec_lo
	s_delay_alu instid0(SALU_CYCLE_1)
	s_or_b32 s9, s9, s14
	s_or_b32 exec_lo, exec_lo, s12
	v_mov_b32_e32 v31, s13
	s_and_saveexec_b32 s12, s9
	s_cbranch_execnz .LBB402_59
	s_branch .LBB402_60
.LBB402_85:                             ;   in Loop: Header=BB402_41 Depth=1
	v_bfe_u32 v34, v30, 21, 1
	s_mov_b32 s9, exec_lo
	s_delay_alu instid0(VALU_DEP_1) | instskip(NEXT) | instid1(VALU_DEP_1)
	v_add3_u32 v34, v30, v34, 0x88fffff
	v_lshrrev_b32_e32 v35, 21, v34
	s_or_saveexec_b32 s12, s12
                                        ; implicit-def: $sgpr13
	s_delay_alu instid0(SALU_CYCLE_1)
	s_xor_b32 exec_lo, exec_lo, s12
	s_cbranch_execz .LBB402_64
.LBB402_86:                             ;   in Loop: Header=BB402_41 Depth=1
	v_add_f32_e64 v34, 0x42800000, |v30|
	s_and_not1_b32 s9, s9, exec_lo
	s_mov_b32 s13, 0
	s_delay_alu instid0(VALU_DEP_1) | instskip(NEXT) | instid1(VALU_DEP_1)
	v_and_b32_e32 v35, 0xff, v34
	v_cmp_ne_u32_e32 vcc_lo, 0, v35
	s_and_b32 s14, vcc_lo, exec_lo
	s_delay_alu instid0(SALU_CYCLE_1)
	s_or_b32 s9, s9, s14
	s_or_b32 exec_lo, exec_lo, s12
	v_mov_b32_e32 v34, s13
	s_and_saveexec_b32 s12, s9
	s_cbranch_execnz .LBB402_65
	s_branch .LBB402_66
.LBB402_87:                             ;   in Loop: Header=BB402_41 Depth=1
	v_bfe_u32 v33, v29, 21, 1
	s_mov_b32 s9, exec_lo
	s_delay_alu instid0(VALU_DEP_1) | instskip(NEXT) | instid1(VALU_DEP_1)
	v_add3_u32 v33, v29, v33, 0x88fffff
	v_lshrrev_b32_e32 v35, 21, v33
	s_or_saveexec_b32 s12, s12
                                        ; implicit-def: $sgpr13
	s_delay_alu instid0(SALU_CYCLE_1)
	s_xor_b32 exec_lo, exec_lo, s12
	s_cbranch_execz .LBB402_70
.LBB402_88:                             ;   in Loop: Header=BB402_41 Depth=1
	v_add_f32_e64 v33, 0x42800000, |v29|
	s_and_not1_b32 s9, s9, exec_lo
	s_mov_b32 s13, 0
	s_delay_alu instid0(VALU_DEP_1) | instskip(NEXT) | instid1(VALU_DEP_1)
	v_and_b32_e32 v35, 0xff, v33
	v_cmp_ne_u32_e32 vcc_lo, 0, v35
	s_and_b32 s14, vcc_lo, exec_lo
	s_delay_alu instid0(SALU_CYCLE_1)
	s_or_b32 s9, s9, s14
	s_or_b32 exec_lo, exec_lo, s12
	v_mov_b32_e32 v33, s13
	s_and_saveexec_b32 s12, s9
	s_cbranch_execnz .LBB402_71
	s_branch .LBB402_72
.LBB402_89:
	s_nop 0
	s_sendmsg sendmsg(MSG_DEALLOC_VGPRS)
	s_endpgm
	.section	.rodata,"a",@progbits
	.p2align	6, 0x0
	.amdhsa_kernel _ZN2at6native12_GLOBAL__N_125multi_tensor_apply_kernelINS1_18TensorListMetadataILi2EEENS1_11CopyFunctorIN3c1015Float8_e5m2fnuzEfLi2ELi1ELi1EEEJNS0_4CopyIS7_fEEEEEvT_T0_DpT1_
		.amdhsa_group_segment_fixed_size 0
		.amdhsa_private_segment_fixed_size 0
		.amdhsa_kernarg_size 3408
		.amdhsa_user_sgpr_count 15
		.amdhsa_user_sgpr_dispatch_ptr 0
		.amdhsa_user_sgpr_queue_ptr 0
		.amdhsa_user_sgpr_kernarg_segment_ptr 1
		.amdhsa_user_sgpr_dispatch_id 0
		.amdhsa_user_sgpr_private_segment_size 0
		.amdhsa_wavefront_size32 1
		.amdhsa_uses_dynamic_stack 0
		.amdhsa_enable_private_segment 0
		.amdhsa_system_sgpr_workgroup_id_x 1
		.amdhsa_system_sgpr_workgroup_id_y 0
		.amdhsa_system_sgpr_workgroup_id_z 0
		.amdhsa_system_sgpr_workgroup_info 0
		.amdhsa_system_vgpr_workitem_id 0
		.amdhsa_next_free_vgpr 36
		.amdhsa_next_free_sgpr 23
		.amdhsa_reserve_vcc 1
		.amdhsa_float_round_mode_32 0
		.amdhsa_float_round_mode_16_64 0
		.amdhsa_float_denorm_mode_32 3
		.amdhsa_float_denorm_mode_16_64 3
		.amdhsa_dx10_clamp 1
		.amdhsa_ieee_mode 1
		.amdhsa_fp16_overflow 0
		.amdhsa_workgroup_processor_mode 1
		.amdhsa_memory_ordered 1
		.amdhsa_forward_progress 0
		.amdhsa_shared_vgpr_count 0
		.amdhsa_exception_fp_ieee_invalid_op 0
		.amdhsa_exception_fp_denorm_src 0
		.amdhsa_exception_fp_ieee_div_zero 0
		.amdhsa_exception_fp_ieee_overflow 0
		.amdhsa_exception_fp_ieee_underflow 0
		.amdhsa_exception_fp_ieee_inexact 0
		.amdhsa_exception_int_div_zero 0
	.end_amdhsa_kernel
	.section	.text._ZN2at6native12_GLOBAL__N_125multi_tensor_apply_kernelINS1_18TensorListMetadataILi2EEENS1_11CopyFunctorIN3c1015Float8_e5m2fnuzEfLi2ELi1ELi1EEEJNS0_4CopyIS7_fEEEEEvT_T0_DpT1_,"axG",@progbits,_ZN2at6native12_GLOBAL__N_125multi_tensor_apply_kernelINS1_18TensorListMetadataILi2EEENS1_11CopyFunctorIN3c1015Float8_e5m2fnuzEfLi2ELi1ELi1EEEJNS0_4CopyIS7_fEEEEEvT_T0_DpT1_,comdat
.Lfunc_end402:
	.size	_ZN2at6native12_GLOBAL__N_125multi_tensor_apply_kernelINS1_18TensorListMetadataILi2EEENS1_11CopyFunctorIN3c1015Float8_e5m2fnuzEfLi2ELi1ELi1EEEJNS0_4CopyIS7_fEEEEEvT_T0_DpT1_, .Lfunc_end402-_ZN2at6native12_GLOBAL__N_125multi_tensor_apply_kernelINS1_18TensorListMetadataILi2EEENS1_11CopyFunctorIN3c1015Float8_e5m2fnuzEfLi2ELi1ELi1EEEJNS0_4CopyIS7_fEEEEEvT_T0_DpT1_
                                        ; -- End function
	.section	.AMDGPU.csdata,"",@progbits
; Kernel info:
; codeLenInByte = 3240
; NumSgprs: 25
; NumVgprs: 36
; ScratchSize: 0
; MemoryBound: 0
; FloatMode: 240
; IeeeMode: 1
; LDSByteSize: 0 bytes/workgroup (compile time only)
; SGPRBlocks: 3
; VGPRBlocks: 4
; NumSGPRsForWavesPerEU: 25
; NumVGPRsForWavesPerEU: 36
; Occupancy: 16
; WaveLimiterHint : 0
; COMPUTE_PGM_RSRC2:SCRATCH_EN: 0
; COMPUTE_PGM_RSRC2:USER_SGPR: 15
; COMPUTE_PGM_RSRC2:TRAP_HANDLER: 0
; COMPUTE_PGM_RSRC2:TGID_X_EN: 1
; COMPUTE_PGM_RSRC2:TGID_Y_EN: 0
; COMPUTE_PGM_RSRC2:TGID_Z_EN: 0
; COMPUTE_PGM_RSRC2:TIDIG_COMP_CNT: 0
	.section	.text._ZN2at6native12_GLOBAL__N_125multi_tensor_apply_kernelINS1_18TensorListMetadataILi2EEENS1_11CopyFunctorIN3c1015Float8_e5m2fnuzENS6_7complexIdEELi2ELi1ELi1EEEJNS0_4CopyIS7_S9_EEEEEvT_T0_DpT1_,"axG",@progbits,_ZN2at6native12_GLOBAL__N_125multi_tensor_apply_kernelINS1_18TensorListMetadataILi2EEENS1_11CopyFunctorIN3c1015Float8_e5m2fnuzENS6_7complexIdEELi2ELi1ELi1EEEJNS0_4CopyIS7_S9_EEEEEvT_T0_DpT1_,comdat
	.globl	_ZN2at6native12_GLOBAL__N_125multi_tensor_apply_kernelINS1_18TensorListMetadataILi2EEENS1_11CopyFunctorIN3c1015Float8_e5m2fnuzENS6_7complexIdEELi2ELi1ELi1EEEJNS0_4CopyIS7_S9_EEEEEvT_T0_DpT1_ ; -- Begin function _ZN2at6native12_GLOBAL__N_125multi_tensor_apply_kernelINS1_18TensorListMetadataILi2EEENS1_11CopyFunctorIN3c1015Float8_e5m2fnuzENS6_7complexIdEELi2ELi1ELi1EEEJNS0_4CopyIS7_S9_EEEEEvT_T0_DpT1_
	.p2align	8
	.type	_ZN2at6native12_GLOBAL__N_125multi_tensor_apply_kernelINS1_18TensorListMetadataILi2EEENS1_11CopyFunctorIN3c1015Float8_e5m2fnuzENS6_7complexIdEELi2ELi1ELi1EEEJNS0_4CopyIS7_S9_EEEEEvT_T0_DpT1_,@function
_ZN2at6native12_GLOBAL__N_125multi_tensor_apply_kernelINS1_18TensorListMetadataILi2EEENS1_11CopyFunctorIN3c1015Float8_e5m2fnuzENS6_7complexIdEELi2ELi1ELi1EEEJNS0_4CopyIS7_S9_EEEEEvT_T0_DpT1_: ; @_ZN2at6native12_GLOBAL__N_125multi_tensor_apply_kernelINS1_18TensorListMetadataILi2EEENS1_11CopyFunctorIN3c1015Float8_e5m2fnuzENS6_7complexIdEELi2ELi1ELi1EEEJNS0_4CopyIS7_S9_EEEEEvT_T0_DpT1_
; %bb.0:
	v_mov_b32_e32 v1, s15
	s_add_u32 s2, s0, s15
	s_mul_i32 s4, s15, 3
	s_addc_u32 s3, s1, 0
	s_mul_hi_u32 s5, s15, 3
	global_load_u8 v1, v1, s[0:1] offset:1536
	s_add_u32 s2, s2, s4
	s_addc_u32 s3, s3, s5
	s_mov_b32 s17, 0
	s_load_b32 s10, s[2:3], 0x740
	s_waitcnt lgkmcnt(0)
	s_ashr_i32 s11, s10, 31
	s_delay_alu instid0(SALU_CYCLE_1) | instskip(SKIP_2) | instid1(VALU_DEP_1)
	s_lshl_b64 s[8:9], s[10:11], 16
	s_waitcnt vmcnt(0)
	v_readfirstlane_b32 s4, v1
	s_lshl_b32 s4, s4, 3
	s_clause 0x2
	s_load_b64 s[6:7], s[0:1], s4 offset:0x200
	s_load_b64 s[2:3], s[0:1], s4 offset:0x400
	;; [unrolled: 1-line block ×3, first 2 shown]
	s_waitcnt lgkmcnt(0)
	s_add_u32 s14, s6, s8
	s_addc_u32 s15, s7, s9
	s_delay_alu instid0(SALU_CYCLE_1) | instskip(SKIP_2) | instid1(SALU_CYCLE_1)
	s_or_b64 s[4:5], s[2:3], s[14:15]
	s_and_b32 s5, s12, 63
	s_and_b32 s4, s4, 3
	s_or_b32 s16, s4, s5
	s_sub_u32 s4, s2, s8
	s_subb_u32 s5, s3, s9
	s_cmp_eq_u64 s[16:17], 0
	s_mov_b32 s2, -1
	s_cbranch_scc0 .LBB403_37
; %bb.1:
	v_dual_mov_b32 v2, 0 :: v_dual_lshlrev_b32 v1, 2, v0
	s_mov_b32 s3, exec_lo
	s_delay_alu instid0(VALU_DEP_1)
	v_cmpx_gt_i64_e64 s[4:5], v[1:2]
	s_cbranch_execz .LBB403_36
; %bb.2:
	s_load_b32 s2, s[0:1], 0xc5c
	v_lshlrev_b32_e32 v3, 6, v0
	s_lshl_b64 s[18:19], s[10:11], 20
	s_waitcnt lgkmcnt(0)
	s_and_b32 s2, s2, 0xffff
	s_delay_alu instid0(SALU_CYCLE_1) | instskip(SKIP_3) | instid1(VALU_DEP_1)
	s_lshl_b32 s16, s2, 2
	s_add_u32 s17, s12, s18
	s_addc_u32 s18, s13, s19
	v_add_co_u32 v3, s17, s17, v3
	v_add_co_ci_u32_e64 v4, null, s18, 0, s17
	s_mov_b32 s17, 0
	s_lshl_b32 s18, s2, 6
	s_branch .LBB403_5
.LBB403_3:                              ;   in Loop: Header=BB403_5 Depth=1
	s_or_b32 exec_lo, exec_lo, s20
.LBB403_4:                              ;   in Loop: Header=BB403_5 Depth=1
	s_delay_alu instid0(SALU_CYCLE_1)
	s_or_b32 exec_lo, exec_lo, s2
	v_add_co_u32 v5, vcc_lo, s14, v1
	v_add_co_ci_u32_e32 v6, vcc_lo, s15, v2, vcc_lo
	v_add_co_u32 v1, vcc_lo, s16, v1
	v_add_co_ci_u32_e32 v2, vcc_lo, 0, v2, vcc_lo
	v_lshlrev_b32_e32 v8, 16, v8
	v_lshlrev_b32_e32 v9, 8, v12
	s_delay_alu instid0(VALU_DEP_3) | instskip(SKIP_1) | instid1(VALU_DEP_4)
	v_cmp_le_i64_e32 vcc_lo, s[4:5], v[1:2]
	v_cmp_lt_u64_e64 s2, 0xffff, v[1:2]
	v_perm_b32 v7, v7, v8, 0x4020c0c
	s_delay_alu instid0(VALU_DEP_4) | instskip(SKIP_1) | instid1(VALU_DEP_4)
	v_and_b32_e32 v8, 0xff00, v9
	v_and_b32_e32 v9, 0xff, v11
	s_or_b32 s2, vcc_lo, s2
	v_add_co_u32 v3, vcc_lo, v3, s18
	s_delay_alu instid0(VALU_DEP_2) | instskip(SKIP_2) | instid1(SALU_CYCLE_1)
	v_or3_b32 v7, v7, v8, v9
	v_add_co_ci_u32_e32 v4, vcc_lo, 0, v4, vcc_lo
	s_and_b32 s2, exec_lo, s2
	s_or_b32 s17, s2, s17
	global_store_b32 v[5:6], v7, off
	s_and_not1_b32 exec_lo, exec_lo, s17
	s_cbranch_execz .LBB403_36
.LBB403_5:                              ; =>This Inner Loop Header: Depth=1
	s_clause 0x3
	global_load_b64 v[11:12], v[3:4], off
	global_load_b64 v[9:10], v[3:4], off offset:16
	global_load_b64 v[7:8], v[3:4], off offset:32
	;; [unrolled: 1-line block ×3, first 2 shown]
	s_mov_b32 s2, exec_lo
	s_waitcnt vmcnt(3)
	v_cvt_f32_f64_e32 v13, v[11:12]
	v_dual_mov_b32 v12, 0x80 :: v_dual_mov_b32 v11, 0x80
	s_delay_alu instid0(VALU_DEP_2) | instskip(NEXT) | instid1(VALU_DEP_1)
	v_and_b32_e32 v14, 0x7fffffff, v13
	v_cmpx_gt_u32_e32 0x47800000, v14
	s_cbranch_execz .LBB403_11
; %bb.6:                                ;   in Loop: Header=BB403_5 Depth=1
	v_cmp_lt_u32_e32 vcc_lo, 0x37ffffff, v14
	s_mov_b32 s19, 0
                                        ; implicit-def: $vgpr14
	s_and_saveexec_b32 s20, vcc_lo
	s_delay_alu instid0(SALU_CYCLE_1)
	s_xor_b32 s20, exec_lo, s20
	s_cbranch_execnz .LBB403_27
; %bb.7:                                ;   in Loop: Header=BB403_5 Depth=1
	s_or_saveexec_b32 s20, s20
                                        ; implicit-def: $sgpr21
	s_delay_alu instid0(SALU_CYCLE_1)
	s_xor_b32 exec_lo, exec_lo, s20
	s_cbranch_execnz .LBB403_28
.LBB403_8:                              ;   in Loop: Header=BB403_5 Depth=1
	s_or_b32 exec_lo, exec_lo, s20
	v_mov_b32_e32 v11, s21
	s_and_saveexec_b32 s20, s19
.LBB403_9:                              ;   in Loop: Header=BB403_5 Depth=1
	v_lshrrev_b32_e32 v11, 24, v13
	s_delay_alu instid0(VALU_DEP_1)
	v_and_or_b32 v11, 0x80, v11, v14
.LBB403_10:                             ;   in Loop: Header=BB403_5 Depth=1
	s_or_b32 exec_lo, exec_lo, s20
.LBB403_11:                             ;   in Loop: Header=BB403_5 Depth=1
	s_delay_alu instid0(SALU_CYCLE_1) | instskip(SKIP_3) | instid1(VALU_DEP_1)
	s_or_b32 exec_lo, exec_lo, s2
	s_waitcnt vmcnt(2)
	v_cvt_f32_f64_e32 v9, v[9:10]
	s_mov_b32 s2, exec_lo
	v_and_b32_e32 v10, 0x7fffffff, v9
	s_delay_alu instid0(VALU_DEP_1)
	v_cmpx_gt_u32_e32 0x47800000, v10
	s_cbranch_execz .LBB403_17
; %bb.12:                               ;   in Loop: Header=BB403_5 Depth=1
	v_cmp_lt_u32_e32 vcc_lo, 0x37ffffff, v10
	s_mov_b32 s19, 0
                                        ; implicit-def: $vgpr10
	s_and_saveexec_b32 s20, vcc_lo
	s_delay_alu instid0(SALU_CYCLE_1)
	s_xor_b32 s20, exec_lo, s20
	s_cbranch_execnz .LBB403_29
; %bb.13:                               ;   in Loop: Header=BB403_5 Depth=1
	s_or_saveexec_b32 s20, s20
                                        ; implicit-def: $sgpr21
	s_delay_alu instid0(SALU_CYCLE_1)
	s_xor_b32 exec_lo, exec_lo, s20
	s_cbranch_execnz .LBB403_30
.LBB403_14:                             ;   in Loop: Header=BB403_5 Depth=1
	s_or_b32 exec_lo, exec_lo, s20
	v_mov_b32_e32 v12, s21
	s_and_saveexec_b32 s20, s19
.LBB403_15:                             ;   in Loop: Header=BB403_5 Depth=1
	v_lshrrev_b32_e32 v9, 24, v9
	s_delay_alu instid0(VALU_DEP_1)
	v_and_or_b32 v12, 0x80, v9, v10
.LBB403_16:                             ;   in Loop: Header=BB403_5 Depth=1
	s_or_b32 exec_lo, exec_lo, s20
.LBB403_17:                             ;   in Loop: Header=BB403_5 Depth=1
	s_delay_alu instid0(SALU_CYCLE_1) | instskip(SKIP_4) | instid1(VALU_DEP_2)
	s_or_b32 exec_lo, exec_lo, s2
	s_waitcnt vmcnt(1)
	v_cvt_f32_f64_e32 v9, v[7:8]
	v_dual_mov_b32 v7, 0x80 :: v_dual_mov_b32 v8, 0x80
	s_mov_b32 s2, exec_lo
	v_and_b32_e32 v10, 0x7fffffff, v9
	s_delay_alu instid0(VALU_DEP_1)
	v_cmpx_gt_u32_e32 0x47800000, v10
	s_cbranch_execz .LBB403_23
; %bb.18:                               ;   in Loop: Header=BB403_5 Depth=1
	v_cmp_lt_u32_e32 vcc_lo, 0x37ffffff, v10
	s_mov_b32 s19, 0
                                        ; implicit-def: $vgpr10
	s_and_saveexec_b32 s20, vcc_lo
	s_delay_alu instid0(SALU_CYCLE_1)
	s_xor_b32 s20, exec_lo, s20
	s_cbranch_execnz .LBB403_31
; %bb.19:                               ;   in Loop: Header=BB403_5 Depth=1
	s_or_saveexec_b32 s20, s20
                                        ; implicit-def: $sgpr21
	s_delay_alu instid0(SALU_CYCLE_1)
	s_xor_b32 exec_lo, exec_lo, s20
	s_cbranch_execnz .LBB403_32
.LBB403_20:                             ;   in Loop: Header=BB403_5 Depth=1
	s_or_b32 exec_lo, exec_lo, s20
	v_mov_b32_e32 v8, s21
	s_and_saveexec_b32 s20, s19
.LBB403_21:                             ;   in Loop: Header=BB403_5 Depth=1
	v_lshrrev_b32_e32 v8, 24, v9
	s_delay_alu instid0(VALU_DEP_1)
	v_and_or_b32 v8, 0x80, v8, v10
.LBB403_22:                             ;   in Loop: Header=BB403_5 Depth=1
	s_or_b32 exec_lo, exec_lo, s20
.LBB403_23:                             ;   in Loop: Header=BB403_5 Depth=1
	s_delay_alu instid0(SALU_CYCLE_1) | instskip(SKIP_3) | instid1(VALU_DEP_1)
	s_or_b32 exec_lo, exec_lo, s2
	s_waitcnt vmcnt(0)
	v_cvt_f32_f64_e32 v5, v[5:6]
	s_mov_b32 s2, exec_lo
	v_and_b32_e32 v6, 0x7fffffff, v5
	s_delay_alu instid0(VALU_DEP_1)
	v_cmpx_gt_u32_e32 0x47800000, v6
	s_cbranch_execz .LBB403_4
; %bb.24:                               ;   in Loop: Header=BB403_5 Depth=1
	v_cmp_lt_u32_e32 vcc_lo, 0x37ffffff, v6
	s_mov_b32 s19, 0
                                        ; implicit-def: $vgpr6
	s_and_saveexec_b32 s20, vcc_lo
	s_delay_alu instid0(SALU_CYCLE_1)
	s_xor_b32 s20, exec_lo, s20
	s_cbranch_execnz .LBB403_33
; %bb.25:                               ;   in Loop: Header=BB403_5 Depth=1
	s_or_saveexec_b32 s20, s20
                                        ; implicit-def: $sgpr21
	s_delay_alu instid0(SALU_CYCLE_1)
	s_xor_b32 exec_lo, exec_lo, s20
	s_cbranch_execnz .LBB403_34
.LBB403_26:                             ;   in Loop: Header=BB403_5 Depth=1
	s_or_b32 exec_lo, exec_lo, s20
	v_mov_b32_e32 v7, s21
	s_and_saveexec_b32 s20, s19
	s_cbranch_execz .LBB403_3
	s_branch .LBB403_35
.LBB403_27:                             ;   in Loop: Header=BB403_5 Depth=1
	v_bfe_u32 v11, v13, 21, 1
	s_mov_b32 s19, exec_lo
	s_delay_alu instid0(VALU_DEP_1) | instskip(NEXT) | instid1(VALU_DEP_1)
	v_add3_u32 v11, v13, v11, 0x88fffff
	v_lshrrev_b32_e32 v14, 21, v11
	s_or_saveexec_b32 s20, s20
                                        ; implicit-def: $sgpr21
	s_delay_alu instid0(SALU_CYCLE_1)
	s_xor_b32 exec_lo, exec_lo, s20
	s_cbranch_execz .LBB403_8
.LBB403_28:                             ;   in Loop: Header=BB403_5 Depth=1
	v_add_f32_e64 v11, 0x42800000, |v13|
	s_and_not1_b32 s19, s19, exec_lo
	s_mov_b32 s21, 0
	s_delay_alu instid0(VALU_DEP_1) | instskip(NEXT) | instid1(VALU_DEP_1)
	v_and_b32_e32 v14, 0xff, v11
	v_cmp_ne_u32_e32 vcc_lo, 0, v14
	s_and_b32 s22, vcc_lo, exec_lo
	s_delay_alu instid0(SALU_CYCLE_1)
	s_or_b32 s19, s19, s22
	s_or_b32 exec_lo, exec_lo, s20
	v_mov_b32_e32 v11, s21
	s_and_saveexec_b32 s20, s19
	s_cbranch_execnz .LBB403_9
	s_branch .LBB403_10
.LBB403_29:                             ;   in Loop: Header=BB403_5 Depth=1
	v_bfe_u32 v10, v9, 21, 1
	s_mov_b32 s19, exec_lo
	s_delay_alu instid0(VALU_DEP_1) | instskip(NEXT) | instid1(VALU_DEP_1)
	v_add3_u32 v10, v9, v10, 0x88fffff
	v_lshrrev_b32_e32 v10, 21, v10
	s_or_saveexec_b32 s20, s20
                                        ; implicit-def: $sgpr21
	s_delay_alu instid0(SALU_CYCLE_1)
	s_xor_b32 exec_lo, exec_lo, s20
	s_cbranch_execz .LBB403_14
.LBB403_30:                             ;   in Loop: Header=BB403_5 Depth=1
	v_add_f32_e64 v10, 0x42800000, |v9|
	s_and_not1_b32 s19, s19, exec_lo
	s_mov_b32 s21, 0
	s_delay_alu instid0(VALU_DEP_1) | instskip(NEXT) | instid1(VALU_DEP_1)
	v_and_b32_e32 v10, 0xff, v10
	v_cmp_ne_u32_e32 vcc_lo, 0, v10
	s_and_b32 s22, vcc_lo, exec_lo
	s_delay_alu instid0(SALU_CYCLE_1)
	s_or_b32 s19, s19, s22
	s_or_b32 exec_lo, exec_lo, s20
	v_mov_b32_e32 v12, s21
	s_and_saveexec_b32 s20, s19
	s_cbranch_execnz .LBB403_15
	s_branch .LBB403_16
.LBB403_31:                             ;   in Loop: Header=BB403_5 Depth=1
	v_bfe_u32 v8, v9, 21, 1
	s_mov_b32 s19, exec_lo
	s_delay_alu instid0(VALU_DEP_1) | instskip(NEXT) | instid1(VALU_DEP_1)
	v_add3_u32 v8, v9, v8, 0x88fffff
	v_lshrrev_b32_e32 v10, 21, v8
	s_or_saveexec_b32 s20, s20
                                        ; implicit-def: $sgpr21
	s_delay_alu instid0(SALU_CYCLE_1)
	s_xor_b32 exec_lo, exec_lo, s20
	s_cbranch_execz .LBB403_20
.LBB403_32:                             ;   in Loop: Header=BB403_5 Depth=1
	v_add_f32_e64 v8, 0x42800000, |v9|
	s_and_not1_b32 s19, s19, exec_lo
	s_mov_b32 s21, 0
	s_delay_alu instid0(VALU_DEP_1) | instskip(NEXT) | instid1(VALU_DEP_1)
	v_and_b32_e32 v10, 0xff, v8
	v_cmp_ne_u32_e32 vcc_lo, 0, v10
	s_and_b32 s22, vcc_lo, exec_lo
	s_delay_alu instid0(SALU_CYCLE_1)
	s_or_b32 s19, s19, s22
	s_or_b32 exec_lo, exec_lo, s20
	v_mov_b32_e32 v8, s21
	s_and_saveexec_b32 s20, s19
	s_cbranch_execnz .LBB403_21
	s_branch .LBB403_22
.LBB403_33:                             ;   in Loop: Header=BB403_5 Depth=1
	v_bfe_u32 v6, v5, 21, 1
	s_mov_b32 s19, exec_lo
	s_delay_alu instid0(VALU_DEP_1) | instskip(NEXT) | instid1(VALU_DEP_1)
	v_add3_u32 v6, v5, v6, 0x88fffff
	v_lshrrev_b32_e32 v6, 21, v6
	s_or_saveexec_b32 s20, s20
                                        ; implicit-def: $sgpr21
	s_delay_alu instid0(SALU_CYCLE_1)
	s_xor_b32 exec_lo, exec_lo, s20
	s_cbranch_execz .LBB403_26
.LBB403_34:                             ;   in Loop: Header=BB403_5 Depth=1
	v_add_f32_e64 v6, 0x42800000, |v5|
	s_and_not1_b32 s19, s19, exec_lo
	s_mov_b32 s21, 0
	s_delay_alu instid0(VALU_DEP_1) | instskip(NEXT) | instid1(VALU_DEP_1)
	v_and_b32_e32 v6, 0xff, v6
	v_cmp_ne_u32_e32 vcc_lo, 0, v6
	s_and_b32 s22, vcc_lo, exec_lo
	s_delay_alu instid0(SALU_CYCLE_1)
	s_or_b32 s19, s19, s22
	s_or_b32 exec_lo, exec_lo, s20
	v_mov_b32_e32 v7, s21
	s_and_saveexec_b32 s20, s19
	s_cbranch_execz .LBB403_3
.LBB403_35:                             ;   in Loop: Header=BB403_5 Depth=1
	v_lshrrev_b32_e32 v5, 24, v5
	s_delay_alu instid0(VALU_DEP_1)
	v_and_or_b32 v7, 0x80, v5, v6
	s_branch .LBB403_3
.LBB403_36:
	s_or_b32 exec_lo, exec_lo, s3
	s_mov_b32 s2, 0
.LBB403_37:
	s_delay_alu instid0(SALU_CYCLE_1)
	s_and_not1_b32 vcc_lo, exec_lo, s2
	s_cbranch_vccnz .LBB403_89
; %bb.38:
	v_cmp_lt_i64_e64 s2, s[4:5], 1
	s_delay_alu instid0(VALU_DEP_1)
	s_and_b32 vcc_lo, exec_lo, s2
	s_cbranch_vccnz .LBB403_89
; %bb.39:
	s_load_b32 s0, s[0:1], 0xc5c
	v_cmp_gt_u64_e64 s1, 0x10000, s[4:5]
	v_add_co_u32 v7, s2, s8, v0
	v_lshlrev_b32_e32 v1, 4, v0
	v_add_co_ci_u32_e64 v8, null, s9, 0, s2
	v_mov_b32_e32 v5, 0
	v_mov_b32_e32 v6, 0
	v_add_co_u32 v21, vcc_lo, s6, v7
	s_delay_alu instid0(VALU_DEP_4) | instskip(NEXT) | instid1(VALU_DEP_3)
	v_add_co_ci_u32_e32 v22, vcc_lo, s7, v8, vcc_lo
	v_dual_mov_b32 v12, v6 :: v_dual_mov_b32 v11, v5
	v_dual_mov_b32 v10, v6 :: v_dual_mov_b32 v9, v5
	s_waitcnt lgkmcnt(0)
	s_and_b32 s0, s0, 0xffff
	s_and_b32 s1, s1, exec_lo
	s_cselect_b32 s3, s5, 0
	s_cselect_b32 s2, s4, 0x10000
	s_lshl_b64 s[10:11], s[10:11], 20
	s_lshl_b32 s14, s0, 1
	s_lshl_b32 s1, s0, 2
	s_add_u32 s12, s12, s10
	s_mul_i32 s15, s0, 3
	s_addc_u32 s13, s13, s11
	s_lshl_b32 s10, s0, 6
	v_add_co_u32 v1, s16, s12, v1
	s_add_u32 s11, s8, s15
	v_add_co_ci_u32_e64 v2, null, s13, 0, s16
	s_addc_u32 s16, s9, 0
	s_add_u32 s11, s6, s11
	s_addc_u32 s16, s7, s16
	v_add_co_u32 v23, s11, s11, v0
	s_delay_alu instid0(VALU_DEP_1)
	v_add_co_ci_u32_e64 v24, null, s16, 0, s11
	v_add_co_u32 v25, s11, s15, v0
	v_add_co_u32 v27, s15, v0, s0
	v_add_co_ci_u32_e64 v26, null, 0, 0, s11
	s_lshl_b32 s11, s0, 5
	s_add_u32 s8, s8, s14
	s_addc_u32 s9, s9, 0
	s_add_u32 s8, s6, s8
	s_addc_u32 s9, s7, s9
	v_lshlrev_b32_e32 v3, 4, v27
	v_add_co_u32 v28, s8, s8, v0
	s_add_u32 s6, s6, s0
	v_add_co_ci_u32_e64 v29, null, s9, 0, s8
	v_add_co_u32 v31, s8, s14, v0
	s_addc_u32 s7, s7, 0
	v_add_co_u32 v33, vcc_lo, s6, v7
	v_add_co_ci_u32_e64 v32, null, 0, 0, s8
	v_add_co_u32 v3, s8, s12, v3
	v_add_co_ci_u32_e32 v34, vcc_lo, s7, v8, vcc_lo
	v_dual_mov_b32 v8, v6 :: v_dual_mov_b32 v7, v5
	v_add_co_ci_u32_e64 v30, null, 0, 0, s15
	v_add_co_ci_u32_e64 v4, null, s13, 0, s8
	s_mul_i32 s8, s0, 48
	s_mov_b64 s[6:7], 0
	s_branch .LBB403_41
.LBB403_40:                             ;   in Loop: Header=BB403_41 Depth=1
	s_or_b32 exec_lo, exec_lo, s0
	s_add_u32 s6, s6, s1
	s_addc_u32 s7, s7, 0
	v_add_co_u32 v1, vcc_lo, v1, s10
	v_cmp_ge_i64_e64 s0, s[6:7], s[4:5]
	v_cmp_lt_u64_e64 s9, 0xffff, s[6:7]
	v_add_co_ci_u32_e32 v2, vcc_lo, 0, v2, vcc_lo
	v_add_co_u32 v3, vcc_lo, v3, s10
	v_add_co_ci_u32_e32 v4, vcc_lo, 0, v4, vcc_lo
	s_delay_alu instid0(VALU_DEP_4) | instskip(NEXT) | instid1(SALU_CYCLE_1)
	s_or_b32 s0, s0, s9
	s_and_b32 vcc_lo, exec_lo, s0
	s_cbranch_vccnz .LBB403_89
.LBB403_41:                             ; =>This Inner Loop Header: Depth=1
	v_add_co_u32 v13, s0, v0, s6
	s_delay_alu instid0(VALU_DEP_1) | instskip(NEXT) | instid1(VALU_DEP_1)
	v_add_co_ci_u32_e64 v14, null, 0, s7, s0
	v_cmp_gt_i64_e32 vcc_lo, s[4:5], v[13:14]
	v_cmp_gt_u64_e64 s0, 0x10000, v[13:14]
	s_delay_alu instid0(VALU_DEP_1) | instskip(NEXT) | instid1(SALU_CYCLE_1)
	s_and_b32 s9, vcc_lo, s0
	s_and_saveexec_b32 s0, s9
	s_cbranch_execz .LBB403_43
; %bb.42:                               ;   in Loop: Header=BB403_41 Depth=1
	global_load_b64 v[9:10], v[1:2], off
.LBB403_43:                             ;   in Loop: Header=BB403_41 Depth=1
	s_or_b32 exec_lo, exec_lo, s0
	v_add_co_u32 v15, vcc_lo, v27, s6
	v_add_co_ci_u32_e32 v16, vcc_lo, s7, v30, vcc_lo
	s_delay_alu instid0(VALU_DEP_1) | instskip(SKIP_1) | instid1(VALU_DEP_1)
	v_cmp_gt_i64_e32 vcc_lo, s[4:5], v[15:16]
	v_cmp_gt_u64_e64 s0, 0x10000, v[15:16]
	s_and_b32 s9, vcc_lo, s0
	s_delay_alu instid0(SALU_CYCLE_1)
	s_and_saveexec_b32 s0, s9
	s_cbranch_execz .LBB403_45
; %bb.44:                               ;   in Loop: Header=BB403_41 Depth=1
	global_load_b64 v[7:8], v[3:4], off
.LBB403_45:                             ;   in Loop: Header=BB403_41 Depth=1
	s_or_b32 exec_lo, exec_lo, s0
	v_add_co_u32 v17, vcc_lo, v31, s6
	v_add_co_ci_u32_e32 v18, vcc_lo, s7, v32, vcc_lo
	s_delay_alu instid0(VALU_DEP_1) | instskip(SKIP_1) | instid1(VALU_DEP_1)
	v_cmp_gt_i64_e32 vcc_lo, s[4:5], v[17:18]
	v_cmp_gt_u64_e64 s0, 0x10000, v[17:18]
	s_and_b32 s9, vcc_lo, s0
	s_delay_alu instid0(SALU_CYCLE_1)
	s_and_saveexec_b32 s0, s9
	s_cbranch_execz .LBB403_47
; %bb.46:                               ;   in Loop: Header=BB403_41 Depth=1
	v_add_co_u32 v11, vcc_lo, v1, s11
	v_add_co_ci_u32_e32 v12, vcc_lo, 0, v2, vcc_lo
	global_load_b64 v[11:12], v[11:12], off
.LBB403_47:                             ;   in Loop: Header=BB403_41 Depth=1
	s_or_b32 exec_lo, exec_lo, s0
	v_add_co_u32 v19, vcc_lo, v25, s6
	v_add_co_ci_u32_e32 v20, vcc_lo, s7, v26, vcc_lo
	s_delay_alu instid0(VALU_DEP_1) | instskip(SKIP_1) | instid1(VALU_DEP_1)
	v_cmp_gt_i64_e32 vcc_lo, s[4:5], v[19:20]
	v_cmp_gt_u64_e64 s0, 0x10000, v[19:20]
	s_and_b32 s9, vcc_lo, s0
	s_delay_alu instid0(SALU_CYCLE_1)
	s_and_saveexec_b32 s0, s9
	s_cbranch_execz .LBB403_49
; %bb.48:                               ;   in Loop: Header=BB403_41 Depth=1
	v_add_co_u32 v5, vcc_lo, v1, s8
	v_add_co_ci_u32_e32 v6, vcc_lo, 0, v2, vcc_lo
	global_load_b64 v[5:6], v[5:6], off
.LBB403_49:                             ;   in Loop: Header=BB403_41 Depth=1
	s_or_b32 exec_lo, exec_lo, s0
	s_waitcnt vmcnt(0)
	v_cvt_f32_f64_e32 v37, v[9:10]
	v_dual_mov_b32 v35, 0x80 :: v_dual_mov_b32 v36, 0x80
	s_mov_b32 s0, exec_lo
	s_delay_alu instid0(VALU_DEP_2) | instskip(NEXT) | instid1(VALU_DEP_1)
	v_and_b32_e32 v38, 0x7fffffff, v37
	v_cmpx_gt_u32_e32 0x47800000, v38
	s_cbranch_execz .LBB403_55
; %bb.50:                               ;   in Loop: Header=BB403_41 Depth=1
	v_cmp_lt_u32_e32 vcc_lo, 0x37ffffff, v38
	s_mov_b32 s9, 0
                                        ; implicit-def: $vgpr38
	s_and_saveexec_b32 s12, vcc_lo
	s_delay_alu instid0(SALU_CYCLE_1)
	s_xor_b32 s12, exec_lo, s12
	s_cbranch_execnz .LBB403_81
; %bb.51:                               ;   in Loop: Header=BB403_41 Depth=1
	s_or_saveexec_b32 s12, s12
                                        ; implicit-def: $sgpr13
	s_delay_alu instid0(SALU_CYCLE_1)
	s_xor_b32 exec_lo, exec_lo, s12
	s_cbranch_execnz .LBB403_82
.LBB403_52:                             ;   in Loop: Header=BB403_41 Depth=1
	s_or_b32 exec_lo, exec_lo, s12
	v_mov_b32_e32 v36, s13
	s_and_saveexec_b32 s12, s9
.LBB403_53:                             ;   in Loop: Header=BB403_41 Depth=1
	v_lshrrev_b32_e32 v36, 24, v37
	s_delay_alu instid0(VALU_DEP_1)
	v_and_or_b32 v36, 0x80, v36, v38
.LBB403_54:                             ;   in Loop: Header=BB403_41 Depth=1
	s_or_b32 exec_lo, exec_lo, s12
.LBB403_55:                             ;   in Loop: Header=BB403_41 Depth=1
	s_delay_alu instid0(SALU_CYCLE_1) | instskip(SKIP_2) | instid1(VALU_DEP_1)
	s_or_b32 exec_lo, exec_lo, s0
	v_cvt_f32_f64_e32 v37, v[7:8]
	s_mov_b32 s0, exec_lo
	v_and_b32_e32 v38, 0x7fffffff, v37
	s_delay_alu instid0(VALU_DEP_1)
	v_cmpx_gt_u32_e32 0x47800000, v38
	s_cbranch_execz .LBB403_61
; %bb.56:                               ;   in Loop: Header=BB403_41 Depth=1
	v_cmp_lt_u32_e32 vcc_lo, 0x37ffffff, v38
	s_mov_b32 s9, 0
                                        ; implicit-def: $vgpr38
	s_and_saveexec_b32 s12, vcc_lo
	s_delay_alu instid0(SALU_CYCLE_1)
	s_xor_b32 s12, exec_lo, s12
	s_cbranch_execnz .LBB403_83
; %bb.57:                               ;   in Loop: Header=BB403_41 Depth=1
	s_or_saveexec_b32 s12, s12
                                        ; implicit-def: $sgpr13
	s_delay_alu instid0(SALU_CYCLE_1)
	s_xor_b32 exec_lo, exec_lo, s12
	s_cbranch_execnz .LBB403_84
.LBB403_58:                             ;   in Loop: Header=BB403_41 Depth=1
	s_or_b32 exec_lo, exec_lo, s12
	v_mov_b32_e32 v35, s13
	s_and_saveexec_b32 s12, s9
.LBB403_59:                             ;   in Loop: Header=BB403_41 Depth=1
	v_lshrrev_b32_e32 v35, 24, v37
	s_delay_alu instid0(VALU_DEP_1)
	v_and_or_b32 v35, 0x80, v35, v38
.LBB403_60:                             ;   in Loop: Header=BB403_41 Depth=1
	s_or_b32 exec_lo, exec_lo, s12
.LBB403_61:                             ;   in Loop: Header=BB403_41 Depth=1
	s_delay_alu instid0(SALU_CYCLE_1) | instskip(SKIP_3) | instid1(VALU_DEP_2)
	s_or_b32 exec_lo, exec_lo, s0
	v_cvt_f32_f64_e32 v39, v[11:12]
	v_dual_mov_b32 v37, 0x80 :: v_dual_mov_b32 v38, 0x80
	s_mov_b32 s0, exec_lo
	v_and_b32_e32 v40, 0x7fffffff, v39
	s_delay_alu instid0(VALU_DEP_1)
	v_cmpx_gt_u32_e32 0x47800000, v40
	s_cbranch_execz .LBB403_67
; %bb.62:                               ;   in Loop: Header=BB403_41 Depth=1
	v_cmp_lt_u32_e32 vcc_lo, 0x37ffffff, v40
	s_mov_b32 s9, 0
                                        ; implicit-def: $vgpr40
	s_and_saveexec_b32 s12, vcc_lo
	s_delay_alu instid0(SALU_CYCLE_1)
	s_xor_b32 s12, exec_lo, s12
	s_cbranch_execnz .LBB403_85
; %bb.63:                               ;   in Loop: Header=BB403_41 Depth=1
	s_or_saveexec_b32 s12, s12
                                        ; implicit-def: $sgpr13
	s_delay_alu instid0(SALU_CYCLE_1)
	s_xor_b32 exec_lo, exec_lo, s12
	s_cbranch_execnz .LBB403_86
.LBB403_64:                             ;   in Loop: Header=BB403_41 Depth=1
	s_or_b32 exec_lo, exec_lo, s12
	v_mov_b32_e32 v38, s13
	s_and_saveexec_b32 s12, s9
.LBB403_65:                             ;   in Loop: Header=BB403_41 Depth=1
	v_lshrrev_b32_e32 v38, 24, v39
	s_delay_alu instid0(VALU_DEP_1)
	v_and_or_b32 v38, 0x80, v38, v40
.LBB403_66:                             ;   in Loop: Header=BB403_41 Depth=1
	s_or_b32 exec_lo, exec_lo, s12
.LBB403_67:                             ;   in Loop: Header=BB403_41 Depth=1
	s_delay_alu instid0(SALU_CYCLE_1) | instskip(SKIP_2) | instid1(VALU_DEP_1)
	s_or_b32 exec_lo, exec_lo, s0
	v_cvt_f32_f64_e32 v39, v[5:6]
	s_mov_b32 s0, exec_lo
	v_and_b32_e32 v40, 0x7fffffff, v39
	s_delay_alu instid0(VALU_DEP_1)
	v_cmpx_gt_u32_e32 0x47800000, v40
	s_cbranch_execz .LBB403_73
; %bb.68:                               ;   in Loop: Header=BB403_41 Depth=1
	v_cmp_lt_u32_e32 vcc_lo, 0x37ffffff, v40
	s_mov_b32 s9, 0
                                        ; implicit-def: $vgpr40
	s_and_saveexec_b32 s12, vcc_lo
	s_delay_alu instid0(SALU_CYCLE_1)
	s_xor_b32 s12, exec_lo, s12
	s_cbranch_execnz .LBB403_87
; %bb.69:                               ;   in Loop: Header=BB403_41 Depth=1
	s_or_saveexec_b32 s12, s12
                                        ; implicit-def: $sgpr13
	s_delay_alu instid0(SALU_CYCLE_1)
	s_xor_b32 exec_lo, exec_lo, s12
	s_cbranch_execnz .LBB403_88
.LBB403_70:                             ;   in Loop: Header=BB403_41 Depth=1
	s_or_b32 exec_lo, exec_lo, s12
	v_mov_b32_e32 v37, s13
	s_and_saveexec_b32 s12, s9
.LBB403_71:                             ;   in Loop: Header=BB403_41 Depth=1
	v_lshrrev_b32_e32 v37, 24, v39
	s_delay_alu instid0(VALU_DEP_1)
	v_and_or_b32 v37, 0x80, v37, v40
.LBB403_72:                             ;   in Loop: Header=BB403_41 Depth=1
	s_or_b32 exec_lo, exec_lo, s12
.LBB403_73:                             ;   in Loop: Header=BB403_41 Depth=1
	s_delay_alu instid0(SALU_CYCLE_1) | instskip(NEXT) | instid1(SALU_CYCLE_1)
	s_or_b32 exec_lo, exec_lo, s0
	s_mov_b32 s0, exec_lo
	v_cmpx_gt_u64_e64 s[2:3], v[13:14]
	s_xor_b32 s0, exec_lo, s0
	s_cbranch_execnz .LBB403_77
; %bb.74:                               ;   in Loop: Header=BB403_41 Depth=1
	s_or_b32 exec_lo, exec_lo, s0
	s_delay_alu instid0(SALU_CYCLE_1)
	s_mov_b32 s0, exec_lo
	v_cmpx_gt_u64_e64 s[2:3], v[15:16]
	s_cbranch_execnz .LBB403_78
.LBB403_75:                             ;   in Loop: Header=BB403_41 Depth=1
	s_or_b32 exec_lo, exec_lo, s0
	s_delay_alu instid0(SALU_CYCLE_1)
	s_mov_b32 s0, exec_lo
	v_cmpx_gt_u64_e64 s[2:3], v[17:18]
	s_cbranch_execnz .LBB403_79
.LBB403_76:                             ;   in Loop: Header=BB403_41 Depth=1
	s_or_b32 exec_lo, exec_lo, s0
	s_delay_alu instid0(SALU_CYCLE_1)
	s_mov_b32 s0, exec_lo
	v_cmpx_gt_u64_e64 s[2:3], v[19:20]
	s_cbranch_execz .LBB403_40
	s_branch .LBB403_80
.LBB403_77:                             ;   in Loop: Header=BB403_41 Depth=1
	v_add_co_u32 v13, vcc_lo, v21, s6
	v_add_co_ci_u32_e32 v14, vcc_lo, s7, v22, vcc_lo
	global_store_b8 v[13:14], v36, off
	s_or_b32 exec_lo, exec_lo, s0
	s_delay_alu instid0(SALU_CYCLE_1)
	s_mov_b32 s0, exec_lo
	v_cmpx_gt_u64_e64 s[2:3], v[15:16]
	s_cbranch_execz .LBB403_75
.LBB403_78:                             ;   in Loop: Header=BB403_41 Depth=1
	v_add_co_u32 v13, vcc_lo, v33, s6
	v_add_co_ci_u32_e32 v14, vcc_lo, s7, v34, vcc_lo
	global_store_b8 v[13:14], v35, off
	s_or_b32 exec_lo, exec_lo, s0
	s_delay_alu instid0(SALU_CYCLE_1)
	s_mov_b32 s0, exec_lo
	v_cmpx_gt_u64_e64 s[2:3], v[17:18]
	s_cbranch_execz .LBB403_76
.LBB403_79:                             ;   in Loop: Header=BB403_41 Depth=1
	v_add_co_u32 v13, vcc_lo, v28, s6
	v_add_co_ci_u32_e32 v14, vcc_lo, s7, v29, vcc_lo
	global_store_b8 v[13:14], v38, off
	s_or_b32 exec_lo, exec_lo, s0
	s_delay_alu instid0(SALU_CYCLE_1)
	s_mov_b32 s0, exec_lo
	v_cmpx_gt_u64_e64 s[2:3], v[19:20]
	s_cbranch_execz .LBB403_40
.LBB403_80:                             ;   in Loop: Header=BB403_41 Depth=1
	v_add_co_u32 v13, vcc_lo, v23, s6
	v_add_co_ci_u32_e32 v14, vcc_lo, s7, v24, vcc_lo
	global_store_b8 v[13:14], v37, off
	s_branch .LBB403_40
.LBB403_81:                             ;   in Loop: Header=BB403_41 Depth=1
	v_bfe_u32 v36, v37, 21, 1
	s_mov_b32 s9, exec_lo
	s_delay_alu instid0(VALU_DEP_1) | instskip(NEXT) | instid1(VALU_DEP_1)
	v_add3_u32 v36, v37, v36, 0x88fffff
	v_lshrrev_b32_e32 v38, 21, v36
	s_or_saveexec_b32 s12, s12
                                        ; implicit-def: $sgpr13
	s_delay_alu instid0(SALU_CYCLE_1)
	s_xor_b32 exec_lo, exec_lo, s12
	s_cbranch_execz .LBB403_52
.LBB403_82:                             ;   in Loop: Header=BB403_41 Depth=1
	v_add_f32_e64 v36, 0x42800000, |v37|
	s_and_not1_b32 s9, s9, exec_lo
	s_mov_b32 s13, 0
	s_delay_alu instid0(VALU_DEP_1) | instskip(NEXT) | instid1(VALU_DEP_1)
	v_and_b32_e32 v38, 0xff, v36
	v_cmp_ne_u32_e32 vcc_lo, 0, v38
	s_and_b32 s14, vcc_lo, exec_lo
	s_delay_alu instid0(SALU_CYCLE_1)
	s_or_b32 s9, s9, s14
	s_or_b32 exec_lo, exec_lo, s12
	v_mov_b32_e32 v36, s13
	s_and_saveexec_b32 s12, s9
	s_cbranch_execnz .LBB403_53
	s_branch .LBB403_54
.LBB403_83:                             ;   in Loop: Header=BB403_41 Depth=1
	v_bfe_u32 v35, v37, 21, 1
	s_mov_b32 s9, exec_lo
	s_delay_alu instid0(VALU_DEP_1) | instskip(NEXT) | instid1(VALU_DEP_1)
	v_add3_u32 v35, v37, v35, 0x88fffff
	v_lshrrev_b32_e32 v38, 21, v35
	s_or_saveexec_b32 s12, s12
                                        ; implicit-def: $sgpr13
	s_delay_alu instid0(SALU_CYCLE_1)
	s_xor_b32 exec_lo, exec_lo, s12
	s_cbranch_execz .LBB403_58
.LBB403_84:                             ;   in Loop: Header=BB403_41 Depth=1
	v_add_f32_e64 v35, 0x42800000, |v37|
	s_and_not1_b32 s9, s9, exec_lo
	s_mov_b32 s13, 0
	s_delay_alu instid0(VALU_DEP_1) | instskip(NEXT) | instid1(VALU_DEP_1)
	v_and_b32_e32 v38, 0xff, v35
	v_cmp_ne_u32_e32 vcc_lo, 0, v38
	s_and_b32 s14, vcc_lo, exec_lo
	s_delay_alu instid0(SALU_CYCLE_1)
	s_or_b32 s9, s9, s14
	s_or_b32 exec_lo, exec_lo, s12
	v_mov_b32_e32 v35, s13
	s_and_saveexec_b32 s12, s9
	s_cbranch_execnz .LBB403_59
	s_branch .LBB403_60
.LBB403_85:                             ;   in Loop: Header=BB403_41 Depth=1
	v_bfe_u32 v38, v39, 21, 1
	s_mov_b32 s9, exec_lo
	s_delay_alu instid0(VALU_DEP_1) | instskip(NEXT) | instid1(VALU_DEP_1)
	v_add3_u32 v38, v39, v38, 0x88fffff
	v_lshrrev_b32_e32 v40, 21, v38
	s_or_saveexec_b32 s12, s12
                                        ; implicit-def: $sgpr13
	s_delay_alu instid0(SALU_CYCLE_1)
	s_xor_b32 exec_lo, exec_lo, s12
	s_cbranch_execz .LBB403_64
.LBB403_86:                             ;   in Loop: Header=BB403_41 Depth=1
	v_add_f32_e64 v38, 0x42800000, |v39|
	s_and_not1_b32 s9, s9, exec_lo
	s_mov_b32 s13, 0
	s_delay_alu instid0(VALU_DEP_1) | instskip(NEXT) | instid1(VALU_DEP_1)
	v_and_b32_e32 v40, 0xff, v38
	v_cmp_ne_u32_e32 vcc_lo, 0, v40
	s_and_b32 s14, vcc_lo, exec_lo
	s_delay_alu instid0(SALU_CYCLE_1)
	s_or_b32 s9, s9, s14
	s_or_b32 exec_lo, exec_lo, s12
	v_mov_b32_e32 v38, s13
	s_and_saveexec_b32 s12, s9
	s_cbranch_execnz .LBB403_65
	s_branch .LBB403_66
.LBB403_87:                             ;   in Loop: Header=BB403_41 Depth=1
	v_bfe_u32 v37, v39, 21, 1
	s_mov_b32 s9, exec_lo
	s_delay_alu instid0(VALU_DEP_1) | instskip(NEXT) | instid1(VALU_DEP_1)
	v_add3_u32 v37, v39, v37, 0x88fffff
	v_lshrrev_b32_e32 v40, 21, v37
	s_or_saveexec_b32 s12, s12
                                        ; implicit-def: $sgpr13
	s_delay_alu instid0(SALU_CYCLE_1)
	s_xor_b32 exec_lo, exec_lo, s12
	s_cbranch_execz .LBB403_70
.LBB403_88:                             ;   in Loop: Header=BB403_41 Depth=1
	v_add_f32_e64 v37, 0x42800000, |v39|
	s_and_not1_b32 s9, s9, exec_lo
	s_mov_b32 s13, 0
	s_delay_alu instid0(VALU_DEP_1) | instskip(NEXT) | instid1(VALU_DEP_1)
	v_and_b32_e32 v40, 0xff, v37
	v_cmp_ne_u32_e32 vcc_lo, 0, v40
	s_and_b32 s14, vcc_lo, exec_lo
	s_delay_alu instid0(SALU_CYCLE_1)
	s_or_b32 s9, s9, s14
	s_or_b32 exec_lo, exec_lo, s12
	v_mov_b32_e32 v37, s13
	s_and_saveexec_b32 s12, s9
	s_cbranch_execnz .LBB403_71
	s_branch .LBB403_72
.LBB403_89:
	s_nop 0
	s_sendmsg sendmsg(MSG_DEALLOC_VGPRS)
	s_endpgm
	.section	.rodata,"a",@progbits
	.p2align	6, 0x0
	.amdhsa_kernel _ZN2at6native12_GLOBAL__N_125multi_tensor_apply_kernelINS1_18TensorListMetadataILi2EEENS1_11CopyFunctorIN3c1015Float8_e5m2fnuzENS6_7complexIdEELi2ELi1ELi1EEEJNS0_4CopyIS7_S9_EEEEEvT_T0_DpT1_
		.amdhsa_group_segment_fixed_size 0
		.amdhsa_private_segment_fixed_size 0
		.amdhsa_kernarg_size 3408
		.amdhsa_user_sgpr_count 15
		.amdhsa_user_sgpr_dispatch_ptr 0
		.amdhsa_user_sgpr_queue_ptr 0
		.amdhsa_user_sgpr_kernarg_segment_ptr 1
		.amdhsa_user_sgpr_dispatch_id 0
		.amdhsa_user_sgpr_private_segment_size 0
		.amdhsa_wavefront_size32 1
		.amdhsa_uses_dynamic_stack 0
		.amdhsa_enable_private_segment 0
		.amdhsa_system_sgpr_workgroup_id_x 1
		.amdhsa_system_sgpr_workgroup_id_y 0
		.amdhsa_system_sgpr_workgroup_id_z 0
		.amdhsa_system_sgpr_workgroup_info 0
		.amdhsa_system_vgpr_workitem_id 0
		.amdhsa_next_free_vgpr 41
		.amdhsa_next_free_sgpr 23
		.amdhsa_reserve_vcc 1
		.amdhsa_float_round_mode_32 0
		.amdhsa_float_round_mode_16_64 0
		.amdhsa_float_denorm_mode_32 3
		.amdhsa_float_denorm_mode_16_64 3
		.amdhsa_dx10_clamp 1
		.amdhsa_ieee_mode 1
		.amdhsa_fp16_overflow 0
		.amdhsa_workgroup_processor_mode 1
		.amdhsa_memory_ordered 1
		.amdhsa_forward_progress 0
		.amdhsa_shared_vgpr_count 0
		.amdhsa_exception_fp_ieee_invalid_op 0
		.amdhsa_exception_fp_denorm_src 0
		.amdhsa_exception_fp_ieee_div_zero 0
		.amdhsa_exception_fp_ieee_overflow 0
		.amdhsa_exception_fp_ieee_underflow 0
		.amdhsa_exception_fp_ieee_inexact 0
		.amdhsa_exception_int_div_zero 0
	.end_amdhsa_kernel
	.section	.text._ZN2at6native12_GLOBAL__N_125multi_tensor_apply_kernelINS1_18TensorListMetadataILi2EEENS1_11CopyFunctorIN3c1015Float8_e5m2fnuzENS6_7complexIdEELi2ELi1ELi1EEEJNS0_4CopyIS7_S9_EEEEEvT_T0_DpT1_,"axG",@progbits,_ZN2at6native12_GLOBAL__N_125multi_tensor_apply_kernelINS1_18TensorListMetadataILi2EEENS1_11CopyFunctorIN3c1015Float8_e5m2fnuzENS6_7complexIdEELi2ELi1ELi1EEEJNS0_4CopyIS7_S9_EEEEEvT_T0_DpT1_,comdat
.Lfunc_end403:
	.size	_ZN2at6native12_GLOBAL__N_125multi_tensor_apply_kernelINS1_18TensorListMetadataILi2EEENS1_11CopyFunctorIN3c1015Float8_e5m2fnuzENS6_7complexIdEELi2ELi1ELi1EEEJNS0_4CopyIS7_S9_EEEEEvT_T0_DpT1_, .Lfunc_end403-_ZN2at6native12_GLOBAL__N_125multi_tensor_apply_kernelINS1_18TensorListMetadataILi2EEENS1_11CopyFunctorIN3c1015Float8_e5m2fnuzENS6_7complexIdEELi2ELi1ELi1EEEJNS0_4CopyIS7_S9_EEEEEvT_T0_DpT1_
                                        ; -- End function
	.section	.AMDGPU.csdata,"",@progbits
; Kernel info:
; codeLenInByte = 3368
; NumSgprs: 25
; NumVgprs: 41
; ScratchSize: 0
; MemoryBound: 0
; FloatMode: 240
; IeeeMode: 1
; LDSByteSize: 0 bytes/workgroup (compile time only)
; SGPRBlocks: 3
; VGPRBlocks: 5
; NumSGPRsForWavesPerEU: 25
; NumVGPRsForWavesPerEU: 41
; Occupancy: 16
; WaveLimiterHint : 0
; COMPUTE_PGM_RSRC2:SCRATCH_EN: 0
; COMPUTE_PGM_RSRC2:USER_SGPR: 15
; COMPUTE_PGM_RSRC2:TRAP_HANDLER: 0
; COMPUTE_PGM_RSRC2:TGID_X_EN: 1
; COMPUTE_PGM_RSRC2:TGID_Y_EN: 0
; COMPUTE_PGM_RSRC2:TGID_Z_EN: 0
; COMPUTE_PGM_RSRC2:TIDIG_COMP_CNT: 0
	.section	.text._ZN2at6native12_GLOBAL__N_125multi_tensor_apply_kernelINS1_18TensorListMetadataILi2EEENS1_11CopyFunctorIN3c1015Float8_e5m2fnuzENS6_7complexIfEELi2ELi1ELi1EEEJNS0_4CopyIS7_S9_EEEEEvT_T0_DpT1_,"axG",@progbits,_ZN2at6native12_GLOBAL__N_125multi_tensor_apply_kernelINS1_18TensorListMetadataILi2EEENS1_11CopyFunctorIN3c1015Float8_e5m2fnuzENS6_7complexIfEELi2ELi1ELi1EEEJNS0_4CopyIS7_S9_EEEEEvT_T0_DpT1_,comdat
	.globl	_ZN2at6native12_GLOBAL__N_125multi_tensor_apply_kernelINS1_18TensorListMetadataILi2EEENS1_11CopyFunctorIN3c1015Float8_e5m2fnuzENS6_7complexIfEELi2ELi1ELi1EEEJNS0_4CopyIS7_S9_EEEEEvT_T0_DpT1_ ; -- Begin function _ZN2at6native12_GLOBAL__N_125multi_tensor_apply_kernelINS1_18TensorListMetadataILi2EEENS1_11CopyFunctorIN3c1015Float8_e5m2fnuzENS6_7complexIfEELi2ELi1ELi1EEEJNS0_4CopyIS7_S9_EEEEEvT_T0_DpT1_
	.p2align	8
	.type	_ZN2at6native12_GLOBAL__N_125multi_tensor_apply_kernelINS1_18TensorListMetadataILi2EEENS1_11CopyFunctorIN3c1015Float8_e5m2fnuzENS6_7complexIfEELi2ELi1ELi1EEEJNS0_4CopyIS7_S9_EEEEEvT_T0_DpT1_,@function
_ZN2at6native12_GLOBAL__N_125multi_tensor_apply_kernelINS1_18TensorListMetadataILi2EEENS1_11CopyFunctorIN3c1015Float8_e5m2fnuzENS6_7complexIfEELi2ELi1ELi1EEEJNS0_4CopyIS7_S9_EEEEEvT_T0_DpT1_: ; @_ZN2at6native12_GLOBAL__N_125multi_tensor_apply_kernelINS1_18TensorListMetadataILi2EEENS1_11CopyFunctorIN3c1015Float8_e5m2fnuzENS6_7complexIfEELi2ELi1ELi1EEEJNS0_4CopyIS7_S9_EEEEEvT_T0_DpT1_
; %bb.0:
	v_mov_b32_e32 v1, s15
	s_add_u32 s2, s0, s15
	s_mul_i32 s4, s15, 3
	s_addc_u32 s3, s1, 0
	s_mul_hi_u32 s5, s15, 3
	global_load_u8 v1, v1, s[0:1] offset:1536
	s_add_u32 s2, s2, s4
	s_addc_u32 s3, s3, s5
	s_mov_b32 s17, 0
	s_load_b32 s10, s[2:3], 0x740
	s_waitcnt lgkmcnt(0)
	s_ashr_i32 s11, s10, 31
	s_delay_alu instid0(SALU_CYCLE_1) | instskip(SKIP_2) | instid1(VALU_DEP_1)
	s_lshl_b64 s[8:9], s[10:11], 16
	s_waitcnt vmcnt(0)
	v_readfirstlane_b32 s4, v1
	s_lshl_b32 s4, s4, 3
	s_clause 0x2
	s_load_b64 s[6:7], s[0:1], s4 offset:0x200
	s_load_b64 s[2:3], s[0:1], s4 offset:0x400
	s_load_b64 s[12:13], s[0:1], s4 offset:0x0
	s_waitcnt lgkmcnt(0)
	s_add_u32 s14, s6, s8
	s_addc_u32 s15, s7, s9
	s_delay_alu instid0(SALU_CYCLE_1) | instskip(SKIP_2) | instid1(SALU_CYCLE_1)
	s_or_b64 s[4:5], s[2:3], s[14:15]
	s_and_b32 s5, s12, 31
	s_and_b32 s4, s4, 3
	s_or_b32 s16, s4, s5
	s_sub_u32 s4, s2, s8
	s_subb_u32 s5, s3, s9
	s_cmp_eq_u64 s[16:17], 0
	s_mov_b32 s2, -1
	s_cbranch_scc0 .LBB404_37
; %bb.1:
	v_dual_mov_b32 v2, 0 :: v_dual_lshlrev_b32 v1, 2, v0
	s_mov_b32 s3, exec_lo
	s_delay_alu instid0(VALU_DEP_1)
	v_cmpx_gt_i64_e64 s[4:5], v[1:2]
	s_cbranch_execz .LBB404_36
; %bb.2:
	s_load_b32 s2, s[0:1], 0xc5c
	v_lshlrev_b32_e32 v3, 5, v0
	s_lshl_b64 s[18:19], s[10:11], 19
	s_waitcnt lgkmcnt(0)
	s_and_b32 s2, s2, 0xffff
	s_delay_alu instid0(SALU_CYCLE_1) | instskip(SKIP_3) | instid1(VALU_DEP_1)
	s_lshl_b32 s16, s2, 2
	s_add_u32 s17, s12, s18
	s_addc_u32 s18, s13, s19
	v_add_co_u32 v3, s17, s17, v3
	v_add_co_ci_u32_e64 v4, null, s18, 0, s17
	s_mov_b32 s17, 0
	s_lshl_b32 s18, s2, 5
	s_branch .LBB404_5
.LBB404_3:                              ;   in Loop: Header=BB404_5 Depth=1
	s_or_b32 exec_lo, exec_lo, s20
.LBB404_4:                              ;   in Loop: Header=BB404_5 Depth=1
	s_delay_alu instid0(SALU_CYCLE_1)
	s_or_b32 exec_lo, exec_lo, s2
	v_add_co_u32 v11, vcc_lo, s14, v1
	v_add_co_ci_u32_e32 v12, vcc_lo, s15, v2, vcc_lo
	v_add_co_u32 v1, vcc_lo, s16, v1
	v_add_co_ci_u32_e32 v2, vcc_lo, 0, v2, vcc_lo
	v_lshlrev_b32_e32 v5, 16, v10
	v_lshlrev_b32_e32 v7, 8, v7
	v_and_b32_e32 v6, 0xff, v6
	s_delay_alu instid0(VALU_DEP_4) | instskip(SKIP_3) | instid1(VALU_DEP_3)
	v_cmp_le_i64_e32 vcc_lo, s[4:5], v[1:2]
	v_cmp_lt_u64_e64 s2, 0xffff, v[1:2]
	v_perm_b32 v5, v9, v5, 0x4020c0c
	v_and_b32_e32 v7, 0xff00, v7
	s_or_b32 s2, vcc_lo, s2
	v_add_co_u32 v3, vcc_lo, v3, s18
	s_delay_alu instid0(VALU_DEP_2) | instskip(SKIP_2) | instid1(SALU_CYCLE_1)
	v_or3_b32 v5, v5, v7, v6
	v_add_co_ci_u32_e32 v4, vcc_lo, 0, v4, vcc_lo
	s_and_b32 s2, exec_lo, s2
	s_or_b32 s17, s2, s17
	global_store_b32 v[11:12], v5, off
	s_and_not1_b32 exec_lo, exec_lo, s17
	s_cbranch_execz .LBB404_36
.LBB404_5:                              ; =>This Inner Loop Header: Depth=1
	s_clause 0x3
	global_load_b32 v10, v[3:4], off
	global_load_b32 v9, v[3:4], off offset:8
	global_load_b32 v8, v[3:4], off offset:16
	;; [unrolled: 1-line block ×3, first 2 shown]
	v_dual_mov_b32 v7, 0x80 :: v_dual_mov_b32 v6, 0x80
	s_mov_b32 s2, exec_lo
	s_waitcnt vmcnt(3)
	v_and_b32_e32 v11, 0x7fffffff, v10
	s_delay_alu instid0(VALU_DEP_1)
	v_cmpx_gt_u32_e32 0x47800000, v11
	s_cbranch_execz .LBB404_11
; %bb.6:                                ;   in Loop: Header=BB404_5 Depth=1
	v_cmp_lt_u32_e32 vcc_lo, 0x37ffffff, v11
	s_mov_b32 s19, 0
                                        ; implicit-def: $vgpr11
	s_and_saveexec_b32 s20, vcc_lo
	s_delay_alu instid0(SALU_CYCLE_1)
	s_xor_b32 s20, exec_lo, s20
	s_cbranch_execnz .LBB404_27
; %bb.7:                                ;   in Loop: Header=BB404_5 Depth=1
	s_or_saveexec_b32 s20, s20
                                        ; implicit-def: $sgpr21
	s_delay_alu instid0(SALU_CYCLE_1)
	s_xor_b32 exec_lo, exec_lo, s20
	s_cbranch_execnz .LBB404_28
.LBB404_8:                              ;   in Loop: Header=BB404_5 Depth=1
	s_or_b32 exec_lo, exec_lo, s20
	v_mov_b32_e32 v6, s21
	s_and_saveexec_b32 s20, s19
.LBB404_9:                              ;   in Loop: Header=BB404_5 Depth=1
	v_lshrrev_b32_e32 v6, 24, v10
	s_delay_alu instid0(VALU_DEP_1)
	v_and_or_b32 v6, 0x80, v6, v11
.LBB404_10:                             ;   in Loop: Header=BB404_5 Depth=1
	s_or_b32 exec_lo, exec_lo, s20
.LBB404_11:                             ;   in Loop: Header=BB404_5 Depth=1
	s_delay_alu instid0(SALU_CYCLE_1) | instskip(SKIP_3) | instid1(VALU_DEP_1)
	s_or_b32 exec_lo, exec_lo, s2
	s_waitcnt vmcnt(2)
	v_and_b32_e32 v10, 0x7fffffff, v9
	s_mov_b32 s2, exec_lo
	v_cmpx_gt_u32_e32 0x47800000, v10
	s_cbranch_execz .LBB404_17
; %bb.12:                               ;   in Loop: Header=BB404_5 Depth=1
	v_cmp_lt_u32_e32 vcc_lo, 0x37ffffff, v10
	s_mov_b32 s19, 0
                                        ; implicit-def: $vgpr10
	s_and_saveexec_b32 s20, vcc_lo
	s_delay_alu instid0(SALU_CYCLE_1)
	s_xor_b32 s20, exec_lo, s20
	s_cbranch_execnz .LBB404_29
; %bb.13:                               ;   in Loop: Header=BB404_5 Depth=1
	s_or_saveexec_b32 s20, s20
                                        ; implicit-def: $sgpr21
	s_delay_alu instid0(SALU_CYCLE_1)
	s_xor_b32 exec_lo, exec_lo, s20
	s_cbranch_execnz .LBB404_30
.LBB404_14:                             ;   in Loop: Header=BB404_5 Depth=1
	s_or_b32 exec_lo, exec_lo, s20
	v_mov_b32_e32 v7, s21
	s_and_saveexec_b32 s20, s19
.LBB404_15:                             ;   in Loop: Header=BB404_5 Depth=1
	v_lshrrev_b32_e32 v7, 24, v9
	s_delay_alu instid0(VALU_DEP_1)
	v_and_or_b32 v7, 0x80, v7, v10
.LBB404_16:                             ;   in Loop: Header=BB404_5 Depth=1
	s_or_b32 exec_lo, exec_lo, s20
.LBB404_17:                             ;   in Loop: Header=BB404_5 Depth=1
	s_delay_alu instid0(SALU_CYCLE_1) | instskip(SKIP_4) | instid1(VALU_DEP_2)
	s_or_b32 exec_lo, exec_lo, s2
	s_waitcnt vmcnt(1)
	v_and_b32_e32 v11, 0x7fffffff, v8
	v_dual_mov_b32 v9, 0x80 :: v_dual_mov_b32 v10, 0x80
	s_mov_b32 s2, exec_lo
	v_cmpx_gt_u32_e32 0x47800000, v11
	s_cbranch_execz .LBB404_23
; %bb.18:                               ;   in Loop: Header=BB404_5 Depth=1
	v_cmp_lt_u32_e32 vcc_lo, 0x37ffffff, v11
	s_mov_b32 s19, 0
                                        ; implicit-def: $vgpr11
	s_and_saveexec_b32 s20, vcc_lo
	s_delay_alu instid0(SALU_CYCLE_1)
	s_xor_b32 s20, exec_lo, s20
	s_cbranch_execnz .LBB404_31
; %bb.19:                               ;   in Loop: Header=BB404_5 Depth=1
	s_or_saveexec_b32 s20, s20
                                        ; implicit-def: $sgpr21
	s_delay_alu instid0(SALU_CYCLE_1)
	s_xor_b32 exec_lo, exec_lo, s20
	s_cbranch_execnz .LBB404_32
.LBB404_20:                             ;   in Loop: Header=BB404_5 Depth=1
	s_or_b32 exec_lo, exec_lo, s20
	v_mov_b32_e32 v10, s21
	s_and_saveexec_b32 s20, s19
.LBB404_21:                             ;   in Loop: Header=BB404_5 Depth=1
	v_lshrrev_b32_e32 v8, 24, v8
	s_delay_alu instid0(VALU_DEP_1)
	v_and_or_b32 v10, 0x80, v8, v11
.LBB404_22:                             ;   in Loop: Header=BB404_5 Depth=1
	s_or_b32 exec_lo, exec_lo, s20
.LBB404_23:                             ;   in Loop: Header=BB404_5 Depth=1
	s_delay_alu instid0(SALU_CYCLE_1) | instskip(SKIP_3) | instid1(VALU_DEP_1)
	s_or_b32 exec_lo, exec_lo, s2
	s_waitcnt vmcnt(0)
	v_and_b32_e32 v8, 0x7fffffff, v5
	s_mov_b32 s2, exec_lo
	v_cmpx_gt_u32_e32 0x47800000, v8
	s_cbranch_execz .LBB404_4
; %bb.24:                               ;   in Loop: Header=BB404_5 Depth=1
	v_cmp_lt_u32_e32 vcc_lo, 0x37ffffff, v8
	s_mov_b32 s19, 0
                                        ; implicit-def: $vgpr8
	s_and_saveexec_b32 s20, vcc_lo
	s_delay_alu instid0(SALU_CYCLE_1)
	s_xor_b32 s20, exec_lo, s20
	s_cbranch_execnz .LBB404_33
; %bb.25:                               ;   in Loop: Header=BB404_5 Depth=1
	s_or_saveexec_b32 s20, s20
                                        ; implicit-def: $sgpr21
	s_delay_alu instid0(SALU_CYCLE_1)
	s_xor_b32 exec_lo, exec_lo, s20
	s_cbranch_execnz .LBB404_34
.LBB404_26:                             ;   in Loop: Header=BB404_5 Depth=1
	s_or_b32 exec_lo, exec_lo, s20
	v_mov_b32_e32 v9, s21
	s_and_saveexec_b32 s20, s19
	s_cbranch_execz .LBB404_3
	s_branch .LBB404_35
.LBB404_27:                             ;   in Loop: Header=BB404_5 Depth=1
	v_bfe_u32 v6, v10, 21, 1
	s_mov_b32 s19, exec_lo
	s_delay_alu instid0(VALU_DEP_1) | instskip(NEXT) | instid1(VALU_DEP_1)
	v_add3_u32 v6, v10, v6, 0x88fffff
	v_lshrrev_b32_e32 v11, 21, v6
	s_or_saveexec_b32 s20, s20
                                        ; implicit-def: $sgpr21
	s_delay_alu instid0(SALU_CYCLE_1)
	s_xor_b32 exec_lo, exec_lo, s20
	s_cbranch_execz .LBB404_8
.LBB404_28:                             ;   in Loop: Header=BB404_5 Depth=1
	v_add_f32_e64 v6, 0x42800000, |v10|
	s_and_not1_b32 s19, s19, exec_lo
	s_mov_b32 s21, 0
	s_delay_alu instid0(VALU_DEP_1) | instskip(NEXT) | instid1(VALU_DEP_1)
	v_and_b32_e32 v11, 0xff, v6
	v_cmp_ne_u32_e32 vcc_lo, 0, v11
	s_and_b32 s22, vcc_lo, exec_lo
	s_delay_alu instid0(SALU_CYCLE_1)
	s_or_b32 s19, s19, s22
	s_or_b32 exec_lo, exec_lo, s20
	v_mov_b32_e32 v6, s21
	s_and_saveexec_b32 s20, s19
	s_cbranch_execnz .LBB404_9
	s_branch .LBB404_10
.LBB404_29:                             ;   in Loop: Header=BB404_5 Depth=1
	v_bfe_u32 v7, v9, 21, 1
	s_mov_b32 s19, exec_lo
	s_delay_alu instid0(VALU_DEP_1) | instskip(NEXT) | instid1(VALU_DEP_1)
	v_add3_u32 v7, v9, v7, 0x88fffff
	v_lshrrev_b32_e32 v10, 21, v7
	s_or_saveexec_b32 s20, s20
                                        ; implicit-def: $sgpr21
	s_delay_alu instid0(SALU_CYCLE_1)
	s_xor_b32 exec_lo, exec_lo, s20
	s_cbranch_execz .LBB404_14
.LBB404_30:                             ;   in Loop: Header=BB404_5 Depth=1
	v_add_f32_e64 v7, 0x42800000, |v9|
	s_and_not1_b32 s19, s19, exec_lo
	s_mov_b32 s21, 0
	s_delay_alu instid0(VALU_DEP_1) | instskip(NEXT) | instid1(VALU_DEP_1)
	v_and_b32_e32 v10, 0xff, v7
	v_cmp_ne_u32_e32 vcc_lo, 0, v10
	s_and_b32 s22, vcc_lo, exec_lo
	s_delay_alu instid0(SALU_CYCLE_1)
	s_or_b32 s19, s19, s22
	s_or_b32 exec_lo, exec_lo, s20
	v_mov_b32_e32 v7, s21
	s_and_saveexec_b32 s20, s19
	s_cbranch_execnz .LBB404_15
	s_branch .LBB404_16
.LBB404_31:                             ;   in Loop: Header=BB404_5 Depth=1
	v_bfe_u32 v10, v8, 21, 1
	s_mov_b32 s19, exec_lo
	s_delay_alu instid0(VALU_DEP_1) | instskip(NEXT) | instid1(VALU_DEP_1)
	v_add3_u32 v10, v8, v10, 0x88fffff
	v_lshrrev_b32_e32 v11, 21, v10
	s_or_saveexec_b32 s20, s20
                                        ; implicit-def: $sgpr21
	s_delay_alu instid0(SALU_CYCLE_1)
	s_xor_b32 exec_lo, exec_lo, s20
	s_cbranch_execz .LBB404_20
.LBB404_32:                             ;   in Loop: Header=BB404_5 Depth=1
	v_add_f32_e64 v10, 0x42800000, |v8|
	s_and_not1_b32 s19, s19, exec_lo
	s_mov_b32 s21, 0
	s_delay_alu instid0(VALU_DEP_1) | instskip(NEXT) | instid1(VALU_DEP_1)
	v_and_b32_e32 v11, 0xff, v10
	v_cmp_ne_u32_e32 vcc_lo, 0, v11
	s_and_b32 s22, vcc_lo, exec_lo
	s_delay_alu instid0(SALU_CYCLE_1)
	s_or_b32 s19, s19, s22
	s_or_b32 exec_lo, exec_lo, s20
	v_mov_b32_e32 v10, s21
	s_and_saveexec_b32 s20, s19
	s_cbranch_execnz .LBB404_21
	s_branch .LBB404_22
.LBB404_33:                             ;   in Loop: Header=BB404_5 Depth=1
	v_bfe_u32 v8, v5, 21, 1
	s_mov_b32 s19, exec_lo
	s_delay_alu instid0(VALU_DEP_1) | instskip(NEXT) | instid1(VALU_DEP_1)
	v_add3_u32 v8, v5, v8, 0x88fffff
	v_lshrrev_b32_e32 v8, 21, v8
	s_or_saveexec_b32 s20, s20
                                        ; implicit-def: $sgpr21
	s_delay_alu instid0(SALU_CYCLE_1)
	s_xor_b32 exec_lo, exec_lo, s20
	s_cbranch_execz .LBB404_26
.LBB404_34:                             ;   in Loop: Header=BB404_5 Depth=1
	v_add_f32_e64 v8, 0x42800000, |v5|
	s_and_not1_b32 s19, s19, exec_lo
	s_mov_b32 s21, 0
	s_delay_alu instid0(VALU_DEP_1) | instskip(NEXT) | instid1(VALU_DEP_1)
	v_and_b32_e32 v8, 0xff, v8
	v_cmp_ne_u32_e32 vcc_lo, 0, v8
	s_and_b32 s22, vcc_lo, exec_lo
	s_delay_alu instid0(SALU_CYCLE_1)
	s_or_b32 s19, s19, s22
	s_or_b32 exec_lo, exec_lo, s20
	v_mov_b32_e32 v9, s21
	s_and_saveexec_b32 s20, s19
	s_cbranch_execz .LBB404_3
.LBB404_35:                             ;   in Loop: Header=BB404_5 Depth=1
	v_lshrrev_b32_e32 v5, 24, v5
	s_delay_alu instid0(VALU_DEP_1)
	v_and_or_b32 v9, 0x80, v5, v8
	s_branch .LBB404_3
.LBB404_36:
	s_or_b32 exec_lo, exec_lo, s3
	s_mov_b32 s2, 0
.LBB404_37:
	s_delay_alu instid0(SALU_CYCLE_1)
	s_and_not1_b32 vcc_lo, exec_lo, s2
	s_cbranch_vccnz .LBB404_89
; %bb.38:
	v_cmp_lt_i64_e64 s2, s[4:5], 1
	s_delay_alu instid0(VALU_DEP_1)
	s_and_b32 vcc_lo, exec_lo, s2
	s_cbranch_vccnz .LBB404_89
; %bb.39:
	s_load_b32 s0, s[0:1], 0xc5c
	v_cmp_gt_u64_e64 s1, 0x10000, s[4:5]
	v_add_co_u32 v5, s2, s8, v0
	v_dual_mov_b32 v28, 0 :: v_dual_lshlrev_b32 v1, 3, v0
	v_add_co_ci_u32_e64 v6, null, s9, 0, s2
	s_delay_alu instid0(VALU_DEP_3) | instskip(SKIP_1) | instid1(VALU_DEP_3)
	v_add_co_u32 v14, vcc_lo, s6, v5
	v_dual_mov_b32 v13, 0 :: v_dual_mov_b32 v30, 0
	v_add_co_ci_u32_e32 v15, vcc_lo, s7, v6, vcc_lo
	v_mov_b32_e32 v29, 0
	s_waitcnt lgkmcnt(0)
	s_and_b32 s0, s0, 0xffff
	s_and_b32 s1, s1, exec_lo
	s_cselect_b32 s3, s5, 0
	s_cselect_b32 s2, s4, 0x10000
	s_lshl_b64 s[10:11], s[10:11], 19
	s_lshl_b32 s14, s0, 1
	s_lshl_b32 s1, s0, 2
	s_add_u32 s12, s12, s10
	s_mul_i32 s15, s0, 3
	s_addc_u32 s13, s13, s11
	s_lshl_b32 s10, s0, 5
	v_add_co_u32 v1, s16, s12, v1
	s_add_u32 s11, s8, s15
	v_add_co_ci_u32_e64 v2, null, s13, 0, s16
	s_addc_u32 s16, s9, 0
	s_add_u32 s11, s6, s11
	s_addc_u32 s16, s7, s16
	v_add_co_u32 v16, s11, s11, v0
	s_delay_alu instid0(VALU_DEP_1)
	v_add_co_ci_u32_e64 v17, null, s16, 0, s11
	v_add_co_u32 v18, s11, s15, v0
	v_add_co_u32 v20, s15, v0, s0
	v_add_co_ci_u32_e64 v19, null, 0, 0, s11
	s_lshl_b32 s11, s0, 4
	s_add_u32 s8, s8, s14
	s_addc_u32 s9, s9, 0
	s_add_u32 s8, s6, s8
	v_lshlrev_b32_e32 v3, 3, v20
	s_addc_u32 s9, s7, s9
	v_add_co_u32 v21, s8, s8, v0
	s_delay_alu instid0(VALU_DEP_1)
	v_add_co_ci_u32_e64 v22, null, s9, 0, s8
	v_add_co_u32 v24, s8, s14, v0
	s_add_u32 s6, s6, s0
	v_add_co_ci_u32_e64 v25, null, 0, 0, s8
	v_add_co_u32 v3, s8, s12, v3
	s_addc_u32 s7, s7, 0
	v_add_co_u32 v26, vcc_lo, s6, v5
	v_add_co_ci_u32_e64 v23, null, 0, 0, s15
	v_add_co_ci_u32_e64 v4, null, s13, 0, s8
	v_add_co_ci_u32_e32 v27, vcc_lo, s7, v6, vcc_lo
	s_mul_i32 s8, s0, 24
	s_mov_b64 s[6:7], 0
	s_branch .LBB404_41
.LBB404_40:                             ;   in Loop: Header=BB404_41 Depth=1
	s_or_b32 exec_lo, exec_lo, s0
	s_add_u32 s6, s6, s1
	s_addc_u32 s7, s7, 0
	v_add_co_u32 v1, vcc_lo, v1, s10
	v_cmp_ge_i64_e64 s0, s[6:7], s[4:5]
	v_cmp_lt_u64_e64 s9, 0xffff, s[6:7]
	v_add_co_ci_u32_e32 v2, vcc_lo, 0, v2, vcc_lo
	v_add_co_u32 v3, vcc_lo, v3, s10
	v_add_co_ci_u32_e32 v4, vcc_lo, 0, v4, vcc_lo
	s_delay_alu instid0(VALU_DEP_4) | instskip(NEXT) | instid1(SALU_CYCLE_1)
	s_or_b32 s0, s0, s9
	s_and_b32 vcc_lo, exec_lo, s0
	s_cbranch_vccnz .LBB404_89
.LBB404_41:                             ; =>This Inner Loop Header: Depth=1
	v_add_co_u32 v5, s0, v0, s6
	s_delay_alu instid0(VALU_DEP_1) | instskip(NEXT) | instid1(VALU_DEP_1)
	v_add_co_ci_u32_e64 v6, null, 0, s7, s0
	v_cmp_gt_i64_e32 vcc_lo, s[4:5], v[5:6]
	v_cmp_gt_u64_e64 s0, 0x10000, v[5:6]
	s_delay_alu instid0(VALU_DEP_1) | instskip(NEXT) | instid1(SALU_CYCLE_1)
	s_and_b32 s9, vcc_lo, s0
	s_and_saveexec_b32 s0, s9
	s_cbranch_execz .LBB404_43
; %bb.42:                               ;   in Loop: Header=BB404_41 Depth=1
	global_load_b32 v29, v[1:2], off
.LBB404_43:                             ;   in Loop: Header=BB404_41 Depth=1
	s_or_b32 exec_lo, exec_lo, s0
	v_add_co_u32 v7, vcc_lo, v20, s6
	v_add_co_ci_u32_e32 v8, vcc_lo, s7, v23, vcc_lo
	s_delay_alu instid0(VALU_DEP_1) | instskip(SKIP_1) | instid1(VALU_DEP_1)
	v_cmp_gt_i64_e32 vcc_lo, s[4:5], v[7:8]
	v_cmp_gt_u64_e64 s0, 0x10000, v[7:8]
	s_and_b32 s9, vcc_lo, s0
	s_delay_alu instid0(SALU_CYCLE_1)
	s_and_saveexec_b32 s0, s9
	s_cbranch_execz .LBB404_45
; %bb.44:                               ;   in Loop: Header=BB404_41 Depth=1
	global_load_b32 v28, v[3:4], off
.LBB404_45:                             ;   in Loop: Header=BB404_41 Depth=1
	s_or_b32 exec_lo, exec_lo, s0
	v_add_co_u32 v9, vcc_lo, v24, s6
	v_add_co_ci_u32_e32 v10, vcc_lo, s7, v25, vcc_lo
	s_delay_alu instid0(VALU_DEP_1) | instskip(SKIP_1) | instid1(VALU_DEP_1)
	v_cmp_gt_i64_e32 vcc_lo, s[4:5], v[9:10]
	v_cmp_gt_u64_e64 s0, 0x10000, v[9:10]
	s_and_b32 s9, vcc_lo, s0
	s_delay_alu instid0(SALU_CYCLE_1)
	s_and_saveexec_b32 s0, s9
	s_cbranch_execz .LBB404_47
; %bb.46:                               ;   in Loop: Header=BB404_41 Depth=1
	v_add_co_u32 v11, vcc_lo, v1, s11
	v_add_co_ci_u32_e32 v12, vcc_lo, 0, v2, vcc_lo
	global_load_b32 v30, v[11:12], off
.LBB404_47:                             ;   in Loop: Header=BB404_41 Depth=1
	s_or_b32 exec_lo, exec_lo, s0
	v_add_co_u32 v11, vcc_lo, v18, s6
	v_add_co_ci_u32_e32 v12, vcc_lo, s7, v19, vcc_lo
	s_delay_alu instid0(VALU_DEP_1) | instskip(SKIP_1) | instid1(VALU_DEP_1)
	v_cmp_gt_i64_e32 vcc_lo, s[4:5], v[11:12]
	v_cmp_gt_u64_e64 s0, 0x10000, v[11:12]
	s_and_b32 s9, vcc_lo, s0
	s_delay_alu instid0(SALU_CYCLE_1)
	s_and_saveexec_b32 s0, s9
	s_cbranch_execz .LBB404_49
; %bb.48:                               ;   in Loop: Header=BB404_41 Depth=1
	v_add_co_u32 v31, vcc_lo, v1, s8
	v_add_co_ci_u32_e32 v32, vcc_lo, 0, v2, vcc_lo
	global_load_b32 v13, v[31:32], off
.LBB404_49:                             ;   in Loop: Header=BB404_41 Depth=1
	s_or_b32 exec_lo, exec_lo, s0
	s_waitcnt vmcnt(0)
	v_and_b32_e32 v33, 0x7fffffff, v29
	v_dual_mov_b32 v31, 0x80 :: v_dual_mov_b32 v32, 0x80
	s_mov_b32 s0, exec_lo
	s_delay_alu instid0(VALU_DEP_2)
	v_cmpx_gt_u32_e32 0x47800000, v33
	s_cbranch_execz .LBB404_55
; %bb.50:                               ;   in Loop: Header=BB404_41 Depth=1
	v_cmp_lt_u32_e32 vcc_lo, 0x37ffffff, v33
	s_mov_b32 s9, 0
                                        ; implicit-def: $vgpr33
	s_and_saveexec_b32 s12, vcc_lo
	s_delay_alu instid0(SALU_CYCLE_1)
	s_xor_b32 s12, exec_lo, s12
	s_cbranch_execnz .LBB404_81
; %bb.51:                               ;   in Loop: Header=BB404_41 Depth=1
	s_or_saveexec_b32 s12, s12
                                        ; implicit-def: $sgpr13
	s_delay_alu instid0(SALU_CYCLE_1)
	s_xor_b32 exec_lo, exec_lo, s12
	s_cbranch_execnz .LBB404_82
.LBB404_52:                             ;   in Loop: Header=BB404_41 Depth=1
	s_or_b32 exec_lo, exec_lo, s12
	v_mov_b32_e32 v32, s13
	s_and_saveexec_b32 s12, s9
.LBB404_53:                             ;   in Loop: Header=BB404_41 Depth=1
	v_lshrrev_b32_e32 v32, 24, v29
	s_delay_alu instid0(VALU_DEP_1)
	v_and_or_b32 v32, 0x80, v32, v33
.LBB404_54:                             ;   in Loop: Header=BB404_41 Depth=1
	s_or_b32 exec_lo, exec_lo, s12
.LBB404_55:                             ;   in Loop: Header=BB404_41 Depth=1
	s_delay_alu instid0(SALU_CYCLE_1) | instskip(SKIP_2) | instid1(VALU_DEP_1)
	s_or_b32 exec_lo, exec_lo, s0
	v_and_b32_e32 v33, 0x7fffffff, v28
	s_mov_b32 s0, exec_lo
	v_cmpx_gt_u32_e32 0x47800000, v33
	s_cbranch_execz .LBB404_61
; %bb.56:                               ;   in Loop: Header=BB404_41 Depth=1
	v_cmp_lt_u32_e32 vcc_lo, 0x37ffffff, v33
	s_mov_b32 s9, 0
                                        ; implicit-def: $vgpr33
	s_and_saveexec_b32 s12, vcc_lo
	s_delay_alu instid0(SALU_CYCLE_1)
	s_xor_b32 s12, exec_lo, s12
	s_cbranch_execnz .LBB404_83
; %bb.57:                               ;   in Loop: Header=BB404_41 Depth=1
	s_or_saveexec_b32 s12, s12
                                        ; implicit-def: $sgpr13
	s_delay_alu instid0(SALU_CYCLE_1)
	s_xor_b32 exec_lo, exec_lo, s12
	s_cbranch_execnz .LBB404_84
.LBB404_58:                             ;   in Loop: Header=BB404_41 Depth=1
	s_or_b32 exec_lo, exec_lo, s12
	v_mov_b32_e32 v31, s13
	s_and_saveexec_b32 s12, s9
.LBB404_59:                             ;   in Loop: Header=BB404_41 Depth=1
	v_lshrrev_b32_e32 v31, 24, v28
	s_delay_alu instid0(VALU_DEP_1)
	v_and_or_b32 v31, 0x80, v31, v33
.LBB404_60:                             ;   in Loop: Header=BB404_41 Depth=1
	s_or_b32 exec_lo, exec_lo, s12
.LBB404_61:                             ;   in Loop: Header=BB404_41 Depth=1
	s_delay_alu instid0(SALU_CYCLE_1) | instskip(SKIP_3) | instid1(VALU_DEP_2)
	s_or_b32 exec_lo, exec_lo, s0
	v_and_b32_e32 v35, 0x7fffffff, v30
	v_dual_mov_b32 v33, 0x80 :: v_dual_mov_b32 v34, 0x80
	s_mov_b32 s0, exec_lo
	v_cmpx_gt_u32_e32 0x47800000, v35
	s_cbranch_execz .LBB404_67
; %bb.62:                               ;   in Loop: Header=BB404_41 Depth=1
	v_cmp_lt_u32_e32 vcc_lo, 0x37ffffff, v35
	s_mov_b32 s9, 0
                                        ; implicit-def: $vgpr35
	s_and_saveexec_b32 s12, vcc_lo
	s_delay_alu instid0(SALU_CYCLE_1)
	s_xor_b32 s12, exec_lo, s12
	s_cbranch_execnz .LBB404_85
; %bb.63:                               ;   in Loop: Header=BB404_41 Depth=1
	s_or_saveexec_b32 s12, s12
                                        ; implicit-def: $sgpr13
	s_delay_alu instid0(SALU_CYCLE_1)
	s_xor_b32 exec_lo, exec_lo, s12
	s_cbranch_execnz .LBB404_86
.LBB404_64:                             ;   in Loop: Header=BB404_41 Depth=1
	s_or_b32 exec_lo, exec_lo, s12
	v_mov_b32_e32 v34, s13
	s_and_saveexec_b32 s12, s9
.LBB404_65:                             ;   in Loop: Header=BB404_41 Depth=1
	v_lshrrev_b32_e32 v34, 24, v30
	s_delay_alu instid0(VALU_DEP_1)
	v_and_or_b32 v34, 0x80, v34, v35
.LBB404_66:                             ;   in Loop: Header=BB404_41 Depth=1
	s_or_b32 exec_lo, exec_lo, s12
.LBB404_67:                             ;   in Loop: Header=BB404_41 Depth=1
	s_delay_alu instid0(SALU_CYCLE_1) | instskip(SKIP_2) | instid1(VALU_DEP_1)
	s_or_b32 exec_lo, exec_lo, s0
	v_and_b32_e32 v35, 0x7fffffff, v13
	s_mov_b32 s0, exec_lo
	v_cmpx_gt_u32_e32 0x47800000, v35
	s_cbranch_execz .LBB404_73
; %bb.68:                               ;   in Loop: Header=BB404_41 Depth=1
	v_cmp_lt_u32_e32 vcc_lo, 0x37ffffff, v35
	s_mov_b32 s9, 0
                                        ; implicit-def: $vgpr35
	s_and_saveexec_b32 s12, vcc_lo
	s_delay_alu instid0(SALU_CYCLE_1)
	s_xor_b32 s12, exec_lo, s12
	s_cbranch_execnz .LBB404_87
; %bb.69:                               ;   in Loop: Header=BB404_41 Depth=1
	s_or_saveexec_b32 s12, s12
                                        ; implicit-def: $sgpr13
	s_delay_alu instid0(SALU_CYCLE_1)
	s_xor_b32 exec_lo, exec_lo, s12
	s_cbranch_execnz .LBB404_88
.LBB404_70:                             ;   in Loop: Header=BB404_41 Depth=1
	s_or_b32 exec_lo, exec_lo, s12
	v_mov_b32_e32 v33, s13
	s_and_saveexec_b32 s12, s9
.LBB404_71:                             ;   in Loop: Header=BB404_41 Depth=1
	v_lshrrev_b32_e32 v33, 24, v13
	s_delay_alu instid0(VALU_DEP_1)
	v_and_or_b32 v33, 0x80, v33, v35
.LBB404_72:                             ;   in Loop: Header=BB404_41 Depth=1
	s_or_b32 exec_lo, exec_lo, s12
.LBB404_73:                             ;   in Loop: Header=BB404_41 Depth=1
	s_delay_alu instid0(SALU_CYCLE_1) | instskip(NEXT) | instid1(SALU_CYCLE_1)
	s_or_b32 exec_lo, exec_lo, s0
	s_mov_b32 s0, exec_lo
	v_cmpx_gt_u64_e64 s[2:3], v[5:6]
	s_xor_b32 s0, exec_lo, s0
	s_cbranch_execnz .LBB404_77
; %bb.74:                               ;   in Loop: Header=BB404_41 Depth=1
	s_or_b32 exec_lo, exec_lo, s0
	s_delay_alu instid0(SALU_CYCLE_1)
	s_mov_b32 s0, exec_lo
	v_cmpx_gt_u64_e64 s[2:3], v[7:8]
	s_cbranch_execnz .LBB404_78
.LBB404_75:                             ;   in Loop: Header=BB404_41 Depth=1
	s_or_b32 exec_lo, exec_lo, s0
	s_delay_alu instid0(SALU_CYCLE_1)
	s_mov_b32 s0, exec_lo
	v_cmpx_gt_u64_e64 s[2:3], v[9:10]
	s_cbranch_execnz .LBB404_79
.LBB404_76:                             ;   in Loop: Header=BB404_41 Depth=1
	s_or_b32 exec_lo, exec_lo, s0
	s_delay_alu instid0(SALU_CYCLE_1)
	s_mov_b32 s0, exec_lo
	v_cmpx_gt_u64_e64 s[2:3], v[11:12]
	s_cbranch_execz .LBB404_40
	s_branch .LBB404_80
.LBB404_77:                             ;   in Loop: Header=BB404_41 Depth=1
	v_add_co_u32 v5, vcc_lo, v14, s6
	v_add_co_ci_u32_e32 v6, vcc_lo, s7, v15, vcc_lo
	global_store_b8 v[5:6], v32, off
	s_or_b32 exec_lo, exec_lo, s0
	s_delay_alu instid0(SALU_CYCLE_1)
	s_mov_b32 s0, exec_lo
	v_cmpx_gt_u64_e64 s[2:3], v[7:8]
	s_cbranch_execz .LBB404_75
.LBB404_78:                             ;   in Loop: Header=BB404_41 Depth=1
	v_add_co_u32 v5, vcc_lo, v26, s6
	v_add_co_ci_u32_e32 v6, vcc_lo, s7, v27, vcc_lo
	global_store_b8 v[5:6], v31, off
	s_or_b32 exec_lo, exec_lo, s0
	s_delay_alu instid0(SALU_CYCLE_1)
	s_mov_b32 s0, exec_lo
	v_cmpx_gt_u64_e64 s[2:3], v[9:10]
	s_cbranch_execz .LBB404_76
.LBB404_79:                             ;   in Loop: Header=BB404_41 Depth=1
	v_add_co_u32 v5, vcc_lo, v21, s6
	v_add_co_ci_u32_e32 v6, vcc_lo, s7, v22, vcc_lo
	global_store_b8 v[5:6], v34, off
	s_or_b32 exec_lo, exec_lo, s0
	s_delay_alu instid0(SALU_CYCLE_1)
	s_mov_b32 s0, exec_lo
	v_cmpx_gt_u64_e64 s[2:3], v[11:12]
	s_cbranch_execz .LBB404_40
.LBB404_80:                             ;   in Loop: Header=BB404_41 Depth=1
	v_add_co_u32 v5, vcc_lo, v16, s6
	v_add_co_ci_u32_e32 v6, vcc_lo, s7, v17, vcc_lo
	global_store_b8 v[5:6], v33, off
	s_branch .LBB404_40
.LBB404_81:                             ;   in Loop: Header=BB404_41 Depth=1
	v_bfe_u32 v32, v29, 21, 1
	s_mov_b32 s9, exec_lo
	s_delay_alu instid0(VALU_DEP_1) | instskip(NEXT) | instid1(VALU_DEP_1)
	v_add3_u32 v32, v29, v32, 0x88fffff
	v_lshrrev_b32_e32 v33, 21, v32
	s_or_saveexec_b32 s12, s12
                                        ; implicit-def: $sgpr13
	s_delay_alu instid0(SALU_CYCLE_1)
	s_xor_b32 exec_lo, exec_lo, s12
	s_cbranch_execz .LBB404_52
.LBB404_82:                             ;   in Loop: Header=BB404_41 Depth=1
	v_add_f32_e64 v32, 0x42800000, |v29|
	s_and_not1_b32 s9, s9, exec_lo
	s_mov_b32 s13, 0
	s_delay_alu instid0(VALU_DEP_1) | instskip(NEXT) | instid1(VALU_DEP_1)
	v_and_b32_e32 v33, 0xff, v32
	v_cmp_ne_u32_e32 vcc_lo, 0, v33
	s_and_b32 s14, vcc_lo, exec_lo
	s_delay_alu instid0(SALU_CYCLE_1)
	s_or_b32 s9, s9, s14
	s_or_b32 exec_lo, exec_lo, s12
	v_mov_b32_e32 v32, s13
	s_and_saveexec_b32 s12, s9
	s_cbranch_execnz .LBB404_53
	s_branch .LBB404_54
.LBB404_83:                             ;   in Loop: Header=BB404_41 Depth=1
	v_bfe_u32 v31, v28, 21, 1
	s_mov_b32 s9, exec_lo
	s_delay_alu instid0(VALU_DEP_1) | instskip(NEXT) | instid1(VALU_DEP_1)
	v_add3_u32 v31, v28, v31, 0x88fffff
	v_lshrrev_b32_e32 v33, 21, v31
	s_or_saveexec_b32 s12, s12
                                        ; implicit-def: $sgpr13
	s_delay_alu instid0(SALU_CYCLE_1)
	s_xor_b32 exec_lo, exec_lo, s12
	s_cbranch_execz .LBB404_58
.LBB404_84:                             ;   in Loop: Header=BB404_41 Depth=1
	v_add_f32_e64 v31, 0x42800000, |v28|
	s_and_not1_b32 s9, s9, exec_lo
	s_mov_b32 s13, 0
	s_delay_alu instid0(VALU_DEP_1) | instskip(NEXT) | instid1(VALU_DEP_1)
	v_and_b32_e32 v33, 0xff, v31
	v_cmp_ne_u32_e32 vcc_lo, 0, v33
	s_and_b32 s14, vcc_lo, exec_lo
	s_delay_alu instid0(SALU_CYCLE_1)
	s_or_b32 s9, s9, s14
	s_or_b32 exec_lo, exec_lo, s12
	v_mov_b32_e32 v31, s13
	s_and_saveexec_b32 s12, s9
	s_cbranch_execnz .LBB404_59
	s_branch .LBB404_60
.LBB404_85:                             ;   in Loop: Header=BB404_41 Depth=1
	v_bfe_u32 v34, v30, 21, 1
	s_mov_b32 s9, exec_lo
	s_delay_alu instid0(VALU_DEP_1) | instskip(NEXT) | instid1(VALU_DEP_1)
	v_add3_u32 v34, v30, v34, 0x88fffff
	v_lshrrev_b32_e32 v35, 21, v34
	s_or_saveexec_b32 s12, s12
                                        ; implicit-def: $sgpr13
	s_delay_alu instid0(SALU_CYCLE_1)
	s_xor_b32 exec_lo, exec_lo, s12
	s_cbranch_execz .LBB404_64
.LBB404_86:                             ;   in Loop: Header=BB404_41 Depth=1
	v_add_f32_e64 v34, 0x42800000, |v30|
	s_and_not1_b32 s9, s9, exec_lo
	s_mov_b32 s13, 0
	s_delay_alu instid0(VALU_DEP_1) | instskip(NEXT) | instid1(VALU_DEP_1)
	v_and_b32_e32 v35, 0xff, v34
	v_cmp_ne_u32_e32 vcc_lo, 0, v35
	s_and_b32 s14, vcc_lo, exec_lo
	s_delay_alu instid0(SALU_CYCLE_1)
	s_or_b32 s9, s9, s14
	s_or_b32 exec_lo, exec_lo, s12
	v_mov_b32_e32 v34, s13
	s_and_saveexec_b32 s12, s9
	s_cbranch_execnz .LBB404_65
	s_branch .LBB404_66
.LBB404_87:                             ;   in Loop: Header=BB404_41 Depth=1
	v_bfe_u32 v33, v13, 21, 1
	s_mov_b32 s9, exec_lo
	s_delay_alu instid0(VALU_DEP_1) | instskip(NEXT) | instid1(VALU_DEP_1)
	v_add3_u32 v33, v13, v33, 0x88fffff
	v_lshrrev_b32_e32 v35, 21, v33
	s_or_saveexec_b32 s12, s12
                                        ; implicit-def: $sgpr13
	s_delay_alu instid0(SALU_CYCLE_1)
	s_xor_b32 exec_lo, exec_lo, s12
	s_cbranch_execz .LBB404_70
.LBB404_88:                             ;   in Loop: Header=BB404_41 Depth=1
	v_add_f32_e64 v33, 0x42800000, |v13|
	s_and_not1_b32 s9, s9, exec_lo
	s_mov_b32 s13, 0
	s_delay_alu instid0(VALU_DEP_1) | instskip(NEXT) | instid1(VALU_DEP_1)
	v_and_b32_e32 v35, 0xff, v33
	v_cmp_ne_u32_e32 vcc_lo, 0, v35
	s_and_b32 s14, vcc_lo, exec_lo
	s_delay_alu instid0(SALU_CYCLE_1)
	s_or_b32 s9, s9, s14
	s_or_b32 exec_lo, exec_lo, s12
	v_mov_b32_e32 v33, s13
	s_and_saveexec_b32 s12, s9
	s_cbranch_execnz .LBB404_71
	s_branch .LBB404_72
.LBB404_89:
	s_nop 0
	s_sendmsg sendmsg(MSG_DEALLOC_VGPRS)
	s_endpgm
	.section	.rodata,"a",@progbits
	.p2align	6, 0x0
	.amdhsa_kernel _ZN2at6native12_GLOBAL__N_125multi_tensor_apply_kernelINS1_18TensorListMetadataILi2EEENS1_11CopyFunctorIN3c1015Float8_e5m2fnuzENS6_7complexIfEELi2ELi1ELi1EEEJNS0_4CopyIS7_S9_EEEEEvT_T0_DpT1_
		.amdhsa_group_segment_fixed_size 0
		.amdhsa_private_segment_fixed_size 0
		.amdhsa_kernarg_size 3408
		.amdhsa_user_sgpr_count 15
		.amdhsa_user_sgpr_dispatch_ptr 0
		.amdhsa_user_sgpr_queue_ptr 0
		.amdhsa_user_sgpr_kernarg_segment_ptr 1
		.amdhsa_user_sgpr_dispatch_id 0
		.amdhsa_user_sgpr_private_segment_size 0
		.amdhsa_wavefront_size32 1
		.amdhsa_uses_dynamic_stack 0
		.amdhsa_enable_private_segment 0
		.amdhsa_system_sgpr_workgroup_id_x 1
		.amdhsa_system_sgpr_workgroup_id_y 0
		.amdhsa_system_sgpr_workgroup_id_z 0
		.amdhsa_system_sgpr_workgroup_info 0
		.amdhsa_system_vgpr_workitem_id 0
		.amdhsa_next_free_vgpr 36
		.amdhsa_next_free_sgpr 23
		.amdhsa_reserve_vcc 1
		.amdhsa_float_round_mode_32 0
		.amdhsa_float_round_mode_16_64 0
		.amdhsa_float_denorm_mode_32 3
		.amdhsa_float_denorm_mode_16_64 3
		.amdhsa_dx10_clamp 1
		.amdhsa_ieee_mode 1
		.amdhsa_fp16_overflow 0
		.amdhsa_workgroup_processor_mode 1
		.amdhsa_memory_ordered 1
		.amdhsa_forward_progress 0
		.amdhsa_shared_vgpr_count 0
		.amdhsa_exception_fp_ieee_invalid_op 0
		.amdhsa_exception_fp_denorm_src 0
		.amdhsa_exception_fp_ieee_div_zero 0
		.amdhsa_exception_fp_ieee_overflow 0
		.amdhsa_exception_fp_ieee_underflow 0
		.amdhsa_exception_fp_ieee_inexact 0
		.amdhsa_exception_int_div_zero 0
	.end_amdhsa_kernel
	.section	.text._ZN2at6native12_GLOBAL__N_125multi_tensor_apply_kernelINS1_18TensorListMetadataILi2EEENS1_11CopyFunctorIN3c1015Float8_e5m2fnuzENS6_7complexIfEELi2ELi1ELi1EEEJNS0_4CopyIS7_S9_EEEEEvT_T0_DpT1_,"axG",@progbits,_ZN2at6native12_GLOBAL__N_125multi_tensor_apply_kernelINS1_18TensorListMetadataILi2EEENS1_11CopyFunctorIN3c1015Float8_e5m2fnuzENS6_7complexIfEELi2ELi1ELi1EEEJNS0_4CopyIS7_S9_EEEEEvT_T0_DpT1_,comdat
.Lfunc_end404:
	.size	_ZN2at6native12_GLOBAL__N_125multi_tensor_apply_kernelINS1_18TensorListMetadataILi2EEENS1_11CopyFunctorIN3c1015Float8_e5m2fnuzENS6_7complexIfEELi2ELi1ELi1EEEJNS0_4CopyIS7_S9_EEEEEvT_T0_DpT1_, .Lfunc_end404-_ZN2at6native12_GLOBAL__N_125multi_tensor_apply_kernelINS1_18TensorListMetadataILi2EEENS1_11CopyFunctorIN3c1015Float8_e5m2fnuzENS6_7complexIfEELi2ELi1ELi1EEEJNS0_4CopyIS7_S9_EEEEEvT_T0_DpT1_
                                        ; -- End function
	.section	.AMDGPU.csdata,"",@progbits
; Kernel info:
; codeLenInByte = 3296
; NumSgprs: 25
; NumVgprs: 36
; ScratchSize: 0
; MemoryBound: 0
; FloatMode: 240
; IeeeMode: 1
; LDSByteSize: 0 bytes/workgroup (compile time only)
; SGPRBlocks: 3
; VGPRBlocks: 4
; NumSGPRsForWavesPerEU: 25
; NumVGPRsForWavesPerEU: 36
; Occupancy: 16
; WaveLimiterHint : 0
; COMPUTE_PGM_RSRC2:SCRATCH_EN: 0
; COMPUTE_PGM_RSRC2:USER_SGPR: 15
; COMPUTE_PGM_RSRC2:TRAP_HANDLER: 0
; COMPUTE_PGM_RSRC2:TGID_X_EN: 1
; COMPUTE_PGM_RSRC2:TGID_Y_EN: 0
; COMPUTE_PGM_RSRC2:TGID_Z_EN: 0
; COMPUTE_PGM_RSRC2:TIDIG_COMP_CNT: 0
	.section	.text._ZN2at6native12_GLOBAL__N_125multi_tensor_apply_kernelINS1_18TensorListMetadataILi2EEENS1_11CopyFunctorIN3c1015Float8_e5m2fnuzENS6_4HalfELi2ELi1ELi1EEEJNS0_4CopyIS7_S8_EEEEEvT_T0_DpT1_,"axG",@progbits,_ZN2at6native12_GLOBAL__N_125multi_tensor_apply_kernelINS1_18TensorListMetadataILi2EEENS1_11CopyFunctorIN3c1015Float8_e5m2fnuzENS6_4HalfELi2ELi1ELi1EEEJNS0_4CopyIS7_S8_EEEEEvT_T0_DpT1_,comdat
	.globl	_ZN2at6native12_GLOBAL__N_125multi_tensor_apply_kernelINS1_18TensorListMetadataILi2EEENS1_11CopyFunctorIN3c1015Float8_e5m2fnuzENS6_4HalfELi2ELi1ELi1EEEJNS0_4CopyIS7_S8_EEEEEvT_T0_DpT1_ ; -- Begin function _ZN2at6native12_GLOBAL__N_125multi_tensor_apply_kernelINS1_18TensorListMetadataILi2EEENS1_11CopyFunctorIN3c1015Float8_e5m2fnuzENS6_4HalfELi2ELi1ELi1EEEJNS0_4CopyIS7_S8_EEEEEvT_T0_DpT1_
	.p2align	8
	.type	_ZN2at6native12_GLOBAL__N_125multi_tensor_apply_kernelINS1_18TensorListMetadataILi2EEENS1_11CopyFunctorIN3c1015Float8_e5m2fnuzENS6_4HalfELi2ELi1ELi1EEEJNS0_4CopyIS7_S8_EEEEEvT_T0_DpT1_,@function
_ZN2at6native12_GLOBAL__N_125multi_tensor_apply_kernelINS1_18TensorListMetadataILi2EEENS1_11CopyFunctorIN3c1015Float8_e5m2fnuzENS6_4HalfELi2ELi1ELi1EEEJNS0_4CopyIS7_S8_EEEEEvT_T0_DpT1_: ; @_ZN2at6native12_GLOBAL__N_125multi_tensor_apply_kernelINS1_18TensorListMetadataILi2EEENS1_11CopyFunctorIN3c1015Float8_e5m2fnuzENS6_4HalfELi2ELi1ELi1EEEJNS0_4CopyIS7_S8_EEEEEvT_T0_DpT1_
; %bb.0:
	v_mov_b32_e32 v1, s15
	s_add_u32 s2, s0, s15
	s_mul_i32 s4, s15, 3
	s_addc_u32 s3, s1, 0
	s_mul_hi_u32 s5, s15, 3
	global_load_u8 v1, v1, s[0:1] offset:1536
	s_add_u32 s2, s2, s4
	s_addc_u32 s3, s3, s5
	s_mov_b32 s17, 0
	s_load_b32 s10, s[2:3], 0x740
	s_waitcnt lgkmcnt(0)
	s_ashr_i32 s11, s10, 31
	s_delay_alu instid0(SALU_CYCLE_1) | instskip(SKIP_2) | instid1(VALU_DEP_1)
	s_lshl_b64 s[8:9], s[10:11], 16
	s_waitcnt vmcnt(0)
	v_readfirstlane_b32 s4, v1
	s_lshl_b32 s4, s4, 3
	s_clause 0x2
	s_load_b64 s[6:7], s[0:1], s4 offset:0x200
	s_load_b64 s[2:3], s[0:1], s4 offset:0x400
	;; [unrolled: 1-line block ×3, first 2 shown]
	s_waitcnt lgkmcnt(0)
	s_add_u32 s14, s6, s8
	s_addc_u32 s15, s7, s9
	s_delay_alu instid0(SALU_CYCLE_1) | instskip(SKIP_2) | instid1(SALU_CYCLE_1)
	s_or_b64 s[4:5], s[2:3], s[14:15]
	s_and_b32 s5, s12, 7
	s_and_b32 s4, s4, 3
	s_or_b32 s16, s4, s5
	s_sub_u32 s4, s2, s8
	s_subb_u32 s5, s3, s9
	s_cmp_eq_u64 s[16:17], 0
	s_mov_b32 s2, -1
	s_cbranch_scc0 .LBB405_37
; %bb.1:
	v_dual_mov_b32 v2, 0 :: v_dual_lshlrev_b32 v1, 2, v0
	s_mov_b32 s3, exec_lo
	s_delay_alu instid0(VALU_DEP_1)
	v_cmpx_gt_i64_e64 s[4:5], v[1:2]
	s_cbranch_execz .LBB405_36
; %bb.2:
	s_load_b32 s2, s[0:1], 0xc5c
	v_lshlrev_b32_e32 v3, 3, v0
	s_lshl_b64 s[18:19], s[10:11], 17
	s_waitcnt lgkmcnt(0)
	s_and_b32 s2, s2, 0xffff
	s_delay_alu instid0(SALU_CYCLE_1) | instskip(SKIP_3) | instid1(VALU_DEP_1)
	s_lshl_b32 s16, s2, 2
	s_add_u32 s17, s12, s18
	s_addc_u32 s18, s13, s19
	v_add_co_u32 v3, s17, s17, v3
	v_add_co_ci_u32_e64 v4, null, s18, 0, s17
	s_mov_b32 s17, 0
	s_lshl_b32 s18, s2, 3
	s_branch .LBB405_5
.LBB405_3:                              ;   in Loop: Header=BB405_5 Depth=1
	s_or_b32 exec_lo, exec_lo, s20
.LBB405_4:                              ;   in Loop: Header=BB405_5 Depth=1
	s_delay_alu instid0(SALU_CYCLE_1)
	s_or_b32 exec_lo, exec_lo, s2
	v_add_co_u32 v10, vcc_lo, s14, v1
	v_add_co_ci_u32_e32 v11, vcc_lo, s15, v2, vcc_lo
	v_add_co_u32 v1, vcc_lo, s16, v1
	v_add_co_ci_u32_e32 v2, vcc_lo, 0, v2, vcc_lo
	v_lshlrev_b32_e32 v6, 16, v9
	v_lshlrev_b32_e32 v8, 8, v8
	v_and_b32_e32 v7, 0xff, v7
	s_delay_alu instid0(VALU_DEP_4) | instskip(SKIP_3) | instid1(VALU_DEP_3)
	v_cmp_le_i64_e32 vcc_lo, s[4:5], v[1:2]
	v_cmp_lt_u64_e64 s2, 0xffff, v[1:2]
	v_perm_b32 v5, v5, v6, 0x4020c0c
	v_and_b32_e32 v6, 0xff00, v8
	s_or_b32 s2, vcc_lo, s2
	v_add_co_u32 v3, vcc_lo, v3, s18
	s_delay_alu instid0(VALU_DEP_2) | instskip(SKIP_2) | instid1(SALU_CYCLE_1)
	v_or3_b32 v5, v5, v6, v7
	v_add_co_ci_u32_e32 v4, vcc_lo, 0, v4, vcc_lo
	s_and_b32 s2, exec_lo, s2
	s_or_b32 s17, s2, s17
	global_store_b32 v[10:11], v5, off
	s_and_not1_b32 exec_lo, exec_lo, s17
	s_cbranch_execz .LBB405_36
.LBB405_5:                              ; =>This Inner Loop Header: Depth=1
	global_load_b64 v[5:6], v[3:4], off
	v_dual_mov_b32 v8, 0x80 :: v_dual_mov_b32 v7, 0x80
	s_mov_b32 s2, exec_lo
	s_waitcnt vmcnt(0)
	v_cvt_f32_f16_e32 v9, v5
	s_delay_alu instid0(VALU_DEP_1) | instskip(NEXT) | instid1(VALU_DEP_1)
	v_and_b32_e32 v10, 0x7fffffff, v9
	v_cmpx_gt_u32_e32 0x47800000, v10
	s_cbranch_execz .LBB405_11
; %bb.6:                                ;   in Loop: Header=BB405_5 Depth=1
	v_cmp_lt_u32_e32 vcc_lo, 0x37ffffff, v10
	s_mov_b32 s19, 0
                                        ; implicit-def: $vgpr10
	s_and_saveexec_b32 s20, vcc_lo
	s_delay_alu instid0(SALU_CYCLE_1)
	s_xor_b32 s20, exec_lo, s20
	s_cbranch_execnz .LBB405_27
; %bb.7:                                ;   in Loop: Header=BB405_5 Depth=1
	s_or_saveexec_b32 s20, s20
                                        ; implicit-def: $sgpr21
	s_delay_alu instid0(SALU_CYCLE_1)
	s_xor_b32 exec_lo, exec_lo, s20
	s_cbranch_execnz .LBB405_28
.LBB405_8:                              ;   in Loop: Header=BB405_5 Depth=1
	s_or_b32 exec_lo, exec_lo, s20
	v_mov_b32_e32 v7, s21
	s_and_saveexec_b32 s20, s19
.LBB405_9:                              ;   in Loop: Header=BB405_5 Depth=1
	v_lshrrev_b32_e32 v7, 24, v9
	s_delay_alu instid0(VALU_DEP_1)
	v_and_or_b32 v7, 0x80, v7, v10
.LBB405_10:                             ;   in Loop: Header=BB405_5 Depth=1
	s_or_b32 exec_lo, exec_lo, s20
.LBB405_11:                             ;   in Loop: Header=BB405_5 Depth=1
	s_delay_alu instid0(SALU_CYCLE_1) | instskip(SKIP_2) | instid1(VALU_DEP_1)
	s_or_b32 exec_lo, exec_lo, s2
	v_lshrrev_b32_e32 v5, 16, v5
	s_mov_b32 s2, exec_lo
	v_cvt_f32_f16_e32 v5, v5
	s_delay_alu instid0(VALU_DEP_1) | instskip(NEXT) | instid1(VALU_DEP_1)
	v_and_b32_e32 v9, 0x7fffffff, v5
	v_cmpx_gt_u32_e32 0x47800000, v9
	s_cbranch_execz .LBB405_17
; %bb.12:                               ;   in Loop: Header=BB405_5 Depth=1
	v_cmp_lt_u32_e32 vcc_lo, 0x37ffffff, v9
	s_mov_b32 s19, 0
                                        ; implicit-def: $vgpr9
	s_and_saveexec_b32 s20, vcc_lo
	s_delay_alu instid0(SALU_CYCLE_1)
	s_xor_b32 s20, exec_lo, s20
	s_cbranch_execnz .LBB405_29
; %bb.13:                               ;   in Loop: Header=BB405_5 Depth=1
	s_or_saveexec_b32 s20, s20
                                        ; implicit-def: $sgpr21
	s_delay_alu instid0(SALU_CYCLE_1)
	s_xor_b32 exec_lo, exec_lo, s20
	s_cbranch_execnz .LBB405_30
.LBB405_14:                             ;   in Loop: Header=BB405_5 Depth=1
	s_or_b32 exec_lo, exec_lo, s20
	v_mov_b32_e32 v8, s21
	s_and_saveexec_b32 s20, s19
.LBB405_15:                             ;   in Loop: Header=BB405_5 Depth=1
	v_lshrrev_b32_e32 v5, 24, v5
	s_delay_alu instid0(VALU_DEP_1)
	v_and_or_b32 v8, 0x80, v5, v9
.LBB405_16:                             ;   in Loop: Header=BB405_5 Depth=1
	s_or_b32 exec_lo, exec_lo, s20
.LBB405_17:                             ;   in Loop: Header=BB405_5 Depth=1
	s_delay_alu instid0(SALU_CYCLE_1) | instskip(SKIP_4) | instid1(VALU_DEP_3)
	s_or_b32 exec_lo, exec_lo, s2
	v_cvt_f32_f16_e32 v10, v6
	v_mov_b32_e32 v5, 0x80
	v_mov_b32_e32 v9, 0x80
	s_mov_b32 s2, exec_lo
	v_and_b32_e32 v11, 0x7fffffff, v10
	s_delay_alu instid0(VALU_DEP_1)
	v_cmpx_gt_u32_e32 0x47800000, v11
	s_cbranch_execz .LBB405_23
; %bb.18:                               ;   in Loop: Header=BB405_5 Depth=1
	v_cmp_lt_u32_e32 vcc_lo, 0x37ffffff, v11
	s_mov_b32 s19, 0
                                        ; implicit-def: $vgpr11
	s_and_saveexec_b32 s20, vcc_lo
	s_delay_alu instid0(SALU_CYCLE_1)
	s_xor_b32 s20, exec_lo, s20
	s_cbranch_execnz .LBB405_31
; %bb.19:                               ;   in Loop: Header=BB405_5 Depth=1
	s_or_saveexec_b32 s20, s20
                                        ; implicit-def: $sgpr21
	s_delay_alu instid0(SALU_CYCLE_1)
	s_xor_b32 exec_lo, exec_lo, s20
	s_cbranch_execnz .LBB405_32
.LBB405_20:                             ;   in Loop: Header=BB405_5 Depth=1
	s_or_b32 exec_lo, exec_lo, s20
	v_mov_b32_e32 v9, s21
	s_and_saveexec_b32 s20, s19
.LBB405_21:                             ;   in Loop: Header=BB405_5 Depth=1
	v_lshrrev_b32_e32 v9, 24, v10
	s_delay_alu instid0(VALU_DEP_1)
	v_and_or_b32 v9, 0x80, v9, v11
.LBB405_22:                             ;   in Loop: Header=BB405_5 Depth=1
	s_or_b32 exec_lo, exec_lo, s20
.LBB405_23:                             ;   in Loop: Header=BB405_5 Depth=1
	s_delay_alu instid0(SALU_CYCLE_1) | instskip(SKIP_2) | instid1(VALU_DEP_1)
	s_or_b32 exec_lo, exec_lo, s2
	v_lshrrev_b32_e32 v6, 16, v6
	s_mov_b32 s2, exec_lo
	v_cvt_f32_f16_e32 v6, v6
	s_delay_alu instid0(VALU_DEP_1) | instskip(NEXT) | instid1(VALU_DEP_1)
	v_and_b32_e32 v10, 0x7fffffff, v6
	v_cmpx_gt_u32_e32 0x47800000, v10
	s_cbranch_execz .LBB405_4
; %bb.24:                               ;   in Loop: Header=BB405_5 Depth=1
	v_cmp_lt_u32_e32 vcc_lo, 0x37ffffff, v10
	s_mov_b32 s19, 0
                                        ; implicit-def: $vgpr10
	s_and_saveexec_b32 s20, vcc_lo
	s_delay_alu instid0(SALU_CYCLE_1)
	s_xor_b32 s20, exec_lo, s20
	s_cbranch_execnz .LBB405_33
; %bb.25:                               ;   in Loop: Header=BB405_5 Depth=1
	s_or_saveexec_b32 s20, s20
                                        ; implicit-def: $sgpr21
	s_delay_alu instid0(SALU_CYCLE_1)
	s_xor_b32 exec_lo, exec_lo, s20
	s_cbranch_execnz .LBB405_34
.LBB405_26:                             ;   in Loop: Header=BB405_5 Depth=1
	s_or_b32 exec_lo, exec_lo, s20
	v_mov_b32_e32 v5, s21
	s_and_saveexec_b32 s20, s19
	s_cbranch_execz .LBB405_3
	s_branch .LBB405_35
.LBB405_27:                             ;   in Loop: Header=BB405_5 Depth=1
	v_bfe_u32 v7, v9, 21, 1
	s_mov_b32 s19, exec_lo
	s_delay_alu instid0(VALU_DEP_1) | instskip(NEXT) | instid1(VALU_DEP_1)
	v_add3_u32 v7, v9, v7, 0x88fffff
	v_lshrrev_b32_e32 v10, 21, v7
	s_or_saveexec_b32 s20, s20
                                        ; implicit-def: $sgpr21
	s_delay_alu instid0(SALU_CYCLE_1)
	s_xor_b32 exec_lo, exec_lo, s20
	s_cbranch_execz .LBB405_8
.LBB405_28:                             ;   in Loop: Header=BB405_5 Depth=1
	v_add_f32_e64 v7, 0x42800000, |v9|
	s_and_not1_b32 s19, s19, exec_lo
	s_mov_b32 s21, 0
	s_delay_alu instid0(VALU_DEP_1) | instskip(NEXT) | instid1(VALU_DEP_1)
	v_and_b32_e32 v10, 0xff, v7
	v_cmp_ne_u32_e32 vcc_lo, 0, v10
	s_and_b32 s22, vcc_lo, exec_lo
	s_delay_alu instid0(SALU_CYCLE_1)
	s_or_b32 s19, s19, s22
	s_or_b32 exec_lo, exec_lo, s20
	v_mov_b32_e32 v7, s21
	s_and_saveexec_b32 s20, s19
	s_cbranch_execnz .LBB405_9
	s_branch .LBB405_10
.LBB405_29:                             ;   in Loop: Header=BB405_5 Depth=1
	v_bfe_u32 v8, v5, 21, 1
	s_mov_b32 s19, exec_lo
	s_delay_alu instid0(VALU_DEP_1) | instskip(NEXT) | instid1(VALU_DEP_1)
	v_add3_u32 v8, v5, v8, 0x88fffff
	v_lshrrev_b32_e32 v9, 21, v8
	s_or_saveexec_b32 s20, s20
                                        ; implicit-def: $sgpr21
	s_delay_alu instid0(SALU_CYCLE_1)
	s_xor_b32 exec_lo, exec_lo, s20
	s_cbranch_execz .LBB405_14
.LBB405_30:                             ;   in Loop: Header=BB405_5 Depth=1
	v_add_f32_e64 v8, 0x42800000, |v5|
	s_and_not1_b32 s19, s19, exec_lo
	s_mov_b32 s21, 0
	s_delay_alu instid0(VALU_DEP_1) | instskip(NEXT) | instid1(VALU_DEP_1)
	v_and_b32_e32 v9, 0xff, v8
	v_cmp_ne_u32_e32 vcc_lo, 0, v9
	s_and_b32 s22, vcc_lo, exec_lo
	s_delay_alu instid0(SALU_CYCLE_1)
	s_or_b32 s19, s19, s22
	s_or_b32 exec_lo, exec_lo, s20
	v_mov_b32_e32 v8, s21
	s_and_saveexec_b32 s20, s19
	s_cbranch_execnz .LBB405_15
	s_branch .LBB405_16
.LBB405_31:                             ;   in Loop: Header=BB405_5 Depth=1
	v_bfe_u32 v9, v10, 21, 1
	s_mov_b32 s19, exec_lo
	s_delay_alu instid0(VALU_DEP_1) | instskip(NEXT) | instid1(VALU_DEP_1)
	v_add3_u32 v9, v10, v9, 0x88fffff
	v_lshrrev_b32_e32 v11, 21, v9
	s_or_saveexec_b32 s20, s20
                                        ; implicit-def: $sgpr21
	s_delay_alu instid0(SALU_CYCLE_1)
	s_xor_b32 exec_lo, exec_lo, s20
	s_cbranch_execz .LBB405_20
.LBB405_32:                             ;   in Loop: Header=BB405_5 Depth=1
	v_add_f32_e64 v9, 0x42800000, |v10|
	s_and_not1_b32 s19, s19, exec_lo
	s_mov_b32 s21, 0
	s_delay_alu instid0(VALU_DEP_1) | instskip(NEXT) | instid1(VALU_DEP_1)
	v_and_b32_e32 v11, 0xff, v9
	v_cmp_ne_u32_e32 vcc_lo, 0, v11
	s_and_b32 s22, vcc_lo, exec_lo
	s_delay_alu instid0(SALU_CYCLE_1)
	s_or_b32 s19, s19, s22
	s_or_b32 exec_lo, exec_lo, s20
	v_mov_b32_e32 v9, s21
	s_and_saveexec_b32 s20, s19
	s_cbranch_execnz .LBB405_21
	s_branch .LBB405_22
.LBB405_33:                             ;   in Loop: Header=BB405_5 Depth=1
	v_bfe_u32 v5, v6, 21, 1
	s_mov_b32 s19, exec_lo
	s_delay_alu instid0(VALU_DEP_1) | instskip(NEXT) | instid1(VALU_DEP_1)
	v_add3_u32 v5, v6, v5, 0x88fffff
	v_lshrrev_b32_e32 v10, 21, v5
	s_or_saveexec_b32 s20, s20
                                        ; implicit-def: $sgpr21
	s_delay_alu instid0(SALU_CYCLE_1)
	s_xor_b32 exec_lo, exec_lo, s20
	s_cbranch_execz .LBB405_26
.LBB405_34:                             ;   in Loop: Header=BB405_5 Depth=1
	v_add_f32_e64 v5, 0x42800000, |v6|
	s_and_not1_b32 s19, s19, exec_lo
	s_mov_b32 s21, 0
	s_delay_alu instid0(VALU_DEP_1) | instskip(NEXT) | instid1(VALU_DEP_1)
	v_and_b32_e32 v10, 0xff, v5
	v_cmp_ne_u32_e32 vcc_lo, 0, v10
	s_and_b32 s22, vcc_lo, exec_lo
	s_delay_alu instid0(SALU_CYCLE_1)
	s_or_b32 s19, s19, s22
	s_or_b32 exec_lo, exec_lo, s20
	v_mov_b32_e32 v5, s21
	s_and_saveexec_b32 s20, s19
	s_cbranch_execz .LBB405_3
.LBB405_35:                             ;   in Loop: Header=BB405_5 Depth=1
	v_lshrrev_b32_e32 v5, 24, v6
	s_delay_alu instid0(VALU_DEP_1)
	v_and_or_b32 v5, 0x80, v5, v10
	s_branch .LBB405_3
.LBB405_36:
	s_or_b32 exec_lo, exec_lo, s3
	s_mov_b32 s2, 0
.LBB405_37:
	s_delay_alu instid0(SALU_CYCLE_1)
	s_and_not1_b32 vcc_lo, exec_lo, s2
	s_cbranch_vccnz .LBB405_89
; %bb.38:
	v_cmp_lt_i64_e64 s2, s[4:5], 1
	s_delay_alu instid0(VALU_DEP_1)
	s_and_b32 vcc_lo, exec_lo, s2
	s_cbranch_vccnz .LBB405_89
; %bb.39:
	s_load_b32 s0, s[0:1], 0xc5c
	v_cmp_gt_u64_e64 s1, 0x10000, s[4:5]
	v_add_co_u32 v5, s2, s8, v0
	v_lshlrev_b32_e32 v1, 1, v0
	v_add_co_ci_u32_e64 v6, null, s9, 0, s2
	s_delay_alu instid0(VALU_DEP_3) | instskip(NEXT) | instid1(VALU_DEP_2)
	v_add_co_u32 v13, vcc_lo, s6, v5
                                        ; implicit-def: $vgpr29
                                        ; implicit-def: $vgpr30
                                        ; implicit-def: $vgpr27
                                        ; implicit-def: $vgpr28
	v_add_co_ci_u32_e32 v14, vcc_lo, s7, v6, vcc_lo
	s_waitcnt lgkmcnt(0)
	s_and_b32 s0, s0, 0xffff
	s_and_b32 s1, s1, exec_lo
	s_cselect_b32 s3, s5, 0
	s_cselect_b32 s2, s4, 0x10000
	s_lshl_b64 s[10:11], s[10:11], 17
	s_lshl_b32 s14, s0, 1
	s_lshl_b32 s1, s0, 2
	s_add_u32 s12, s12, s10
	s_mul_i32 s15, s0, 3
	s_addc_u32 s11, s13, s11
	s_lshl_b32 s10, s0, 3
	v_add_co_u32 v1, s16, s12, v1
	s_add_u32 s13, s8, s15
	v_add_co_ci_u32_e64 v2, null, s11, 0, s16
	s_addc_u32 s16, s9, 0
	s_add_u32 s13, s6, s13
	s_addc_u32 s16, s7, s16
	v_add_co_u32 v15, s13, s13, v0
	s_delay_alu instid0(VALU_DEP_1) | instskip(SKIP_1) | instid1(VALU_DEP_1)
	v_add_co_ci_u32_e64 v16, null, s16, 0, s13
	v_add_co_u32 v17, s13, s15, v0
	v_add_co_ci_u32_e64 v18, null, 0, 0, s13
	v_add_co_u32 v19, s13, v0, s0
	s_add_u32 s8, s8, s14
	s_addc_u32 s9, s9, 0
	s_add_u32 s8, s6, s8
	s_delay_alu instid0(VALU_DEP_1) | instskip(SKIP_2) | instid1(VALU_DEP_1)
	v_lshlrev_b32_e32 v3, 1, v19
	s_addc_u32 s9, s7, s9
	v_add_co_u32 v20, s8, s8, v0
	v_add_co_ci_u32_e64 v21, null, s9, 0, s8
	v_add_co_u32 v23, s8, s14, v0
	s_add_u32 s6, s6, s0
	v_add_co_ci_u32_e64 v24, null, 0, 0, s8
	v_add_co_u32 v3, s8, s12, v3
	s_addc_u32 s7, s7, 0
	v_add_co_u32 v25, vcc_lo, s6, v5
	v_add_co_ci_u32_e64 v22, null, 0, 0, s13
	v_add_co_ci_u32_e64 v4, null, s11, 0, s8
	v_add_co_ci_u32_e32 v26, vcc_lo, s7, v6, vcc_lo
	s_mul_i32 s8, s0, 6
	s_mov_b64 s[6:7], 0
	s_branch .LBB405_41
.LBB405_40:                             ;   in Loop: Header=BB405_41 Depth=1
	s_or_b32 exec_lo, exec_lo, s0
	s_add_u32 s6, s6, s1
	s_addc_u32 s7, s7, 0
	v_add_co_u32 v1, vcc_lo, v1, s10
	v_cmp_ge_i64_e64 s0, s[6:7], s[4:5]
	v_cmp_lt_u64_e64 s9, 0xffff, s[6:7]
	v_add_co_ci_u32_e32 v2, vcc_lo, 0, v2, vcc_lo
	v_add_co_u32 v3, vcc_lo, v3, s10
	v_add_co_ci_u32_e32 v4, vcc_lo, 0, v4, vcc_lo
	s_delay_alu instid0(VALU_DEP_4) | instskip(NEXT) | instid1(SALU_CYCLE_1)
	s_or_b32 s0, s0, s9
	s_and_b32 vcc_lo, exec_lo, s0
	s_cbranch_vccnz .LBB405_89
.LBB405_41:                             ; =>This Inner Loop Header: Depth=1
	v_add_co_u32 v5, s0, v0, s6
	s_delay_alu instid0(VALU_DEP_1) | instskip(NEXT) | instid1(VALU_DEP_1)
	v_add_co_ci_u32_e64 v6, null, 0, s7, s0
	v_cmp_gt_i64_e32 vcc_lo, s[4:5], v[5:6]
	v_cmp_gt_u64_e64 s0, 0x10000, v[5:6]
	s_delay_alu instid0(VALU_DEP_1) | instskip(NEXT) | instid1(SALU_CYCLE_1)
	s_and_b32 s9, vcc_lo, s0
	s_and_saveexec_b32 s0, s9
	s_cbranch_execz .LBB405_43
; %bb.42:                               ;   in Loop: Header=BB405_41 Depth=1
	global_load_u16 v28, v[1:2], off
.LBB405_43:                             ;   in Loop: Header=BB405_41 Depth=1
	s_or_b32 exec_lo, exec_lo, s0
	v_add_co_u32 v7, vcc_lo, v19, s6
	v_add_co_ci_u32_e32 v8, vcc_lo, s7, v22, vcc_lo
	s_delay_alu instid0(VALU_DEP_1) | instskip(SKIP_1) | instid1(VALU_DEP_1)
	v_cmp_gt_i64_e32 vcc_lo, s[4:5], v[7:8]
	v_cmp_gt_u64_e64 s0, 0x10000, v[7:8]
	s_and_b32 s9, vcc_lo, s0
	s_delay_alu instid0(SALU_CYCLE_1)
	s_and_saveexec_b32 s0, s9
	s_cbranch_execz .LBB405_45
; %bb.44:                               ;   in Loop: Header=BB405_41 Depth=1
	global_load_u16 v27, v[3:4], off
.LBB405_45:                             ;   in Loop: Header=BB405_41 Depth=1
	s_or_b32 exec_lo, exec_lo, s0
	v_add_co_u32 v9, vcc_lo, v23, s6
	v_add_co_ci_u32_e32 v10, vcc_lo, s7, v24, vcc_lo
	s_delay_alu instid0(VALU_DEP_1) | instskip(SKIP_1) | instid1(VALU_DEP_1)
	v_cmp_gt_i64_e32 vcc_lo, s[4:5], v[9:10]
	v_cmp_gt_u64_e64 s0, 0x10000, v[9:10]
	s_and_b32 s9, vcc_lo, s0
	s_delay_alu instid0(SALU_CYCLE_1)
	s_and_saveexec_b32 s0, s9
	s_cbranch_execz .LBB405_47
; %bb.46:                               ;   in Loop: Header=BB405_41 Depth=1
	v_add_co_u32 v11, vcc_lo, v1, s1
	v_add_co_ci_u32_e32 v12, vcc_lo, 0, v2, vcc_lo
	global_load_u16 v30, v[11:12], off
.LBB405_47:                             ;   in Loop: Header=BB405_41 Depth=1
	s_or_b32 exec_lo, exec_lo, s0
	v_add_co_u32 v11, vcc_lo, v17, s6
	v_add_co_ci_u32_e32 v12, vcc_lo, s7, v18, vcc_lo
	s_delay_alu instid0(VALU_DEP_1) | instskip(SKIP_1) | instid1(VALU_DEP_1)
	v_cmp_gt_i64_e32 vcc_lo, s[4:5], v[11:12]
	v_cmp_gt_u64_e64 s0, 0x10000, v[11:12]
	s_and_b32 s9, vcc_lo, s0
	s_delay_alu instid0(SALU_CYCLE_1)
	s_and_saveexec_b32 s0, s9
	s_cbranch_execz .LBB405_49
; %bb.48:                               ;   in Loop: Header=BB405_41 Depth=1
	v_add_co_u32 v31, vcc_lo, v1, s8
	v_add_co_ci_u32_e32 v32, vcc_lo, 0, v2, vcc_lo
	global_load_u16 v29, v[31:32], off
.LBB405_49:                             ;   in Loop: Header=BB405_41 Depth=1
	s_or_b32 exec_lo, exec_lo, s0
	s_waitcnt vmcnt(0)
	v_cvt_f32_f16_e32 v33, v28
	v_dual_mov_b32 v31, 0x80 :: v_dual_mov_b32 v32, 0x80
	s_mov_b32 s0, exec_lo
	s_delay_alu instid0(VALU_DEP_2) | instskip(NEXT) | instid1(VALU_DEP_1)
	v_and_b32_e32 v34, 0x7fffffff, v33
	v_cmpx_gt_u32_e32 0x47800000, v34
	s_cbranch_execz .LBB405_55
; %bb.50:                               ;   in Loop: Header=BB405_41 Depth=1
	v_cmp_lt_u32_e32 vcc_lo, 0x37ffffff, v34
	s_mov_b32 s9, 0
                                        ; implicit-def: $vgpr34
	s_and_saveexec_b32 s11, vcc_lo
	s_delay_alu instid0(SALU_CYCLE_1)
	s_xor_b32 s11, exec_lo, s11
	s_cbranch_execnz .LBB405_81
; %bb.51:                               ;   in Loop: Header=BB405_41 Depth=1
	s_or_saveexec_b32 s11, s11
                                        ; implicit-def: $sgpr12
	s_delay_alu instid0(SALU_CYCLE_1)
	s_xor_b32 exec_lo, exec_lo, s11
	s_cbranch_execnz .LBB405_82
.LBB405_52:                             ;   in Loop: Header=BB405_41 Depth=1
	s_or_b32 exec_lo, exec_lo, s11
	v_mov_b32_e32 v32, s12
	s_and_saveexec_b32 s11, s9
.LBB405_53:                             ;   in Loop: Header=BB405_41 Depth=1
	v_lshrrev_b32_e32 v32, 24, v33
	s_delay_alu instid0(VALU_DEP_1)
	v_and_or_b32 v32, 0x80, v32, v34
.LBB405_54:                             ;   in Loop: Header=BB405_41 Depth=1
	s_or_b32 exec_lo, exec_lo, s11
.LBB405_55:                             ;   in Loop: Header=BB405_41 Depth=1
	s_delay_alu instid0(SALU_CYCLE_1) | instskip(SKIP_2) | instid1(VALU_DEP_1)
	s_or_b32 exec_lo, exec_lo, s0
	v_cvt_f32_f16_e32 v33, v27
	s_mov_b32 s0, exec_lo
	v_and_b32_e32 v34, 0x7fffffff, v33
	s_delay_alu instid0(VALU_DEP_1)
	v_cmpx_gt_u32_e32 0x47800000, v34
	s_cbranch_execz .LBB405_61
; %bb.56:                               ;   in Loop: Header=BB405_41 Depth=1
	v_cmp_lt_u32_e32 vcc_lo, 0x37ffffff, v34
	s_mov_b32 s9, 0
                                        ; implicit-def: $vgpr34
	s_and_saveexec_b32 s11, vcc_lo
	s_delay_alu instid0(SALU_CYCLE_1)
	s_xor_b32 s11, exec_lo, s11
	s_cbranch_execnz .LBB405_83
; %bb.57:                               ;   in Loop: Header=BB405_41 Depth=1
	s_or_saveexec_b32 s11, s11
                                        ; implicit-def: $sgpr12
	s_delay_alu instid0(SALU_CYCLE_1)
	s_xor_b32 exec_lo, exec_lo, s11
	s_cbranch_execnz .LBB405_84
.LBB405_58:                             ;   in Loop: Header=BB405_41 Depth=1
	s_or_b32 exec_lo, exec_lo, s11
	v_mov_b32_e32 v31, s12
	s_and_saveexec_b32 s11, s9
.LBB405_59:                             ;   in Loop: Header=BB405_41 Depth=1
	v_lshrrev_b32_e32 v31, 24, v33
	s_delay_alu instid0(VALU_DEP_1)
	v_and_or_b32 v31, 0x80, v31, v34
.LBB405_60:                             ;   in Loop: Header=BB405_41 Depth=1
	s_or_b32 exec_lo, exec_lo, s11
.LBB405_61:                             ;   in Loop: Header=BB405_41 Depth=1
	s_delay_alu instid0(SALU_CYCLE_1) | instskip(SKIP_3) | instid1(VALU_DEP_2)
	s_or_b32 exec_lo, exec_lo, s0
	v_cvt_f32_f16_e32 v35, v30
	v_dual_mov_b32 v33, 0x80 :: v_dual_mov_b32 v34, 0x80
	s_mov_b32 s0, exec_lo
	v_and_b32_e32 v36, 0x7fffffff, v35
	s_delay_alu instid0(VALU_DEP_1)
	v_cmpx_gt_u32_e32 0x47800000, v36
	s_cbranch_execz .LBB405_67
; %bb.62:                               ;   in Loop: Header=BB405_41 Depth=1
	v_cmp_lt_u32_e32 vcc_lo, 0x37ffffff, v36
	s_mov_b32 s9, 0
                                        ; implicit-def: $vgpr36
	s_and_saveexec_b32 s11, vcc_lo
	s_delay_alu instid0(SALU_CYCLE_1)
	s_xor_b32 s11, exec_lo, s11
	s_cbranch_execnz .LBB405_85
; %bb.63:                               ;   in Loop: Header=BB405_41 Depth=1
	s_or_saveexec_b32 s11, s11
                                        ; implicit-def: $sgpr12
	s_delay_alu instid0(SALU_CYCLE_1)
	s_xor_b32 exec_lo, exec_lo, s11
	s_cbranch_execnz .LBB405_86
.LBB405_64:                             ;   in Loop: Header=BB405_41 Depth=1
	s_or_b32 exec_lo, exec_lo, s11
	v_mov_b32_e32 v34, s12
	s_and_saveexec_b32 s11, s9
.LBB405_65:                             ;   in Loop: Header=BB405_41 Depth=1
	v_lshrrev_b32_e32 v34, 24, v35
	s_delay_alu instid0(VALU_DEP_1)
	v_and_or_b32 v34, 0x80, v34, v36
.LBB405_66:                             ;   in Loop: Header=BB405_41 Depth=1
	s_or_b32 exec_lo, exec_lo, s11
.LBB405_67:                             ;   in Loop: Header=BB405_41 Depth=1
	s_delay_alu instid0(SALU_CYCLE_1) | instskip(SKIP_2) | instid1(VALU_DEP_1)
	s_or_b32 exec_lo, exec_lo, s0
	v_cvt_f32_f16_e32 v35, v29
	s_mov_b32 s0, exec_lo
	v_and_b32_e32 v36, 0x7fffffff, v35
	s_delay_alu instid0(VALU_DEP_1)
	v_cmpx_gt_u32_e32 0x47800000, v36
	s_cbranch_execz .LBB405_73
; %bb.68:                               ;   in Loop: Header=BB405_41 Depth=1
	v_cmp_lt_u32_e32 vcc_lo, 0x37ffffff, v36
	s_mov_b32 s9, 0
                                        ; implicit-def: $vgpr36
	s_and_saveexec_b32 s11, vcc_lo
	s_delay_alu instid0(SALU_CYCLE_1)
	s_xor_b32 s11, exec_lo, s11
	s_cbranch_execnz .LBB405_87
; %bb.69:                               ;   in Loop: Header=BB405_41 Depth=1
	s_or_saveexec_b32 s11, s11
                                        ; implicit-def: $sgpr12
	s_delay_alu instid0(SALU_CYCLE_1)
	s_xor_b32 exec_lo, exec_lo, s11
	s_cbranch_execnz .LBB405_88
.LBB405_70:                             ;   in Loop: Header=BB405_41 Depth=1
	s_or_b32 exec_lo, exec_lo, s11
	v_mov_b32_e32 v33, s12
	s_and_saveexec_b32 s11, s9
.LBB405_71:                             ;   in Loop: Header=BB405_41 Depth=1
	v_lshrrev_b32_e32 v33, 24, v35
	s_delay_alu instid0(VALU_DEP_1)
	v_and_or_b32 v33, 0x80, v33, v36
.LBB405_72:                             ;   in Loop: Header=BB405_41 Depth=1
	s_or_b32 exec_lo, exec_lo, s11
.LBB405_73:                             ;   in Loop: Header=BB405_41 Depth=1
	s_delay_alu instid0(SALU_CYCLE_1) | instskip(NEXT) | instid1(SALU_CYCLE_1)
	s_or_b32 exec_lo, exec_lo, s0
	s_mov_b32 s0, exec_lo
	v_cmpx_gt_u64_e64 s[2:3], v[5:6]
	s_xor_b32 s0, exec_lo, s0
	s_cbranch_execnz .LBB405_77
; %bb.74:                               ;   in Loop: Header=BB405_41 Depth=1
	s_or_b32 exec_lo, exec_lo, s0
	s_delay_alu instid0(SALU_CYCLE_1)
	s_mov_b32 s0, exec_lo
	v_cmpx_gt_u64_e64 s[2:3], v[7:8]
	s_cbranch_execnz .LBB405_78
.LBB405_75:                             ;   in Loop: Header=BB405_41 Depth=1
	s_or_b32 exec_lo, exec_lo, s0
	s_delay_alu instid0(SALU_CYCLE_1)
	s_mov_b32 s0, exec_lo
	v_cmpx_gt_u64_e64 s[2:3], v[9:10]
	s_cbranch_execnz .LBB405_79
.LBB405_76:                             ;   in Loop: Header=BB405_41 Depth=1
	s_or_b32 exec_lo, exec_lo, s0
	s_delay_alu instid0(SALU_CYCLE_1)
	s_mov_b32 s0, exec_lo
	v_cmpx_gt_u64_e64 s[2:3], v[11:12]
	s_cbranch_execz .LBB405_40
	s_branch .LBB405_80
.LBB405_77:                             ;   in Loop: Header=BB405_41 Depth=1
	v_add_co_u32 v5, vcc_lo, v13, s6
	v_add_co_ci_u32_e32 v6, vcc_lo, s7, v14, vcc_lo
	global_store_b8 v[5:6], v32, off
	s_or_b32 exec_lo, exec_lo, s0
	s_delay_alu instid0(SALU_CYCLE_1)
	s_mov_b32 s0, exec_lo
	v_cmpx_gt_u64_e64 s[2:3], v[7:8]
	s_cbranch_execz .LBB405_75
.LBB405_78:                             ;   in Loop: Header=BB405_41 Depth=1
	v_add_co_u32 v5, vcc_lo, v25, s6
	v_add_co_ci_u32_e32 v6, vcc_lo, s7, v26, vcc_lo
	global_store_b8 v[5:6], v31, off
	s_or_b32 exec_lo, exec_lo, s0
	s_delay_alu instid0(SALU_CYCLE_1)
	s_mov_b32 s0, exec_lo
	v_cmpx_gt_u64_e64 s[2:3], v[9:10]
	s_cbranch_execz .LBB405_76
.LBB405_79:                             ;   in Loop: Header=BB405_41 Depth=1
	v_add_co_u32 v5, vcc_lo, v20, s6
	v_add_co_ci_u32_e32 v6, vcc_lo, s7, v21, vcc_lo
	global_store_b8 v[5:6], v34, off
	s_or_b32 exec_lo, exec_lo, s0
	s_delay_alu instid0(SALU_CYCLE_1)
	s_mov_b32 s0, exec_lo
	v_cmpx_gt_u64_e64 s[2:3], v[11:12]
	s_cbranch_execz .LBB405_40
.LBB405_80:                             ;   in Loop: Header=BB405_41 Depth=1
	v_add_co_u32 v5, vcc_lo, v15, s6
	v_add_co_ci_u32_e32 v6, vcc_lo, s7, v16, vcc_lo
	global_store_b8 v[5:6], v33, off
	s_branch .LBB405_40
.LBB405_81:                             ;   in Loop: Header=BB405_41 Depth=1
	v_bfe_u32 v32, v33, 21, 1
	s_mov_b32 s9, exec_lo
	s_delay_alu instid0(VALU_DEP_1) | instskip(NEXT) | instid1(VALU_DEP_1)
	v_add3_u32 v32, v33, v32, 0x88fffff
	v_lshrrev_b32_e32 v34, 21, v32
	s_or_saveexec_b32 s11, s11
                                        ; implicit-def: $sgpr12
	s_delay_alu instid0(SALU_CYCLE_1)
	s_xor_b32 exec_lo, exec_lo, s11
	s_cbranch_execz .LBB405_52
.LBB405_82:                             ;   in Loop: Header=BB405_41 Depth=1
	v_add_f32_e64 v32, 0x42800000, |v33|
	s_and_not1_b32 s9, s9, exec_lo
	s_mov_b32 s12, 0
	s_delay_alu instid0(VALU_DEP_1) | instskip(NEXT) | instid1(VALU_DEP_1)
	v_and_b32_e32 v34, 0xff, v32
	v_cmp_ne_u32_e32 vcc_lo, 0, v34
	s_and_b32 s13, vcc_lo, exec_lo
	s_delay_alu instid0(SALU_CYCLE_1)
	s_or_b32 s9, s9, s13
	s_or_b32 exec_lo, exec_lo, s11
	v_mov_b32_e32 v32, s12
	s_and_saveexec_b32 s11, s9
	s_cbranch_execnz .LBB405_53
	s_branch .LBB405_54
.LBB405_83:                             ;   in Loop: Header=BB405_41 Depth=1
	v_bfe_u32 v31, v33, 21, 1
	s_mov_b32 s9, exec_lo
	s_delay_alu instid0(VALU_DEP_1) | instskip(NEXT) | instid1(VALU_DEP_1)
	v_add3_u32 v31, v33, v31, 0x88fffff
	v_lshrrev_b32_e32 v34, 21, v31
	s_or_saveexec_b32 s11, s11
                                        ; implicit-def: $sgpr12
	s_delay_alu instid0(SALU_CYCLE_1)
	s_xor_b32 exec_lo, exec_lo, s11
	s_cbranch_execz .LBB405_58
.LBB405_84:                             ;   in Loop: Header=BB405_41 Depth=1
	v_add_f32_e64 v31, 0x42800000, |v33|
	s_and_not1_b32 s9, s9, exec_lo
	s_mov_b32 s12, 0
	s_delay_alu instid0(VALU_DEP_1) | instskip(NEXT) | instid1(VALU_DEP_1)
	v_and_b32_e32 v34, 0xff, v31
	v_cmp_ne_u32_e32 vcc_lo, 0, v34
	s_and_b32 s13, vcc_lo, exec_lo
	s_delay_alu instid0(SALU_CYCLE_1)
	s_or_b32 s9, s9, s13
	s_or_b32 exec_lo, exec_lo, s11
	v_mov_b32_e32 v31, s12
	s_and_saveexec_b32 s11, s9
	s_cbranch_execnz .LBB405_59
	s_branch .LBB405_60
.LBB405_85:                             ;   in Loop: Header=BB405_41 Depth=1
	v_bfe_u32 v34, v35, 21, 1
	s_mov_b32 s9, exec_lo
	s_delay_alu instid0(VALU_DEP_1) | instskip(NEXT) | instid1(VALU_DEP_1)
	v_add3_u32 v34, v35, v34, 0x88fffff
	v_lshrrev_b32_e32 v36, 21, v34
	s_or_saveexec_b32 s11, s11
                                        ; implicit-def: $sgpr12
	s_delay_alu instid0(SALU_CYCLE_1)
	s_xor_b32 exec_lo, exec_lo, s11
	s_cbranch_execz .LBB405_64
.LBB405_86:                             ;   in Loop: Header=BB405_41 Depth=1
	v_add_f32_e64 v34, 0x42800000, |v35|
	s_and_not1_b32 s9, s9, exec_lo
	s_mov_b32 s12, 0
	s_delay_alu instid0(VALU_DEP_1) | instskip(NEXT) | instid1(VALU_DEP_1)
	v_and_b32_e32 v36, 0xff, v34
	v_cmp_ne_u32_e32 vcc_lo, 0, v36
	s_and_b32 s13, vcc_lo, exec_lo
	s_delay_alu instid0(SALU_CYCLE_1)
	s_or_b32 s9, s9, s13
	s_or_b32 exec_lo, exec_lo, s11
	v_mov_b32_e32 v34, s12
	s_and_saveexec_b32 s11, s9
	s_cbranch_execnz .LBB405_65
	s_branch .LBB405_66
.LBB405_87:                             ;   in Loop: Header=BB405_41 Depth=1
	v_bfe_u32 v33, v35, 21, 1
	s_mov_b32 s9, exec_lo
	s_delay_alu instid0(VALU_DEP_1) | instskip(NEXT) | instid1(VALU_DEP_1)
	v_add3_u32 v33, v35, v33, 0x88fffff
	v_lshrrev_b32_e32 v36, 21, v33
	s_or_saveexec_b32 s11, s11
                                        ; implicit-def: $sgpr12
	s_delay_alu instid0(SALU_CYCLE_1)
	s_xor_b32 exec_lo, exec_lo, s11
	s_cbranch_execz .LBB405_70
.LBB405_88:                             ;   in Loop: Header=BB405_41 Depth=1
	v_add_f32_e64 v33, 0x42800000, |v35|
	s_and_not1_b32 s9, s9, exec_lo
	s_mov_b32 s12, 0
	s_delay_alu instid0(VALU_DEP_1) | instskip(NEXT) | instid1(VALU_DEP_1)
	v_and_b32_e32 v36, 0xff, v33
	v_cmp_ne_u32_e32 vcc_lo, 0, v36
	s_and_b32 s13, vcc_lo, exec_lo
	s_delay_alu instid0(SALU_CYCLE_1)
	s_or_b32 s9, s9, s13
	s_or_b32 exec_lo, exec_lo, s11
	v_mov_b32_e32 v33, s12
	s_and_saveexec_b32 s11, s9
	s_cbranch_execnz .LBB405_71
	s_branch .LBB405_72
.LBB405_89:
	s_nop 0
	s_sendmsg sendmsg(MSG_DEALLOC_VGPRS)
	s_endpgm
	.section	.rodata,"a",@progbits
	.p2align	6, 0x0
	.amdhsa_kernel _ZN2at6native12_GLOBAL__N_125multi_tensor_apply_kernelINS1_18TensorListMetadataILi2EEENS1_11CopyFunctorIN3c1015Float8_e5m2fnuzENS6_4HalfELi2ELi1ELi1EEEJNS0_4CopyIS7_S8_EEEEEvT_T0_DpT1_
		.amdhsa_group_segment_fixed_size 0
		.amdhsa_private_segment_fixed_size 0
		.amdhsa_kernarg_size 3408
		.amdhsa_user_sgpr_count 15
		.amdhsa_user_sgpr_dispatch_ptr 0
		.amdhsa_user_sgpr_queue_ptr 0
		.amdhsa_user_sgpr_kernarg_segment_ptr 1
		.amdhsa_user_sgpr_dispatch_id 0
		.amdhsa_user_sgpr_private_segment_size 0
		.amdhsa_wavefront_size32 1
		.amdhsa_uses_dynamic_stack 0
		.amdhsa_enable_private_segment 0
		.amdhsa_system_sgpr_workgroup_id_x 1
		.amdhsa_system_sgpr_workgroup_id_y 0
		.amdhsa_system_sgpr_workgroup_id_z 0
		.amdhsa_system_sgpr_workgroup_info 0
		.amdhsa_system_vgpr_workitem_id 0
		.amdhsa_next_free_vgpr 37
		.amdhsa_next_free_sgpr 23
		.amdhsa_reserve_vcc 1
		.amdhsa_float_round_mode_32 0
		.amdhsa_float_round_mode_16_64 0
		.amdhsa_float_denorm_mode_32 3
		.amdhsa_float_denorm_mode_16_64 3
		.amdhsa_dx10_clamp 1
		.amdhsa_ieee_mode 1
		.amdhsa_fp16_overflow 0
		.amdhsa_workgroup_processor_mode 1
		.amdhsa_memory_ordered 1
		.amdhsa_forward_progress 0
		.amdhsa_shared_vgpr_count 0
		.amdhsa_exception_fp_ieee_invalid_op 0
		.amdhsa_exception_fp_denorm_src 0
		.amdhsa_exception_fp_ieee_div_zero 0
		.amdhsa_exception_fp_ieee_overflow 0
		.amdhsa_exception_fp_ieee_underflow 0
		.amdhsa_exception_fp_ieee_inexact 0
		.amdhsa_exception_int_div_zero 0
	.end_amdhsa_kernel
	.section	.text._ZN2at6native12_GLOBAL__N_125multi_tensor_apply_kernelINS1_18TensorListMetadataILi2EEENS1_11CopyFunctorIN3c1015Float8_e5m2fnuzENS6_4HalfELi2ELi1ELi1EEEJNS0_4CopyIS7_S8_EEEEEvT_T0_DpT1_,"axG",@progbits,_ZN2at6native12_GLOBAL__N_125multi_tensor_apply_kernelINS1_18TensorListMetadataILi2EEENS1_11CopyFunctorIN3c1015Float8_e5m2fnuzENS6_4HalfELi2ELi1ELi1EEEJNS0_4CopyIS7_S8_EEEEEvT_T0_DpT1_,comdat
.Lfunc_end405:
	.size	_ZN2at6native12_GLOBAL__N_125multi_tensor_apply_kernelINS1_18TensorListMetadataILi2EEENS1_11CopyFunctorIN3c1015Float8_e5m2fnuzENS6_4HalfELi2ELi1ELi1EEEJNS0_4CopyIS7_S8_EEEEEvT_T0_DpT1_, .Lfunc_end405-_ZN2at6native12_GLOBAL__N_125multi_tensor_apply_kernelINS1_18TensorListMetadataILi2EEENS1_11CopyFunctorIN3c1015Float8_e5m2fnuzENS6_4HalfELi2ELi1ELi1EEEJNS0_4CopyIS7_S8_EEEEEvT_T0_DpT1_
                                        ; -- End function
	.section	.AMDGPU.csdata,"",@progbits
; Kernel info:
; codeLenInByte = 3304
; NumSgprs: 25
; NumVgprs: 37
; ScratchSize: 0
; MemoryBound: 0
; FloatMode: 240
; IeeeMode: 1
; LDSByteSize: 0 bytes/workgroup (compile time only)
; SGPRBlocks: 3
; VGPRBlocks: 4
; NumSGPRsForWavesPerEU: 25
; NumVGPRsForWavesPerEU: 37
; Occupancy: 16
; WaveLimiterHint : 0
; COMPUTE_PGM_RSRC2:SCRATCH_EN: 0
; COMPUTE_PGM_RSRC2:USER_SGPR: 15
; COMPUTE_PGM_RSRC2:TRAP_HANDLER: 0
; COMPUTE_PGM_RSRC2:TGID_X_EN: 1
; COMPUTE_PGM_RSRC2:TGID_Y_EN: 0
; COMPUTE_PGM_RSRC2:TGID_Z_EN: 0
; COMPUTE_PGM_RSRC2:TIDIG_COMP_CNT: 0
	.section	.text._ZN2at6native12_GLOBAL__N_125multi_tensor_apply_kernelINS1_18TensorListMetadataILi2EEENS1_11CopyFunctorIN3c1015Float8_e5m2fnuzENS6_8BFloat16ELi2ELi1ELi1EEEJNS0_4CopyIS7_S8_EEEEEvT_T0_DpT1_,"axG",@progbits,_ZN2at6native12_GLOBAL__N_125multi_tensor_apply_kernelINS1_18TensorListMetadataILi2EEENS1_11CopyFunctorIN3c1015Float8_e5m2fnuzENS6_8BFloat16ELi2ELi1ELi1EEEJNS0_4CopyIS7_S8_EEEEEvT_T0_DpT1_,comdat
	.globl	_ZN2at6native12_GLOBAL__N_125multi_tensor_apply_kernelINS1_18TensorListMetadataILi2EEENS1_11CopyFunctorIN3c1015Float8_e5m2fnuzENS6_8BFloat16ELi2ELi1ELi1EEEJNS0_4CopyIS7_S8_EEEEEvT_T0_DpT1_ ; -- Begin function _ZN2at6native12_GLOBAL__N_125multi_tensor_apply_kernelINS1_18TensorListMetadataILi2EEENS1_11CopyFunctorIN3c1015Float8_e5m2fnuzENS6_8BFloat16ELi2ELi1ELi1EEEJNS0_4CopyIS7_S8_EEEEEvT_T0_DpT1_
	.p2align	8
	.type	_ZN2at6native12_GLOBAL__N_125multi_tensor_apply_kernelINS1_18TensorListMetadataILi2EEENS1_11CopyFunctorIN3c1015Float8_e5m2fnuzENS6_8BFloat16ELi2ELi1ELi1EEEJNS0_4CopyIS7_S8_EEEEEvT_T0_DpT1_,@function
_ZN2at6native12_GLOBAL__N_125multi_tensor_apply_kernelINS1_18TensorListMetadataILi2EEENS1_11CopyFunctorIN3c1015Float8_e5m2fnuzENS6_8BFloat16ELi2ELi1ELi1EEEJNS0_4CopyIS7_S8_EEEEEvT_T0_DpT1_: ; @_ZN2at6native12_GLOBAL__N_125multi_tensor_apply_kernelINS1_18TensorListMetadataILi2EEENS1_11CopyFunctorIN3c1015Float8_e5m2fnuzENS6_8BFloat16ELi2ELi1ELi1EEEJNS0_4CopyIS7_S8_EEEEEvT_T0_DpT1_
; %bb.0:
	v_mov_b32_e32 v1, s15
	s_add_u32 s2, s0, s15
	s_mul_i32 s4, s15, 3
	s_addc_u32 s3, s1, 0
	s_mul_hi_u32 s5, s15, 3
	global_load_u8 v1, v1, s[0:1] offset:1536
	s_add_u32 s2, s2, s4
	s_addc_u32 s3, s3, s5
	s_mov_b32 s17, 0
	s_load_b32 s10, s[2:3], 0x740
	s_waitcnt lgkmcnt(0)
	s_ashr_i32 s11, s10, 31
	s_delay_alu instid0(SALU_CYCLE_1) | instskip(SKIP_2) | instid1(VALU_DEP_1)
	s_lshl_b64 s[8:9], s[10:11], 16
	s_waitcnt vmcnt(0)
	v_readfirstlane_b32 s4, v1
	s_lshl_b32 s4, s4, 3
	s_clause 0x2
	s_load_b64 s[6:7], s[0:1], s4 offset:0x200
	s_load_b64 s[2:3], s[0:1], s4 offset:0x400
	;; [unrolled: 1-line block ×3, first 2 shown]
	s_waitcnt lgkmcnt(0)
	s_add_u32 s14, s6, s8
	s_addc_u32 s15, s7, s9
	s_delay_alu instid0(SALU_CYCLE_1) | instskip(SKIP_2) | instid1(SALU_CYCLE_1)
	s_or_b64 s[4:5], s[2:3], s[14:15]
	s_and_b32 s5, s12, 7
	s_and_b32 s4, s4, 3
	s_or_b32 s16, s4, s5
	s_sub_u32 s4, s2, s8
	s_subb_u32 s5, s3, s9
	s_cmp_eq_u64 s[16:17], 0
	s_mov_b32 s2, -1
	s_cbranch_scc0 .LBB406_37
; %bb.1:
	v_dual_mov_b32 v2, 0 :: v_dual_lshlrev_b32 v1, 2, v0
	s_mov_b32 s3, exec_lo
	s_delay_alu instid0(VALU_DEP_1)
	v_cmpx_gt_i64_e64 s[4:5], v[1:2]
	s_cbranch_execz .LBB406_36
; %bb.2:
	s_load_b32 s2, s[0:1], 0xc5c
	v_lshlrev_b32_e32 v3, 3, v0
	s_lshl_b64 s[16:17], s[10:11], 17
	s_waitcnt lgkmcnt(0)
	s_and_b32 s2, s2, 0xffff
	s_add_u32 s16, s12, s16
	s_addc_u32 s17, s13, s17
	v_add_co_u32 v3, s16, s16, v3
	s_delay_alu instid0(VALU_DEP_1)
	v_add_co_ci_u32_e64 v4, null, s17, 0, s16
	s_mov_b32 s16, 0
	s_lshl_b32 s17, s2, 3
	s_lshl_b32 s18, s2, 2
	s_branch .LBB406_5
.LBB406_3:                              ;   in Loop: Header=BB406_5 Depth=1
	s_or_b32 exec_lo, exec_lo, s20
.LBB406_4:                              ;   in Loop: Header=BB406_5 Depth=1
	s_delay_alu instid0(SALU_CYCLE_1)
	s_or_b32 exec_lo, exec_lo, s2
	v_add_co_u32 v10, vcc_lo, s14, v1
	v_add_co_ci_u32_e32 v11, vcc_lo, s15, v2, vcc_lo
	v_add_co_u32 v1, vcc_lo, s18, v1
	v_add_co_ci_u32_e32 v2, vcc_lo, 0, v2, vcc_lo
	v_lshlrev_b32_e32 v6, 16, v9
	v_lshlrev_b32_e32 v8, 8, v8
	v_and_b32_e32 v7, 0xff, v7
	s_delay_alu instid0(VALU_DEP_4) | instskip(SKIP_3) | instid1(VALU_DEP_3)
	v_cmp_le_i64_e32 vcc_lo, s[4:5], v[1:2]
	v_cmp_lt_u64_e64 s2, 0xffff, v[1:2]
	v_perm_b32 v5, v5, v6, 0x4020c0c
	v_and_b32_e32 v6, 0xff00, v8
	s_or_b32 s2, vcc_lo, s2
	v_add_co_u32 v3, vcc_lo, v3, s17
	s_delay_alu instid0(VALU_DEP_2) | instskip(SKIP_2) | instid1(SALU_CYCLE_1)
	v_or3_b32 v5, v5, v6, v7
	v_add_co_ci_u32_e32 v4, vcc_lo, 0, v4, vcc_lo
	s_and_b32 s2, exec_lo, s2
	s_or_b32 s16, s2, s16
	global_store_b32 v[10:11], v5, off
	s_and_not1_b32 exec_lo, exec_lo, s16
	s_cbranch_execz .LBB406_36
.LBB406_5:                              ; =>This Inner Loop Header: Depth=1
	global_load_b64 v[5:6], v[3:4], off
	v_mov_b32_e32 v8, 0x80
	s_mov_b32 s2, exec_lo
	s_waitcnt vmcnt(0)
	v_dual_mov_b32 v7, 0x80 :: v_dual_lshlrev_b32 v10, 16, v5
	s_delay_alu instid0(VALU_DEP_1) | instskip(NEXT) | instid1(VALU_DEP_1)
	v_and_b32_e32 v9, 0x7fffffff, v10
	v_cmpx_gt_u32_e32 0x47800000, v9
	s_cbranch_execz .LBB406_11
; %bb.6:                                ;   in Loop: Header=BB406_5 Depth=1
	v_cmp_lt_u32_e32 vcc_lo, 0x37ffffff, v9
	s_mov_b32 s19, 0
                                        ; implicit-def: $vgpr9
	s_and_saveexec_b32 s20, vcc_lo
	s_delay_alu instid0(SALU_CYCLE_1)
	s_xor_b32 s20, exec_lo, s20
	s_cbranch_execnz .LBB406_27
; %bb.7:                                ;   in Loop: Header=BB406_5 Depth=1
	s_or_saveexec_b32 s20, s20
                                        ; implicit-def: $sgpr21
	s_delay_alu instid0(SALU_CYCLE_1)
	s_xor_b32 exec_lo, exec_lo, s20
	s_cbranch_execnz .LBB406_28
.LBB406_8:                              ;   in Loop: Header=BB406_5 Depth=1
	s_or_b32 exec_lo, exec_lo, s20
	v_mov_b32_e32 v7, s21
	s_and_saveexec_b32 s20, s19
.LBB406_9:                              ;   in Loop: Header=BB406_5 Depth=1
	v_lshrrev_b32_e32 v7, 8, v5
	s_delay_alu instid0(VALU_DEP_1)
	v_and_or_b32 v7, 0x80, v7, v9
.LBB406_10:                             ;   in Loop: Header=BB406_5 Depth=1
	s_or_b32 exec_lo, exec_lo, s20
.LBB406_11:                             ;   in Loop: Header=BB406_5 Depth=1
	s_delay_alu instid0(SALU_CYCLE_1) | instskip(SKIP_2) | instid1(VALU_DEP_1)
	s_or_b32 exec_lo, exec_lo, s2
	v_and_b32_e32 v10, 0xffff0000, v5
	s_mov_b32 s2, exec_lo
	v_and_b32_e32 v9, 0x7fffffff, v10
	s_delay_alu instid0(VALU_DEP_1)
	v_cmpx_gt_u32_e32 0x47800000, v9
	s_cbranch_execz .LBB406_17
; %bb.12:                               ;   in Loop: Header=BB406_5 Depth=1
	v_cmp_lt_u32_e32 vcc_lo, 0x37ffffff, v9
	s_mov_b32 s19, 0
                                        ; implicit-def: $vgpr9
	s_and_saveexec_b32 s20, vcc_lo
	s_delay_alu instid0(SALU_CYCLE_1)
	s_xor_b32 s20, exec_lo, s20
	s_cbranch_execnz .LBB406_29
; %bb.13:                               ;   in Loop: Header=BB406_5 Depth=1
	s_or_saveexec_b32 s20, s20
                                        ; implicit-def: $sgpr21
	s_delay_alu instid0(SALU_CYCLE_1)
	s_xor_b32 exec_lo, exec_lo, s20
	s_cbranch_execnz .LBB406_30
.LBB406_14:                             ;   in Loop: Header=BB406_5 Depth=1
	s_or_b32 exec_lo, exec_lo, s20
	v_mov_b32_e32 v8, s21
	s_and_saveexec_b32 s20, s19
.LBB406_15:                             ;   in Loop: Header=BB406_5 Depth=1
	v_lshrrev_b32_e32 v5, 24, v5
	s_delay_alu instid0(VALU_DEP_1)
	v_and_or_b32 v8, 0x80, v5, v9
.LBB406_16:                             ;   in Loop: Header=BB406_5 Depth=1
	s_or_b32 exec_lo, exec_lo, s20
.LBB406_17:                             ;   in Loop: Header=BB406_5 Depth=1
	s_delay_alu instid0(SALU_CYCLE_1) | instskip(SKIP_4) | instid1(VALU_DEP_3)
	s_or_b32 exec_lo, exec_lo, s2
	v_lshlrev_b32_e32 v11, 16, v6
	v_mov_b32_e32 v5, 0x80
	v_mov_b32_e32 v9, 0x80
	s_mov_b32 s2, exec_lo
	v_and_b32_e32 v10, 0x7fffffff, v11
	s_delay_alu instid0(VALU_DEP_1)
	v_cmpx_gt_u32_e32 0x47800000, v10
	s_cbranch_execz .LBB406_23
; %bb.18:                               ;   in Loop: Header=BB406_5 Depth=1
	v_cmp_lt_u32_e32 vcc_lo, 0x37ffffff, v10
	s_mov_b32 s19, 0
                                        ; implicit-def: $vgpr10
	s_and_saveexec_b32 s20, vcc_lo
	s_delay_alu instid0(SALU_CYCLE_1)
	s_xor_b32 s20, exec_lo, s20
	s_cbranch_execnz .LBB406_31
; %bb.19:                               ;   in Loop: Header=BB406_5 Depth=1
	s_or_saveexec_b32 s20, s20
                                        ; implicit-def: $sgpr21
	s_delay_alu instid0(SALU_CYCLE_1)
	s_xor_b32 exec_lo, exec_lo, s20
	s_cbranch_execnz .LBB406_32
.LBB406_20:                             ;   in Loop: Header=BB406_5 Depth=1
	s_or_b32 exec_lo, exec_lo, s20
	v_mov_b32_e32 v9, s21
	s_and_saveexec_b32 s20, s19
.LBB406_21:                             ;   in Loop: Header=BB406_5 Depth=1
	v_lshrrev_b32_e32 v9, 8, v6
	s_delay_alu instid0(VALU_DEP_1)
	v_and_or_b32 v9, 0x80, v9, v10
.LBB406_22:                             ;   in Loop: Header=BB406_5 Depth=1
	s_or_b32 exec_lo, exec_lo, s20
.LBB406_23:                             ;   in Loop: Header=BB406_5 Depth=1
	s_delay_alu instid0(SALU_CYCLE_1) | instskip(SKIP_2) | instid1(VALU_DEP_1)
	s_or_b32 exec_lo, exec_lo, s2
	v_and_b32_e32 v11, 0xffff0000, v6
	s_mov_b32 s2, exec_lo
	v_and_b32_e32 v10, 0x7fffffff, v11
	s_delay_alu instid0(VALU_DEP_1)
	v_cmpx_gt_u32_e32 0x47800000, v10
	s_cbranch_execz .LBB406_4
; %bb.24:                               ;   in Loop: Header=BB406_5 Depth=1
	v_lshrrev_b32_e32 v6, 16, v6
	v_cmp_lt_u32_e32 vcc_lo, 0x37ffffff, v10
	s_mov_b32 s19, 0
                                        ; implicit-def: $vgpr10
	s_and_saveexec_b32 s20, vcc_lo
	s_delay_alu instid0(SALU_CYCLE_1)
	s_xor_b32 s20, exec_lo, s20
	s_cbranch_execnz .LBB406_33
; %bb.25:                               ;   in Loop: Header=BB406_5 Depth=1
	s_or_saveexec_b32 s20, s20
                                        ; implicit-def: $sgpr21
	s_delay_alu instid0(SALU_CYCLE_1)
	s_xor_b32 exec_lo, exec_lo, s20
	s_cbranch_execnz .LBB406_34
.LBB406_26:                             ;   in Loop: Header=BB406_5 Depth=1
	s_or_b32 exec_lo, exec_lo, s20
	v_mov_b32_e32 v5, s21
	s_and_saveexec_b32 s20, s19
	s_cbranch_execz .LBB406_3
	s_branch .LBB406_35
.LBB406_27:                             ;   in Loop: Header=BB406_5 Depth=1
	v_bfe_u32 v7, v5, 5, 1
	s_mov_b32 s19, exec_lo
	s_delay_alu instid0(VALU_DEP_1) | instskip(NEXT) | instid1(VALU_DEP_1)
	v_add3_u32 v7, v10, v7, 0x88fffff
                                        ; implicit-def: $vgpr10
	v_lshrrev_b32_e32 v9, 21, v7
	s_or_saveexec_b32 s20, s20
                                        ; implicit-def: $sgpr21
	s_delay_alu instid0(SALU_CYCLE_1)
	s_xor_b32 exec_lo, exec_lo, s20
	s_cbranch_execz .LBB406_8
.LBB406_28:                             ;   in Loop: Header=BB406_5 Depth=1
	v_add_f32_e64 v7, 0x42800000, |v10|
	s_and_not1_b32 s19, s19, exec_lo
	s_mov_b32 s21, 0
	s_delay_alu instid0(VALU_DEP_1) | instskip(NEXT) | instid1(VALU_DEP_1)
	v_and_b32_e32 v9, 0xff, v7
	v_cmp_ne_u32_e32 vcc_lo, 0, v9
	s_and_b32 s22, vcc_lo, exec_lo
	s_delay_alu instid0(SALU_CYCLE_1)
	s_or_b32 s19, s19, s22
	s_or_b32 exec_lo, exec_lo, s20
	v_mov_b32_e32 v7, s21
	s_and_saveexec_b32 s20, s19
	s_cbranch_execnz .LBB406_9
	s_branch .LBB406_10
.LBB406_29:                             ;   in Loop: Header=BB406_5 Depth=1
	v_bfe_u32 v8, v5, 21, 1
	s_mov_b32 s19, exec_lo
	s_delay_alu instid0(VALU_DEP_1) | instskip(NEXT) | instid1(VALU_DEP_1)
	v_add3_u32 v8, v10, v8, 0x88fffff
                                        ; implicit-def: $vgpr10
	v_lshrrev_b32_e32 v9, 21, v8
	s_or_saveexec_b32 s20, s20
                                        ; implicit-def: $sgpr21
	s_delay_alu instid0(SALU_CYCLE_1)
	s_xor_b32 exec_lo, exec_lo, s20
	s_cbranch_execz .LBB406_14
.LBB406_30:                             ;   in Loop: Header=BB406_5 Depth=1
	v_add_f32_e64 v8, 0x42800000, |v10|
	s_and_not1_b32 s19, s19, exec_lo
	s_mov_b32 s21, 0
	s_delay_alu instid0(VALU_DEP_1) | instskip(NEXT) | instid1(VALU_DEP_1)
	v_and_b32_e32 v9, 0xff, v8
	v_cmp_ne_u32_e32 vcc_lo, 0, v9
	s_and_b32 s22, vcc_lo, exec_lo
	s_delay_alu instid0(SALU_CYCLE_1)
	s_or_b32 s19, s19, s22
	s_or_b32 exec_lo, exec_lo, s20
	v_mov_b32_e32 v8, s21
	s_and_saveexec_b32 s20, s19
	s_cbranch_execnz .LBB406_15
	s_branch .LBB406_16
.LBB406_31:                             ;   in Loop: Header=BB406_5 Depth=1
	v_bfe_u32 v9, v6, 5, 1
	s_mov_b32 s19, exec_lo
	s_delay_alu instid0(VALU_DEP_1) | instskip(NEXT) | instid1(VALU_DEP_1)
	v_add3_u32 v9, v11, v9, 0x88fffff
                                        ; implicit-def: $vgpr11
	v_lshrrev_b32_e32 v10, 21, v9
	s_or_saveexec_b32 s20, s20
                                        ; implicit-def: $sgpr21
	s_delay_alu instid0(SALU_CYCLE_1)
	s_xor_b32 exec_lo, exec_lo, s20
	s_cbranch_execz .LBB406_20
.LBB406_32:                             ;   in Loop: Header=BB406_5 Depth=1
	v_add_f32_e64 v9, 0x42800000, |v11|
	s_and_not1_b32 s19, s19, exec_lo
	s_mov_b32 s21, 0
	s_delay_alu instid0(VALU_DEP_1) | instskip(NEXT) | instid1(VALU_DEP_1)
	v_and_b32_e32 v10, 0xff, v9
	v_cmp_ne_u32_e32 vcc_lo, 0, v10
	s_and_b32 s22, vcc_lo, exec_lo
	s_delay_alu instid0(SALU_CYCLE_1)
	s_or_b32 s19, s19, s22
	s_or_b32 exec_lo, exec_lo, s20
	v_mov_b32_e32 v9, s21
	s_and_saveexec_b32 s20, s19
	s_cbranch_execnz .LBB406_21
	s_branch .LBB406_22
.LBB406_33:                             ;   in Loop: Header=BB406_5 Depth=1
	v_bfe_u32 v5, v6, 5, 1
	s_mov_b32 s19, exec_lo
	s_delay_alu instid0(VALU_DEP_1) | instskip(NEXT) | instid1(VALU_DEP_1)
	v_add3_u32 v5, v11, v5, 0x88fffff
                                        ; implicit-def: $vgpr11
	v_lshrrev_b32_e32 v10, 21, v5
	s_or_saveexec_b32 s20, s20
                                        ; implicit-def: $sgpr21
	s_delay_alu instid0(SALU_CYCLE_1)
	s_xor_b32 exec_lo, exec_lo, s20
	s_cbranch_execz .LBB406_26
.LBB406_34:                             ;   in Loop: Header=BB406_5 Depth=1
	v_add_f32_e64 v5, 0x42800000, |v11|
	s_and_not1_b32 s19, s19, exec_lo
	s_mov_b32 s21, 0
	s_delay_alu instid0(VALU_DEP_1) | instskip(NEXT) | instid1(VALU_DEP_1)
	v_and_b32_e32 v10, 0xff, v5
	v_cmp_ne_u32_e32 vcc_lo, 0, v10
	s_and_b32 s22, vcc_lo, exec_lo
	s_delay_alu instid0(SALU_CYCLE_1)
	s_or_b32 s19, s19, s22
	s_or_b32 exec_lo, exec_lo, s20
	v_mov_b32_e32 v5, s21
	s_and_saveexec_b32 s20, s19
	s_cbranch_execz .LBB406_3
.LBB406_35:                             ;   in Loop: Header=BB406_5 Depth=1
	v_lshrrev_b32_e32 v5, 8, v6
	s_delay_alu instid0(VALU_DEP_1)
	v_and_or_b32 v5, 0x80, v5, v10
	s_branch .LBB406_3
.LBB406_36:
	s_or_b32 exec_lo, exec_lo, s3
	s_mov_b32 s2, 0
.LBB406_37:
	s_delay_alu instid0(SALU_CYCLE_1)
	s_and_not1_b32 vcc_lo, exec_lo, s2
	s_cbranch_vccnz .LBB406_89
; %bb.38:
	v_cmp_lt_i64_e64 s2, s[4:5], 1
	s_delay_alu instid0(VALU_DEP_1)
	s_and_b32 vcc_lo, exec_lo, s2
	s_cbranch_vccnz .LBB406_89
; %bb.39:
	s_load_b32 s0, s[0:1], 0xc5c
	v_cmp_gt_u64_e64 s1, 0x10000, s[4:5]
	v_add_co_u32 v5, s2, s8, v0
	v_lshlrev_b32_e32 v1, 1, v0
	v_add_co_ci_u32_e64 v6, null, s9, 0, s2
	s_delay_alu instid0(VALU_DEP_3) | instskip(NEXT) | instid1(VALU_DEP_2)
	v_add_co_u32 v13, vcc_lo, s6, v5
                                        ; implicit-def: $vgpr29
                                        ; implicit-def: $vgpr30
                                        ; implicit-def: $vgpr27
                                        ; implicit-def: $vgpr28
	v_add_co_ci_u32_e32 v14, vcc_lo, s7, v6, vcc_lo
	s_waitcnt lgkmcnt(0)
	s_and_b32 s0, s0, 0xffff
	s_and_b32 s1, s1, exec_lo
	s_cselect_b32 s3, s5, 0
	s_cselect_b32 s2, s4, 0x10000
	s_lshl_b64 s[10:11], s[10:11], 17
	s_lshl_b32 s14, s0, 1
	s_lshl_b32 s1, s0, 2
	s_add_u32 s12, s12, s10
	s_mul_i32 s15, s0, 3
	s_addc_u32 s11, s13, s11
	s_lshl_b32 s10, s0, 3
	v_add_co_u32 v1, s16, s12, v1
	s_add_u32 s13, s8, s15
	v_add_co_ci_u32_e64 v2, null, s11, 0, s16
	s_addc_u32 s16, s9, 0
	s_add_u32 s13, s6, s13
	s_addc_u32 s16, s7, s16
	v_add_co_u32 v15, s13, s13, v0
	s_delay_alu instid0(VALU_DEP_1) | instskip(SKIP_1) | instid1(VALU_DEP_1)
	v_add_co_ci_u32_e64 v16, null, s16, 0, s13
	v_add_co_u32 v17, s13, s15, v0
	v_add_co_ci_u32_e64 v18, null, 0, 0, s13
	v_add_co_u32 v19, s13, v0, s0
	s_add_u32 s8, s8, s14
	s_addc_u32 s9, s9, 0
	s_add_u32 s8, s6, s8
	s_delay_alu instid0(VALU_DEP_1) | instskip(SKIP_2) | instid1(VALU_DEP_1)
	v_lshlrev_b32_e32 v3, 1, v19
	s_addc_u32 s9, s7, s9
	v_add_co_u32 v20, s8, s8, v0
	v_add_co_ci_u32_e64 v21, null, s9, 0, s8
	v_add_co_u32 v23, s8, s14, v0
	s_add_u32 s6, s6, s0
	v_add_co_ci_u32_e64 v24, null, 0, 0, s8
	v_add_co_u32 v3, s8, s12, v3
	s_addc_u32 s7, s7, 0
	v_add_co_u32 v25, vcc_lo, s6, v5
	v_add_co_ci_u32_e64 v22, null, 0, 0, s13
	v_add_co_ci_u32_e64 v4, null, s11, 0, s8
	v_add_co_ci_u32_e32 v26, vcc_lo, s7, v6, vcc_lo
	s_mul_i32 s8, s0, 6
	s_mov_b64 s[6:7], 0
	s_branch .LBB406_41
.LBB406_40:                             ;   in Loop: Header=BB406_41 Depth=1
	s_or_b32 exec_lo, exec_lo, s0
	s_add_u32 s6, s6, s1
	s_addc_u32 s7, s7, 0
	v_add_co_u32 v1, vcc_lo, v1, s10
	v_cmp_ge_i64_e64 s0, s[6:7], s[4:5]
	v_cmp_lt_u64_e64 s9, 0xffff, s[6:7]
	v_add_co_ci_u32_e32 v2, vcc_lo, 0, v2, vcc_lo
	v_add_co_u32 v3, vcc_lo, v3, s10
	v_add_co_ci_u32_e32 v4, vcc_lo, 0, v4, vcc_lo
	s_delay_alu instid0(VALU_DEP_4) | instskip(NEXT) | instid1(SALU_CYCLE_1)
	s_or_b32 s0, s0, s9
	s_and_b32 vcc_lo, exec_lo, s0
	s_cbranch_vccnz .LBB406_89
.LBB406_41:                             ; =>This Inner Loop Header: Depth=1
	v_add_co_u32 v5, s0, v0, s6
	s_delay_alu instid0(VALU_DEP_1) | instskip(NEXT) | instid1(VALU_DEP_1)
	v_add_co_ci_u32_e64 v6, null, 0, s7, s0
	v_cmp_gt_i64_e32 vcc_lo, s[4:5], v[5:6]
	v_cmp_gt_u64_e64 s0, 0x10000, v[5:6]
	s_delay_alu instid0(VALU_DEP_1) | instskip(NEXT) | instid1(SALU_CYCLE_1)
	s_and_b32 s9, vcc_lo, s0
	s_and_saveexec_b32 s0, s9
	s_cbranch_execz .LBB406_43
; %bb.42:                               ;   in Loop: Header=BB406_41 Depth=1
	global_load_u16 v28, v[1:2], off
.LBB406_43:                             ;   in Loop: Header=BB406_41 Depth=1
	s_or_b32 exec_lo, exec_lo, s0
	v_add_co_u32 v7, vcc_lo, v19, s6
	v_add_co_ci_u32_e32 v8, vcc_lo, s7, v22, vcc_lo
	s_delay_alu instid0(VALU_DEP_1) | instskip(SKIP_1) | instid1(VALU_DEP_1)
	v_cmp_gt_i64_e32 vcc_lo, s[4:5], v[7:8]
	v_cmp_gt_u64_e64 s0, 0x10000, v[7:8]
	s_and_b32 s9, vcc_lo, s0
	s_delay_alu instid0(SALU_CYCLE_1)
	s_and_saveexec_b32 s0, s9
	s_cbranch_execz .LBB406_45
; %bb.44:                               ;   in Loop: Header=BB406_41 Depth=1
	global_load_u16 v27, v[3:4], off
.LBB406_45:                             ;   in Loop: Header=BB406_41 Depth=1
	s_or_b32 exec_lo, exec_lo, s0
	v_add_co_u32 v9, vcc_lo, v23, s6
	v_add_co_ci_u32_e32 v10, vcc_lo, s7, v24, vcc_lo
	s_delay_alu instid0(VALU_DEP_1) | instskip(SKIP_1) | instid1(VALU_DEP_1)
	v_cmp_gt_i64_e32 vcc_lo, s[4:5], v[9:10]
	v_cmp_gt_u64_e64 s0, 0x10000, v[9:10]
	s_and_b32 s9, vcc_lo, s0
	s_delay_alu instid0(SALU_CYCLE_1)
	s_and_saveexec_b32 s0, s9
	s_cbranch_execz .LBB406_47
; %bb.46:                               ;   in Loop: Header=BB406_41 Depth=1
	v_add_co_u32 v11, vcc_lo, v1, s1
	v_add_co_ci_u32_e32 v12, vcc_lo, 0, v2, vcc_lo
	global_load_u16 v30, v[11:12], off
.LBB406_47:                             ;   in Loop: Header=BB406_41 Depth=1
	s_or_b32 exec_lo, exec_lo, s0
	v_add_co_u32 v11, vcc_lo, v17, s6
	v_add_co_ci_u32_e32 v12, vcc_lo, s7, v18, vcc_lo
	s_delay_alu instid0(VALU_DEP_1) | instskip(SKIP_1) | instid1(VALU_DEP_1)
	v_cmp_gt_i64_e32 vcc_lo, s[4:5], v[11:12]
	v_cmp_gt_u64_e64 s0, 0x10000, v[11:12]
	s_and_b32 s9, vcc_lo, s0
	s_delay_alu instid0(SALU_CYCLE_1)
	s_and_saveexec_b32 s0, s9
	s_cbranch_execz .LBB406_49
; %bb.48:                               ;   in Loop: Header=BB406_41 Depth=1
	v_add_co_u32 v31, vcc_lo, v1, s8
	v_add_co_ci_u32_e32 v32, vcc_lo, 0, v2, vcc_lo
	global_load_u16 v29, v[31:32], off
.LBB406_49:                             ;   in Loop: Header=BB406_41 Depth=1
	s_or_b32 exec_lo, exec_lo, s0
	s_waitcnt vmcnt(0)
	v_dual_mov_b32 v32, 0x80 :: v_dual_lshlrev_b32 v35, 16, v28
	v_mov_b32_e32 v31, 0x80
	s_mov_b32 s0, exec_lo
	s_delay_alu instid0(VALU_DEP_2) | instskip(NEXT) | instid1(VALU_DEP_1)
	v_and_b32_e32 v34, 0x7fffffff, v35
	v_cmpx_gt_u32_e32 0x47800000, v34
	s_cbranch_execz .LBB406_55
; %bb.50:                               ;   in Loop: Header=BB406_41 Depth=1
	v_and_b32_e32 v33, 0xffff, v28
	v_cmp_lt_u32_e32 vcc_lo, 0x37ffffff, v34
	s_mov_b32 s9, 0
                                        ; implicit-def: $vgpr34
	s_and_saveexec_b32 s11, vcc_lo
	s_delay_alu instid0(SALU_CYCLE_1)
	s_xor_b32 s11, exec_lo, s11
	s_cbranch_execnz .LBB406_81
; %bb.51:                               ;   in Loop: Header=BB406_41 Depth=1
	s_or_saveexec_b32 s11, s11
                                        ; implicit-def: $sgpr12
	s_delay_alu instid0(SALU_CYCLE_1)
	s_xor_b32 exec_lo, exec_lo, s11
	s_cbranch_execnz .LBB406_82
.LBB406_52:                             ;   in Loop: Header=BB406_41 Depth=1
	s_or_b32 exec_lo, exec_lo, s11
	v_mov_b32_e32 v32, s12
	s_and_saveexec_b32 s11, s9
.LBB406_53:                             ;   in Loop: Header=BB406_41 Depth=1
	v_lshrrev_b32_e32 v32, 8, v33
	s_delay_alu instid0(VALU_DEP_1)
	v_and_or_b32 v32, 0x80, v32, v34
.LBB406_54:                             ;   in Loop: Header=BB406_41 Depth=1
	s_or_b32 exec_lo, exec_lo, s11
.LBB406_55:                             ;   in Loop: Header=BB406_41 Depth=1
	s_delay_alu instid0(SALU_CYCLE_1) | instskip(SKIP_2) | instid1(VALU_DEP_1)
	s_or_b32 exec_lo, exec_lo, s0
	v_lshlrev_b32_e32 v35, 16, v27
	s_mov_b32 s0, exec_lo
	v_and_b32_e32 v34, 0x7fffffff, v35
	s_delay_alu instid0(VALU_DEP_1)
	v_cmpx_gt_u32_e32 0x47800000, v34
	s_cbranch_execz .LBB406_61
; %bb.56:                               ;   in Loop: Header=BB406_41 Depth=1
	v_and_b32_e32 v33, 0xffff, v27
	v_cmp_lt_u32_e32 vcc_lo, 0x37ffffff, v34
	s_mov_b32 s9, 0
                                        ; implicit-def: $vgpr34
	s_and_saveexec_b32 s11, vcc_lo
	s_delay_alu instid0(SALU_CYCLE_1)
	s_xor_b32 s11, exec_lo, s11
	s_cbranch_execnz .LBB406_83
; %bb.57:                               ;   in Loop: Header=BB406_41 Depth=1
	s_or_saveexec_b32 s11, s11
                                        ; implicit-def: $sgpr12
	s_delay_alu instid0(SALU_CYCLE_1)
	s_xor_b32 exec_lo, exec_lo, s11
	s_cbranch_execnz .LBB406_84
.LBB406_58:                             ;   in Loop: Header=BB406_41 Depth=1
	s_or_b32 exec_lo, exec_lo, s11
	v_mov_b32_e32 v31, s12
	s_and_saveexec_b32 s11, s9
.LBB406_59:                             ;   in Loop: Header=BB406_41 Depth=1
	v_lshrrev_b32_e32 v31, 8, v33
	s_delay_alu instid0(VALU_DEP_1)
	v_and_or_b32 v31, 0x80, v31, v34
.LBB406_60:                             ;   in Loop: Header=BB406_41 Depth=1
	s_or_b32 exec_lo, exec_lo, s11
.LBB406_61:                             ;   in Loop: Header=BB406_41 Depth=1
	s_delay_alu instid0(SALU_CYCLE_1) | instskip(SKIP_3) | instid1(VALU_DEP_2)
	s_or_b32 exec_lo, exec_lo, s0
	v_dual_mov_b32 v34, 0x80 :: v_dual_lshlrev_b32 v37, 16, v30
	v_mov_b32_e32 v33, 0x80
	s_mov_b32 s0, exec_lo
	v_and_b32_e32 v36, 0x7fffffff, v37
	s_delay_alu instid0(VALU_DEP_1)
	v_cmpx_gt_u32_e32 0x47800000, v36
	s_cbranch_execz .LBB406_67
; %bb.62:                               ;   in Loop: Header=BB406_41 Depth=1
	v_and_b32_e32 v35, 0xffff, v30
	v_cmp_lt_u32_e32 vcc_lo, 0x37ffffff, v36
	s_mov_b32 s9, 0
                                        ; implicit-def: $vgpr36
	s_and_saveexec_b32 s11, vcc_lo
	s_delay_alu instid0(SALU_CYCLE_1)
	s_xor_b32 s11, exec_lo, s11
	s_cbranch_execnz .LBB406_85
; %bb.63:                               ;   in Loop: Header=BB406_41 Depth=1
	s_or_saveexec_b32 s11, s11
                                        ; implicit-def: $sgpr12
	s_delay_alu instid0(SALU_CYCLE_1)
	s_xor_b32 exec_lo, exec_lo, s11
	s_cbranch_execnz .LBB406_86
.LBB406_64:                             ;   in Loop: Header=BB406_41 Depth=1
	s_or_b32 exec_lo, exec_lo, s11
	v_mov_b32_e32 v34, s12
	s_and_saveexec_b32 s11, s9
.LBB406_65:                             ;   in Loop: Header=BB406_41 Depth=1
	v_lshrrev_b32_e32 v34, 8, v35
	s_delay_alu instid0(VALU_DEP_1)
	v_and_or_b32 v34, 0x80, v34, v36
.LBB406_66:                             ;   in Loop: Header=BB406_41 Depth=1
	s_or_b32 exec_lo, exec_lo, s11
.LBB406_67:                             ;   in Loop: Header=BB406_41 Depth=1
	s_delay_alu instid0(SALU_CYCLE_1) | instskip(SKIP_2) | instid1(VALU_DEP_1)
	s_or_b32 exec_lo, exec_lo, s0
	v_lshlrev_b32_e32 v37, 16, v29
	s_mov_b32 s0, exec_lo
	v_and_b32_e32 v36, 0x7fffffff, v37
	s_delay_alu instid0(VALU_DEP_1)
	v_cmpx_gt_u32_e32 0x47800000, v36
	s_cbranch_execz .LBB406_73
; %bb.68:                               ;   in Loop: Header=BB406_41 Depth=1
	v_and_b32_e32 v35, 0xffff, v29
	v_cmp_lt_u32_e32 vcc_lo, 0x37ffffff, v36
	s_mov_b32 s9, 0
                                        ; implicit-def: $vgpr36
	s_and_saveexec_b32 s11, vcc_lo
	s_delay_alu instid0(SALU_CYCLE_1)
	s_xor_b32 s11, exec_lo, s11
	s_cbranch_execnz .LBB406_87
; %bb.69:                               ;   in Loop: Header=BB406_41 Depth=1
	s_or_saveexec_b32 s11, s11
                                        ; implicit-def: $sgpr12
	s_delay_alu instid0(SALU_CYCLE_1)
	s_xor_b32 exec_lo, exec_lo, s11
	s_cbranch_execnz .LBB406_88
.LBB406_70:                             ;   in Loop: Header=BB406_41 Depth=1
	s_or_b32 exec_lo, exec_lo, s11
	v_mov_b32_e32 v33, s12
	s_and_saveexec_b32 s11, s9
.LBB406_71:                             ;   in Loop: Header=BB406_41 Depth=1
	v_lshrrev_b32_e32 v33, 8, v35
	s_delay_alu instid0(VALU_DEP_1)
	v_and_or_b32 v33, 0x80, v33, v36
.LBB406_72:                             ;   in Loop: Header=BB406_41 Depth=1
	s_or_b32 exec_lo, exec_lo, s11
.LBB406_73:                             ;   in Loop: Header=BB406_41 Depth=1
	s_delay_alu instid0(SALU_CYCLE_1) | instskip(NEXT) | instid1(SALU_CYCLE_1)
	s_or_b32 exec_lo, exec_lo, s0
	s_mov_b32 s0, exec_lo
	v_cmpx_gt_u64_e64 s[2:3], v[5:6]
	s_xor_b32 s0, exec_lo, s0
	s_cbranch_execnz .LBB406_77
; %bb.74:                               ;   in Loop: Header=BB406_41 Depth=1
	s_or_b32 exec_lo, exec_lo, s0
	s_delay_alu instid0(SALU_CYCLE_1)
	s_mov_b32 s0, exec_lo
	v_cmpx_gt_u64_e64 s[2:3], v[7:8]
	s_cbranch_execnz .LBB406_78
.LBB406_75:                             ;   in Loop: Header=BB406_41 Depth=1
	s_or_b32 exec_lo, exec_lo, s0
	s_delay_alu instid0(SALU_CYCLE_1)
	s_mov_b32 s0, exec_lo
	v_cmpx_gt_u64_e64 s[2:3], v[9:10]
	s_cbranch_execnz .LBB406_79
.LBB406_76:                             ;   in Loop: Header=BB406_41 Depth=1
	s_or_b32 exec_lo, exec_lo, s0
	s_delay_alu instid0(SALU_CYCLE_1)
	s_mov_b32 s0, exec_lo
	v_cmpx_gt_u64_e64 s[2:3], v[11:12]
	s_cbranch_execz .LBB406_40
	s_branch .LBB406_80
.LBB406_77:                             ;   in Loop: Header=BB406_41 Depth=1
	v_add_co_u32 v5, vcc_lo, v13, s6
	v_add_co_ci_u32_e32 v6, vcc_lo, s7, v14, vcc_lo
	global_store_b8 v[5:6], v32, off
	s_or_b32 exec_lo, exec_lo, s0
	s_delay_alu instid0(SALU_CYCLE_1)
	s_mov_b32 s0, exec_lo
	v_cmpx_gt_u64_e64 s[2:3], v[7:8]
	s_cbranch_execz .LBB406_75
.LBB406_78:                             ;   in Loop: Header=BB406_41 Depth=1
	v_add_co_u32 v5, vcc_lo, v25, s6
	v_add_co_ci_u32_e32 v6, vcc_lo, s7, v26, vcc_lo
	global_store_b8 v[5:6], v31, off
	s_or_b32 exec_lo, exec_lo, s0
	s_delay_alu instid0(SALU_CYCLE_1)
	s_mov_b32 s0, exec_lo
	v_cmpx_gt_u64_e64 s[2:3], v[9:10]
	s_cbranch_execz .LBB406_76
.LBB406_79:                             ;   in Loop: Header=BB406_41 Depth=1
	v_add_co_u32 v5, vcc_lo, v20, s6
	v_add_co_ci_u32_e32 v6, vcc_lo, s7, v21, vcc_lo
	global_store_b8 v[5:6], v34, off
	s_or_b32 exec_lo, exec_lo, s0
	s_delay_alu instid0(SALU_CYCLE_1)
	s_mov_b32 s0, exec_lo
	v_cmpx_gt_u64_e64 s[2:3], v[11:12]
	s_cbranch_execz .LBB406_40
.LBB406_80:                             ;   in Loop: Header=BB406_41 Depth=1
	v_add_co_u32 v5, vcc_lo, v15, s6
	v_add_co_ci_u32_e32 v6, vcc_lo, s7, v16, vcc_lo
	global_store_b8 v[5:6], v33, off
	s_branch .LBB406_40
.LBB406_81:                             ;   in Loop: Header=BB406_41 Depth=1
	v_bfe_u32 v32, v33, 5, 1
	s_mov_b32 s9, exec_lo
	s_delay_alu instid0(VALU_DEP_1) | instskip(NEXT) | instid1(VALU_DEP_1)
	v_add3_u32 v32, v35, v32, 0x88fffff
                                        ; implicit-def: $vgpr35
	v_lshrrev_b32_e32 v34, 21, v32
	s_or_saveexec_b32 s11, s11
                                        ; implicit-def: $sgpr12
	s_delay_alu instid0(SALU_CYCLE_1)
	s_xor_b32 exec_lo, exec_lo, s11
	s_cbranch_execz .LBB406_52
.LBB406_82:                             ;   in Loop: Header=BB406_41 Depth=1
	v_add_f32_e64 v32, 0x42800000, |v35|
	s_and_not1_b32 s9, s9, exec_lo
	s_mov_b32 s12, 0
	s_delay_alu instid0(VALU_DEP_1) | instskip(NEXT) | instid1(VALU_DEP_1)
	v_and_b32_e32 v34, 0xff, v32
	v_cmp_ne_u32_e32 vcc_lo, 0, v34
	s_and_b32 s13, vcc_lo, exec_lo
	s_delay_alu instid0(SALU_CYCLE_1)
	s_or_b32 s9, s9, s13
	s_or_b32 exec_lo, exec_lo, s11
	v_mov_b32_e32 v32, s12
	s_and_saveexec_b32 s11, s9
	s_cbranch_execnz .LBB406_53
	s_branch .LBB406_54
.LBB406_83:                             ;   in Loop: Header=BB406_41 Depth=1
	v_bfe_u32 v31, v33, 5, 1
	s_mov_b32 s9, exec_lo
	s_delay_alu instid0(VALU_DEP_1) | instskip(NEXT) | instid1(VALU_DEP_1)
	v_add3_u32 v31, v35, v31, 0x88fffff
                                        ; implicit-def: $vgpr35
	v_lshrrev_b32_e32 v34, 21, v31
	s_or_saveexec_b32 s11, s11
                                        ; implicit-def: $sgpr12
	s_delay_alu instid0(SALU_CYCLE_1)
	s_xor_b32 exec_lo, exec_lo, s11
	s_cbranch_execz .LBB406_58
.LBB406_84:                             ;   in Loop: Header=BB406_41 Depth=1
	v_add_f32_e64 v31, 0x42800000, |v35|
	s_and_not1_b32 s9, s9, exec_lo
	s_mov_b32 s12, 0
	s_delay_alu instid0(VALU_DEP_1) | instskip(NEXT) | instid1(VALU_DEP_1)
	v_and_b32_e32 v34, 0xff, v31
	v_cmp_ne_u32_e32 vcc_lo, 0, v34
	s_and_b32 s13, vcc_lo, exec_lo
	s_delay_alu instid0(SALU_CYCLE_1)
	s_or_b32 s9, s9, s13
	s_or_b32 exec_lo, exec_lo, s11
	v_mov_b32_e32 v31, s12
	s_and_saveexec_b32 s11, s9
	s_cbranch_execnz .LBB406_59
	s_branch .LBB406_60
.LBB406_85:                             ;   in Loop: Header=BB406_41 Depth=1
	v_bfe_u32 v34, v35, 5, 1
	s_mov_b32 s9, exec_lo
	s_delay_alu instid0(VALU_DEP_1) | instskip(NEXT) | instid1(VALU_DEP_1)
	v_add3_u32 v34, v37, v34, 0x88fffff
                                        ; implicit-def: $vgpr37
	v_lshrrev_b32_e32 v36, 21, v34
	s_or_saveexec_b32 s11, s11
                                        ; implicit-def: $sgpr12
	s_delay_alu instid0(SALU_CYCLE_1)
	s_xor_b32 exec_lo, exec_lo, s11
	s_cbranch_execz .LBB406_64
.LBB406_86:                             ;   in Loop: Header=BB406_41 Depth=1
	v_add_f32_e64 v34, 0x42800000, |v37|
	s_and_not1_b32 s9, s9, exec_lo
	s_mov_b32 s12, 0
	s_delay_alu instid0(VALU_DEP_1) | instskip(NEXT) | instid1(VALU_DEP_1)
	v_and_b32_e32 v36, 0xff, v34
	v_cmp_ne_u32_e32 vcc_lo, 0, v36
	s_and_b32 s13, vcc_lo, exec_lo
	s_delay_alu instid0(SALU_CYCLE_1)
	s_or_b32 s9, s9, s13
	s_or_b32 exec_lo, exec_lo, s11
	v_mov_b32_e32 v34, s12
	s_and_saveexec_b32 s11, s9
	s_cbranch_execnz .LBB406_65
	s_branch .LBB406_66
.LBB406_87:                             ;   in Loop: Header=BB406_41 Depth=1
	v_bfe_u32 v33, v35, 5, 1
	s_mov_b32 s9, exec_lo
	s_delay_alu instid0(VALU_DEP_1) | instskip(NEXT) | instid1(VALU_DEP_1)
	v_add3_u32 v33, v37, v33, 0x88fffff
                                        ; implicit-def: $vgpr37
	v_lshrrev_b32_e32 v36, 21, v33
	s_or_saveexec_b32 s11, s11
                                        ; implicit-def: $sgpr12
	s_delay_alu instid0(SALU_CYCLE_1)
	s_xor_b32 exec_lo, exec_lo, s11
	s_cbranch_execz .LBB406_70
.LBB406_88:                             ;   in Loop: Header=BB406_41 Depth=1
	v_add_f32_e64 v33, 0x42800000, |v37|
	s_and_not1_b32 s9, s9, exec_lo
	s_mov_b32 s12, 0
	s_delay_alu instid0(VALU_DEP_1) | instskip(NEXT) | instid1(VALU_DEP_1)
	v_and_b32_e32 v36, 0xff, v33
	v_cmp_ne_u32_e32 vcc_lo, 0, v36
	s_and_b32 s13, vcc_lo, exec_lo
	s_delay_alu instid0(SALU_CYCLE_1)
	s_or_b32 s9, s9, s13
	s_or_b32 exec_lo, exec_lo, s11
	v_mov_b32_e32 v33, s12
	s_and_saveexec_b32 s11, s9
	s_cbranch_execnz .LBB406_71
	s_branch .LBB406_72
.LBB406_89:
	s_nop 0
	s_sendmsg sendmsg(MSG_DEALLOC_VGPRS)
	s_endpgm
	.section	.rodata,"a",@progbits
	.p2align	6, 0x0
	.amdhsa_kernel _ZN2at6native12_GLOBAL__N_125multi_tensor_apply_kernelINS1_18TensorListMetadataILi2EEENS1_11CopyFunctorIN3c1015Float8_e5m2fnuzENS6_8BFloat16ELi2ELi1ELi1EEEJNS0_4CopyIS7_S8_EEEEEvT_T0_DpT1_
		.amdhsa_group_segment_fixed_size 0
		.amdhsa_private_segment_fixed_size 0
		.amdhsa_kernarg_size 3408
		.amdhsa_user_sgpr_count 15
		.amdhsa_user_sgpr_dispatch_ptr 0
		.amdhsa_user_sgpr_queue_ptr 0
		.amdhsa_user_sgpr_kernarg_segment_ptr 1
		.amdhsa_user_sgpr_dispatch_id 0
		.amdhsa_user_sgpr_private_segment_size 0
		.amdhsa_wavefront_size32 1
		.amdhsa_uses_dynamic_stack 0
		.amdhsa_enable_private_segment 0
		.amdhsa_system_sgpr_workgroup_id_x 1
		.amdhsa_system_sgpr_workgroup_id_y 0
		.amdhsa_system_sgpr_workgroup_id_z 0
		.amdhsa_system_sgpr_workgroup_info 0
		.amdhsa_system_vgpr_workitem_id 0
		.amdhsa_next_free_vgpr 38
		.amdhsa_next_free_sgpr 23
		.amdhsa_reserve_vcc 1
		.amdhsa_float_round_mode_32 0
		.amdhsa_float_round_mode_16_64 0
		.amdhsa_float_denorm_mode_32 3
		.amdhsa_float_denorm_mode_16_64 3
		.amdhsa_dx10_clamp 1
		.amdhsa_ieee_mode 1
		.amdhsa_fp16_overflow 0
		.amdhsa_workgroup_processor_mode 1
		.amdhsa_memory_ordered 1
		.amdhsa_forward_progress 0
		.amdhsa_shared_vgpr_count 0
		.amdhsa_exception_fp_ieee_invalid_op 0
		.amdhsa_exception_fp_denorm_src 0
		.amdhsa_exception_fp_ieee_div_zero 0
		.amdhsa_exception_fp_ieee_overflow 0
		.amdhsa_exception_fp_ieee_underflow 0
		.amdhsa_exception_fp_ieee_inexact 0
		.amdhsa_exception_int_div_zero 0
	.end_amdhsa_kernel
	.section	.text._ZN2at6native12_GLOBAL__N_125multi_tensor_apply_kernelINS1_18TensorListMetadataILi2EEENS1_11CopyFunctorIN3c1015Float8_e5m2fnuzENS6_8BFloat16ELi2ELi1ELi1EEEJNS0_4CopyIS7_S8_EEEEEvT_T0_DpT1_,"axG",@progbits,_ZN2at6native12_GLOBAL__N_125multi_tensor_apply_kernelINS1_18TensorListMetadataILi2EEENS1_11CopyFunctorIN3c1015Float8_e5m2fnuzENS6_8BFloat16ELi2ELi1ELi1EEEJNS0_4CopyIS7_S8_EEEEEvT_T0_DpT1_,comdat
.Lfunc_end406:
	.size	_ZN2at6native12_GLOBAL__N_125multi_tensor_apply_kernelINS1_18TensorListMetadataILi2EEENS1_11CopyFunctorIN3c1015Float8_e5m2fnuzENS6_8BFloat16ELi2ELi1ELi1EEEJNS0_4CopyIS7_S8_EEEEEvT_T0_DpT1_, .Lfunc_end406-_ZN2at6native12_GLOBAL__N_125multi_tensor_apply_kernelINS1_18TensorListMetadataILi2EEENS1_11CopyFunctorIN3c1015Float8_e5m2fnuzENS6_8BFloat16ELi2ELi1ELi1EEEJNS0_4CopyIS7_S8_EEEEEvT_T0_DpT1_
                                        ; -- End function
	.section	.AMDGPU.csdata,"",@progbits
; Kernel info:
; codeLenInByte = 3352
; NumSgprs: 25
; NumVgprs: 38
; ScratchSize: 0
; MemoryBound: 0
; FloatMode: 240
; IeeeMode: 1
; LDSByteSize: 0 bytes/workgroup (compile time only)
; SGPRBlocks: 3
; VGPRBlocks: 4
; NumSGPRsForWavesPerEU: 25
; NumVGPRsForWavesPerEU: 38
; Occupancy: 16
; WaveLimiterHint : 0
; COMPUTE_PGM_RSRC2:SCRATCH_EN: 0
; COMPUTE_PGM_RSRC2:USER_SGPR: 15
; COMPUTE_PGM_RSRC2:TRAP_HANDLER: 0
; COMPUTE_PGM_RSRC2:TGID_X_EN: 1
; COMPUTE_PGM_RSRC2:TGID_Y_EN: 0
; COMPUTE_PGM_RSRC2:TGID_Z_EN: 0
; COMPUTE_PGM_RSRC2:TIDIG_COMP_CNT: 0
	.section	.text._ZN2at6native12_GLOBAL__N_125multi_tensor_apply_kernelINS1_18TensorListMetadataILi2EEENS1_11CopyFunctorIN3c1015Float8_e5m2fnuzEbLi2ELi1ELi1EEEJNS0_4CopyIS7_bEEEEEvT_T0_DpT1_,"axG",@progbits,_ZN2at6native12_GLOBAL__N_125multi_tensor_apply_kernelINS1_18TensorListMetadataILi2EEENS1_11CopyFunctorIN3c1015Float8_e5m2fnuzEbLi2ELi1ELi1EEEJNS0_4CopyIS7_bEEEEEvT_T0_DpT1_,comdat
	.globl	_ZN2at6native12_GLOBAL__N_125multi_tensor_apply_kernelINS1_18TensorListMetadataILi2EEENS1_11CopyFunctorIN3c1015Float8_e5m2fnuzEbLi2ELi1ELi1EEEJNS0_4CopyIS7_bEEEEEvT_T0_DpT1_ ; -- Begin function _ZN2at6native12_GLOBAL__N_125multi_tensor_apply_kernelINS1_18TensorListMetadataILi2EEENS1_11CopyFunctorIN3c1015Float8_e5m2fnuzEbLi2ELi1ELi1EEEJNS0_4CopyIS7_bEEEEEvT_T0_DpT1_
	.p2align	8
	.type	_ZN2at6native12_GLOBAL__N_125multi_tensor_apply_kernelINS1_18TensorListMetadataILi2EEENS1_11CopyFunctorIN3c1015Float8_e5m2fnuzEbLi2ELi1ELi1EEEJNS0_4CopyIS7_bEEEEEvT_T0_DpT1_,@function
_ZN2at6native12_GLOBAL__N_125multi_tensor_apply_kernelINS1_18TensorListMetadataILi2EEENS1_11CopyFunctorIN3c1015Float8_e5m2fnuzEbLi2ELi1ELi1EEEJNS0_4CopyIS7_bEEEEEvT_T0_DpT1_: ; @_ZN2at6native12_GLOBAL__N_125multi_tensor_apply_kernelINS1_18TensorListMetadataILi2EEENS1_11CopyFunctorIN3c1015Float8_e5m2fnuzEbLi2ELi1ELi1EEEJNS0_4CopyIS7_bEEEEEvT_T0_DpT1_
; %bb.0:
	v_mov_b32_e32 v1, s15
	s_add_u32 s2, s0, s15
	s_mul_i32 s4, s15, 3
	s_addc_u32 s3, s1, 0
	s_mul_hi_u32 s5, s15, 3
	global_load_u8 v1, v1, s[0:1] offset:1536
	s_add_u32 s2, s2, s4
	s_addc_u32 s3, s3, s5
	s_load_b32 s2, s[2:3], 0x740
	s_waitcnt vmcnt(0)
	v_readfirstlane_b32 s4, v1
	s_delay_alu instid0(VALU_DEP_1)
	s_lshl_b32 s3, s4, 3
	s_clause 0x2
	s_load_b64 s[8:9], s[0:1], s3 offset:0x0
	s_load_b64 s[10:11], s[0:1], s3 offset:0x200
	;; [unrolled: 1-line block ×3, first 2 shown]
	s_waitcnt lgkmcnt(0)
	s_ashr_i32 s3, s2, 31
	s_delay_alu instid0(SALU_CYCLE_1) | instskip(NEXT) | instid1(SALU_CYCLE_1)
	s_lshl_b64 s[12:13], s[2:3], 16
	s_add_u32 s5, s8, s12
	s_addc_u32 s16, s9, s13
	s_add_u32 s14, s10, s12
	s_addc_u32 s15, s11, s13
	s_delay_alu instid0(SALU_CYCLE_1) | instskip(NEXT) | instid1(SALU_CYCLE_1)
	s_or_b64 s[2:3], s[6:7], s[14:15]
	s_or_b32 s2, s5, s2
	s_delay_alu instid0(SALU_CYCLE_1)
	s_and_b32 s2, s2, 3
	s_sub_u32 s6, s6, s12
	s_subb_u32 s7, s7, s13
	s_cmp_eq_u32 s2, 0
	s_mov_b32 s2, -1
	s_cbranch_scc0 .LBB407_29
; %bb.1:
	v_dual_mov_b32 v2, 0 :: v_dual_lshlrev_b32 v1, 2, v0
	s_mov_b32 s17, exec_lo
	s_delay_alu instid0(VALU_DEP_1)
	v_cmpx_gt_i64_e64 s[6:7], v[1:2]
	s_cbranch_execz .LBB407_28
; %bb.2:
	s_load_b32 s2, s[0:1], 0xc5c
	s_mov_b32 s19, 0
	s_waitcnt lgkmcnt(0)
	s_and_b32 s2, s2, 0xffff
	s_delay_alu instid0(SALU_CYCLE_1)
	s_lshl_b32 s18, s2, 2
	s_branch .LBB407_5
.LBB407_3:                              ;   in Loop: Header=BB407_5 Depth=1
	s_or_b32 exec_lo, exec_lo, s3
.LBB407_4:                              ;   in Loop: Header=BB407_5 Depth=1
	s_delay_alu instid0(SALU_CYCLE_1)
	s_or_b32 exec_lo, exec_lo, s2
	v_add_co_u32 v7, vcc_lo, s14, v1
	v_add_co_ci_u32_e32 v8, vcc_lo, s15, v2, vcc_lo
	v_add_co_u32 v1, vcc_lo, s18, v1
	v_add_co_ci_u32_e32 v2, vcc_lo, 0, v2, vcc_lo
	v_lshlrev_b32_e32 v6, 16, v6
	v_lshlrev_b32_e32 v4, 8, v4
	v_and_b32_e32 v3, 0xff, v3
	s_delay_alu instid0(VALU_DEP_4) | instskip(SKIP_3) | instid1(VALU_DEP_3)
	v_cmp_le_i64_e32 vcc_lo, s[6:7], v[1:2]
	v_cmp_lt_u64_e64 s2, 0xffff, v[1:2]
	v_perm_b32 v5, v5, v6, 0x4020c0c
	v_and_b32_e32 v4, 0xff00, v4
	s_or_b32 s2, vcc_lo, s2
	s_delay_alu instid0(VALU_DEP_1) | instskip(SKIP_1) | instid1(SALU_CYCLE_1)
	v_or3_b32 v3, v5, v4, v3
	s_and_b32 s2, exec_lo, s2
	s_or_b32 s19, s2, s19
	global_store_b32 v[7:8], v3, off
	s_and_not1_b32 exec_lo, exec_lo, s19
	s_cbranch_execz .LBB407_28
.LBB407_5:                              ; =>This Inner Loop Header: Depth=1
	v_add_co_u32 v3, vcc_lo, s5, v1
	v_add_co_ci_u32_e32 v4, vcc_lo, s16, v2, vcc_lo
	s_mov_b32 s20, exec_lo
	global_load_b32 v3, v[3:4], off
	s_waitcnt vmcnt(0)
	v_lshrrev_b16 v4, 8, v3
	v_and_b32_e32 v5, 1, v3
	v_and_b32_e32 v6, 0x1000000, v3
	;; [unrolled: 1-line block ×3, first 2 shown]
	s_delay_alu instid0(VALU_DEP_4) | instskip(NEXT) | instid1(VALU_DEP_4)
	v_dual_mov_b32 v4, 0x80 :: v_dual_and_b32 v7, 1, v4
	v_cmp_eq_u32_e32 vcc_lo, 1, v5
	s_delay_alu instid0(VALU_DEP_3) | instskip(SKIP_1) | instid1(VALU_DEP_4)
	v_cmp_ne_u32_e64 s2, 0, v3
	v_mov_b32_e32 v3, 0x80
	v_cmp_eq_u32_e64 s3, 1, v7
	v_cndmask_b32_e64 v5, 0, 1.0, vcc_lo
	v_cmp_ne_u32_e32 vcc_lo, 0, v6
	s_delay_alu instid0(VALU_DEP_2)
	v_cmpx_gt_u32_e32 0x47800000, v5
	s_cbranch_execz .LBB407_11
; %bb.6:                                ;   in Loop: Header=BB407_5 Depth=1
	v_cmp_lt_u32_e64 s4, 0x37ffffff, v5
                                        ; implicit-def: $vgpr3
	s_delay_alu instid0(VALU_DEP_1) | instskip(NEXT) | instid1(SALU_CYCLE_1)
	s_and_saveexec_b32 s21, s4
	s_xor_b32 s4, exec_lo, s21
; %bb.7:                                ;   in Loop: Header=BB407_5 Depth=1
	v_bfe_u32 v3, v5, 21, 1
	s_delay_alu instid0(VALU_DEP_1) | instskip(NEXT) | instid1(VALU_DEP_1)
	v_add3_u32 v3, v5, v3, 0x88fffff
                                        ; implicit-def: $vgpr5
	v_lshrrev_b32_e32 v3, 21, v3
; %bb.8:                                ;   in Loop: Header=BB407_5 Depth=1
	s_and_not1_saveexec_b32 s4, s4
; %bb.9:                                ;   in Loop: Header=BB407_5 Depth=1
	v_add_f32_e32 v3, 0x42800000, v5
; %bb.10:                               ;   in Loop: Header=BB407_5 Depth=1
	s_or_b32 exec_lo, exec_lo, s4
.LBB407_11:                             ;   in Loop: Header=BB407_5 Depth=1
	s_delay_alu instid0(SALU_CYCLE_1) | instskip(SKIP_2) | instid1(VALU_DEP_1)
	s_or_b32 exec_lo, exec_lo, s20
	v_cndmask_b32_e64 v5, 0, 1.0, s3
	s_mov_b32 s4, exec_lo
	v_cmpx_gt_u32_e32 0x47800000, v5
	s_cbranch_execz .LBB407_17
; %bb.12:                               ;   in Loop: Header=BB407_5 Depth=1
	v_cmp_lt_u32_e64 s3, 0x37ffffff, v5
                                        ; implicit-def: $vgpr4
	s_delay_alu instid0(VALU_DEP_1) | instskip(NEXT) | instid1(SALU_CYCLE_1)
	s_and_saveexec_b32 s20, s3
	s_xor_b32 s3, exec_lo, s20
; %bb.13:                               ;   in Loop: Header=BB407_5 Depth=1
	v_bfe_u32 v4, v5, 21, 1
	s_delay_alu instid0(VALU_DEP_1) | instskip(NEXT) | instid1(VALU_DEP_1)
	v_add3_u32 v4, v5, v4, 0x88fffff
                                        ; implicit-def: $vgpr5
	v_lshrrev_b32_e32 v4, 21, v4
; %bb.14:                               ;   in Loop: Header=BB407_5 Depth=1
	s_and_not1_saveexec_b32 s3, s3
; %bb.15:                               ;   in Loop: Header=BB407_5 Depth=1
	v_add_f32_e32 v4, 0x42800000, v5
	s_delay_alu instid0(VALU_DEP_1)
	v_and_b32_e32 v4, 0xff, v4
; %bb.16:                               ;   in Loop: Header=BB407_5 Depth=1
	s_or_b32 exec_lo, exec_lo, s3
.LBB407_17:                             ;   in Loop: Header=BB407_5 Depth=1
	s_delay_alu instid0(SALU_CYCLE_1) | instskip(SKIP_3) | instid1(VALU_DEP_2)
	s_or_b32 exec_lo, exec_lo, s4
	v_cndmask_b32_e64 v7, 0, 1.0, s2
	v_dual_mov_b32 v5, 0x80 :: v_dual_mov_b32 v6, 0x80
	s_mov_b32 s3, exec_lo
	v_cmpx_gt_u32_e32 0x47800000, v7
	s_cbranch_execz .LBB407_23
; %bb.18:                               ;   in Loop: Header=BB407_5 Depth=1
	v_cmp_lt_u32_e64 s2, 0x37ffffff, v7
                                        ; implicit-def: $vgpr6
	s_delay_alu instid0(VALU_DEP_1) | instskip(NEXT) | instid1(SALU_CYCLE_1)
	s_and_saveexec_b32 s4, s2
	s_xor_b32 s2, exec_lo, s4
; %bb.19:                               ;   in Loop: Header=BB407_5 Depth=1
	v_bfe_u32 v6, v7, 21, 1
	s_delay_alu instid0(VALU_DEP_1) | instskip(NEXT) | instid1(VALU_DEP_1)
	v_add3_u32 v6, v7, v6, 0x88fffff
                                        ; implicit-def: $vgpr7
	v_lshrrev_b32_e32 v6, 21, v6
; %bb.20:                               ;   in Loop: Header=BB407_5 Depth=1
	s_and_not1_saveexec_b32 s2, s2
; %bb.21:                               ;   in Loop: Header=BB407_5 Depth=1
	v_add_f32_e32 v6, 0x42800000, v7
	s_delay_alu instid0(VALU_DEP_1)
	v_and_b32_e32 v6, 0xff, v6
; %bb.22:                               ;   in Loop: Header=BB407_5 Depth=1
	s_or_b32 exec_lo, exec_lo, s2
.LBB407_23:                             ;   in Loop: Header=BB407_5 Depth=1
	s_delay_alu instid0(SALU_CYCLE_1) | instskip(SKIP_2) | instid1(VALU_DEP_1)
	s_or_b32 exec_lo, exec_lo, s3
	v_cndmask_b32_e64 v7, 0, 1.0, vcc_lo
	s_mov_b32 s2, exec_lo
	v_cmpx_gt_u32_e32 0x47800000, v7
	s_cbranch_execz .LBB407_4
; %bb.24:                               ;   in Loop: Header=BB407_5 Depth=1
	s_mov_b32 s3, exec_lo
                                        ; implicit-def: $vgpr5
	v_cmpx_lt_u32_e32 0x37ffffff, v7
	s_xor_b32 s3, exec_lo, s3
; %bb.25:                               ;   in Loop: Header=BB407_5 Depth=1
	v_bfe_u32 v5, v7, 21, 1
	s_delay_alu instid0(VALU_DEP_1) | instskip(NEXT) | instid1(VALU_DEP_1)
	v_add3_u32 v5, v7, v5, 0x88fffff
                                        ; implicit-def: $vgpr7
	v_lshrrev_b32_e32 v5, 21, v5
; %bb.26:                               ;   in Loop: Header=BB407_5 Depth=1
	s_and_not1_saveexec_b32 s3, s3
	s_cbranch_execz .LBB407_3
; %bb.27:                               ;   in Loop: Header=BB407_5 Depth=1
	v_add_f32_e32 v5, 0x42800000, v7
	s_branch .LBB407_3
.LBB407_28:
	s_or_b32 exec_lo, exec_lo, s17
	s_mov_b32 s2, 0
.LBB407_29:
	s_delay_alu instid0(SALU_CYCLE_1)
	s_and_not1_b32 vcc_lo, exec_lo, s2
	s_cbranch_vccnz .LBB407_81
; %bb.30:
	v_cmp_lt_i64_e64 s2, s[6:7], 1
	s_delay_alu instid0(VALU_DEP_1)
	s_and_b32 vcc_lo, exec_lo, s2
	s_cbranch_vccnz .LBB407_81
; %bb.31:
	s_load_b32 s0, s[0:1], 0xc5c
	v_add_co_u32 v1, s1, s12, v0
	s_delay_alu instid0(VALU_DEP_1) | instskip(SKIP_1) | instid1(VALU_DEP_3)
	v_add_co_ci_u32_e64 v2, null, s13, 0, s1
	v_cmp_gt_u64_e64 s1, 0x10000, s[6:7]
	v_add_co_u32 v9, vcc_lo, s8, v1
	s_delay_alu instid0(VALU_DEP_3)
	v_add_co_ci_u32_e32 v10, vcc_lo, s9, v2, vcc_lo
	v_add_co_u32 v11, vcc_lo, s10, v1
	v_add_co_ci_u32_e32 v12, vcc_lo, s11, v2, vcc_lo
                                        ; implicit-def: $vgpr31
                                        ; implicit-def: $vgpr32
                                        ; implicit-def: $vgpr33
                                        ; implicit-def: $vgpr34
	s_waitcnt lgkmcnt(0)
	s_and_b32 s0, s0, 0xffff
	s_and_b32 s1, s1, exec_lo
	s_mul_i32 s2, s0, 3
	s_cselect_b32 s5, s7, 0
	s_cselect_b32 s4, s6, 0x10000
	s_lshl_b32 s1, s0, 1
	s_lshl_b32 s3, s0, 2
	s_add_u32 s14, s12, s2
	s_addc_u32 s15, s13, 0
	v_add_co_u32 v3, s14, s14, v0
	s_delay_alu instid0(VALU_DEP_1) | instskip(SKIP_1) | instid1(VALU_DEP_2)
	v_add_co_ci_u32_e64 v4, null, s15, 0, s14
	s_add_u32 s12, s12, s1
	v_add_co_u32 v13, vcc_lo, s8, v3
	s_delay_alu instid0(VALU_DEP_2)
	v_add_co_ci_u32_e32 v14, vcc_lo, s9, v4, vcc_lo
	v_add_co_u32 v15, vcc_lo, s10, v3
	s_addc_u32 s13, s13, 0
	v_add_co_u32 v3, s12, s12, v0
	v_add_co_ci_u32_e32 v16, vcc_lo, s11, v4, vcc_lo
	v_add_co_ci_u32_e64 v4, null, s13, 0, s12
	s_delay_alu instid0(VALU_DEP_3) | instskip(SKIP_1) | instid1(VALU_DEP_3)
	v_add_co_u32 v19, vcc_lo, s8, v3
	v_add_co_u32 v17, s2, s2, v0
	v_add_co_ci_u32_e32 v20, vcc_lo, s9, v4, vcc_lo
	v_add_co_u32 v21, vcc_lo, s10, v3
	v_add_co_ci_u32_e32 v22, vcc_lo, s11, v4, vcc_lo
	v_add_co_u32 v1, vcc_lo, v1, s0
	v_add_co_ci_u32_e32 v2, vcc_lo, 0, v2, vcc_lo
	v_add_co_u32 v23, s1, s1, v0
	s_delay_alu instid0(VALU_DEP_3) | instskip(NEXT) | instid1(VALU_DEP_3)
	v_add_co_u32 v25, vcc_lo, s8, v1
	v_add_co_ci_u32_e32 v26, vcc_lo, s9, v2, vcc_lo
	v_add_co_u32 v27, vcc_lo, s10, v1
	v_add_co_u32 v29, s0, v0, s0
	v_add_co_ci_u32_e64 v18, null, 0, 0, s2
	v_add_co_ci_u32_e64 v24, null, 0, 0, s1
	v_add_co_ci_u32_e32 v28, vcc_lo, s11, v2, vcc_lo
	v_add_co_ci_u32_e64 v30, null, 0, 0, s0
	s_mov_b64 s[8:9], 0
	s_branch .LBB407_33
.LBB407_32:                             ;   in Loop: Header=BB407_33 Depth=1
	s_or_b32 exec_lo, exec_lo, s0
	s_add_u32 s8, s8, s3
	s_addc_u32 s9, s9, 0
	s_delay_alu instid0(SALU_CYCLE_1) | instskip(SKIP_1) | instid1(VALU_DEP_1)
	v_cmp_ge_i64_e64 s0, s[8:9], s[6:7]
	v_cmp_lt_u64_e64 s1, 0xffff, s[8:9]
	s_or_b32 s0, s0, s1
	s_delay_alu instid0(SALU_CYCLE_1)
	s_and_b32 vcc_lo, exec_lo, s0
	s_cbranch_vccnz .LBB407_81
.LBB407_33:                             ; =>This Inner Loop Header: Depth=1
	v_add_co_u32 v1, s0, v0, s8
	s_delay_alu instid0(VALU_DEP_1) | instskip(NEXT) | instid1(VALU_DEP_1)
	v_add_co_ci_u32_e64 v2, null, 0, s9, s0
	v_cmp_gt_i64_e32 vcc_lo, s[6:7], v[1:2]
	v_cmp_gt_u64_e64 s0, 0x10000, v[1:2]
	s_delay_alu instid0(VALU_DEP_1) | instskip(NEXT) | instid1(SALU_CYCLE_1)
	s_and_b32 s1, vcc_lo, s0
	s_and_saveexec_b32 s0, s1
	s_cbranch_execz .LBB407_35
; %bb.34:                               ;   in Loop: Header=BB407_33 Depth=1
	v_add_co_u32 v3, vcc_lo, v9, s8
	v_add_co_ci_u32_e32 v4, vcc_lo, s9, v10, vcc_lo
	global_load_u8 v31, v[3:4], off
.LBB407_35:                             ;   in Loop: Header=BB407_33 Depth=1
	s_or_b32 exec_lo, exec_lo, s0
	v_add_co_u32 v3, vcc_lo, v29, s8
	v_add_co_ci_u32_e32 v4, vcc_lo, s9, v30, vcc_lo
	s_delay_alu instid0(VALU_DEP_1) | instskip(SKIP_1) | instid1(VALU_DEP_1)
	v_cmp_gt_i64_e32 vcc_lo, s[6:7], v[3:4]
	v_cmp_gt_u64_e64 s0, 0x10000, v[3:4]
	s_and_b32 s1, vcc_lo, s0
	s_delay_alu instid0(SALU_CYCLE_1)
	s_and_saveexec_b32 s0, s1
	s_cbranch_execz .LBB407_37
; %bb.36:                               ;   in Loop: Header=BB407_33 Depth=1
	v_add_co_u32 v5, vcc_lo, v25, s8
	v_add_co_ci_u32_e32 v6, vcc_lo, s9, v26, vcc_lo
	global_load_u8 v32, v[5:6], off
.LBB407_37:                             ;   in Loop: Header=BB407_33 Depth=1
	s_or_b32 exec_lo, exec_lo, s0
	v_add_co_u32 v5, vcc_lo, v23, s8
	v_add_co_ci_u32_e32 v6, vcc_lo, s9, v24, vcc_lo
	s_delay_alu instid0(VALU_DEP_1) | instskip(SKIP_1) | instid1(VALU_DEP_1)
	v_cmp_gt_i64_e32 vcc_lo, s[6:7], v[5:6]
	v_cmp_gt_u64_e64 s0, 0x10000, v[5:6]
	s_and_b32 s1, vcc_lo, s0
	s_delay_alu instid0(SALU_CYCLE_1)
	;; [unrolled: 15-line block ×3, first 2 shown]
	s_and_saveexec_b32 s0, s1
	s_cbranch_execz .LBB407_41
; %bb.40:                               ;   in Loop: Header=BB407_33 Depth=1
	v_add_co_u32 v34, vcc_lo, v13, s8
	v_add_co_ci_u32_e32 v35, vcc_lo, s9, v14, vcc_lo
	global_load_u8 v34, v[34:35], off
.LBB407_41:                             ;   in Loop: Header=BB407_33 Depth=1
	s_or_b32 exec_lo, exec_lo, s0
	s_waitcnt vmcnt(0)
	v_and_b32_e32 v35, 1, v31
	v_and_b32_e32 v36, 1, v32
	;; [unrolled: 1-line block ×4, first 2 shown]
	s_mov_b32 s10, exec_lo
	s_delay_alu instid0(VALU_DEP_3)
	v_cmp_eq_u32_e64 s1, 1, v36
	v_mov_b32_e32 v36, 0x80
	v_cmp_eq_u32_e32 vcc_lo, 1, v35
	v_mov_b32_e32 v35, 0x80
	v_cmp_eq_u32_e64 s0, 1, v37
	v_cndmask_b32_e64 v38, 0, 1.0, vcc_lo
	v_cmp_eq_u32_e32 vcc_lo, 1, v39
	s_delay_alu instid0(VALU_DEP_2)
	v_cmpx_gt_u32_e32 0x47800000, v38
	s_cbranch_execz .LBB407_47
; %bb.42:                               ;   in Loop: Header=BB407_33 Depth=1
	v_cmp_lt_u32_e64 s2, 0x37ffffff, v38
	s_mov_b32 s11, 0
                                        ; implicit-def: $vgpr37
	s_delay_alu instid0(VALU_DEP_1) | instskip(NEXT) | instid1(SALU_CYCLE_1)
	s_and_saveexec_b32 s12, s2
	s_xor_b32 s2, exec_lo, s12
	s_cbranch_execnz .LBB407_73
; %bb.43:                               ;   in Loop: Header=BB407_33 Depth=1
	s_or_saveexec_b32 s12, s2
                                        ; implicit-def: $sgpr2
	s_delay_alu instid0(SALU_CYCLE_1)
	s_xor_b32 exec_lo, exec_lo, s12
	s_cbranch_execnz .LBB407_74
.LBB407_44:                             ;   in Loop: Header=BB407_33 Depth=1
	s_or_b32 exec_lo, exec_lo, s12
	v_mov_b32_e32 v36, s2
	s_and_saveexec_b32 s2, s11
.LBB407_45:                             ;   in Loop: Header=BB407_33 Depth=1
	v_mov_b32_e32 v36, v37
.LBB407_46:                             ;   in Loop: Header=BB407_33 Depth=1
	s_or_b32 exec_lo, exec_lo, s2
.LBB407_47:                             ;   in Loop: Header=BB407_33 Depth=1
	s_delay_alu instid0(SALU_CYCLE_1) | instskip(SKIP_2) | instid1(VALU_DEP_1)
	s_or_b32 exec_lo, exec_lo, s10
	v_cndmask_b32_e64 v38, 0, 1.0, s1
	s_mov_b32 s2, exec_lo
	v_cmpx_gt_u32_e32 0x47800000, v38
	s_cbranch_execz .LBB407_53
; %bb.48:                               ;   in Loop: Header=BB407_33 Depth=1
	v_cmp_lt_u32_e64 s1, 0x37ffffff, v38
	s_mov_b32 s10, 0
                                        ; implicit-def: $vgpr37
	s_delay_alu instid0(VALU_DEP_1) | instskip(NEXT) | instid1(SALU_CYCLE_1)
	s_and_saveexec_b32 s11, s1
	s_xor_b32 s1, exec_lo, s11
	s_cbranch_execnz .LBB407_75
; %bb.49:                               ;   in Loop: Header=BB407_33 Depth=1
	s_or_saveexec_b32 s11, s1
                                        ; implicit-def: $sgpr1
	s_delay_alu instid0(SALU_CYCLE_1)
	s_xor_b32 exec_lo, exec_lo, s11
	s_cbranch_execnz .LBB407_76
.LBB407_50:                             ;   in Loop: Header=BB407_33 Depth=1
	s_or_b32 exec_lo, exec_lo, s11
	v_mov_b32_e32 v35, s1
	s_and_saveexec_b32 s1, s10
.LBB407_51:                             ;   in Loop: Header=BB407_33 Depth=1
	v_mov_b32_e32 v35, v37
.LBB407_52:                             ;   in Loop: Header=BB407_33 Depth=1
	s_or_b32 exec_lo, exec_lo, s1
.LBB407_53:                             ;   in Loop: Header=BB407_33 Depth=1
	s_delay_alu instid0(SALU_CYCLE_1) | instskip(SKIP_3) | instid1(VALU_DEP_2)
	s_or_b32 exec_lo, exec_lo, s2
	v_cndmask_b32_e64 v40, 0, 1.0, s0
	v_dual_mov_b32 v37, 0x80 :: v_dual_mov_b32 v38, 0x80
	s_mov_b32 s1, exec_lo
	v_cmpx_gt_u32_e32 0x47800000, v40
	s_cbranch_execz .LBB407_59
; %bb.54:                               ;   in Loop: Header=BB407_33 Depth=1
	v_cmp_lt_u32_e64 s0, 0x37ffffff, v40
	s_mov_b32 s2, 0
                                        ; implicit-def: $vgpr39
	s_delay_alu instid0(VALU_DEP_1) | instskip(NEXT) | instid1(SALU_CYCLE_1)
	s_and_saveexec_b32 s10, s0
	s_xor_b32 s0, exec_lo, s10
	s_cbranch_execnz .LBB407_77
; %bb.55:                               ;   in Loop: Header=BB407_33 Depth=1
	s_or_saveexec_b32 s10, s0
                                        ; implicit-def: $sgpr0
	s_delay_alu instid0(SALU_CYCLE_1)
	s_xor_b32 exec_lo, exec_lo, s10
	s_cbranch_execnz .LBB407_78
.LBB407_56:                             ;   in Loop: Header=BB407_33 Depth=1
	s_or_b32 exec_lo, exec_lo, s10
	v_mov_b32_e32 v38, s0
	s_and_saveexec_b32 s0, s2
.LBB407_57:                             ;   in Loop: Header=BB407_33 Depth=1
	v_mov_b32_e32 v38, v39
.LBB407_58:                             ;   in Loop: Header=BB407_33 Depth=1
	s_or_b32 exec_lo, exec_lo, s0
.LBB407_59:                             ;   in Loop: Header=BB407_33 Depth=1
	s_delay_alu instid0(SALU_CYCLE_1) | instskip(SKIP_2) | instid1(VALU_DEP_1)
	s_or_b32 exec_lo, exec_lo, s1
	v_cndmask_b32_e64 v40, 0, 1.0, vcc_lo
	s_mov_b32 s0, exec_lo
	v_cmpx_gt_u32_e32 0x47800000, v40
	s_cbranch_execz .LBB407_65
; %bb.60:                               ;   in Loop: Header=BB407_33 Depth=1
	s_mov_b32 s1, 0
	s_mov_b32 s2, exec_lo
                                        ; implicit-def: $vgpr39
	v_cmpx_lt_u32_e32 0x37ffffff, v40
	s_xor_b32 s2, exec_lo, s2
	s_cbranch_execnz .LBB407_79
; %bb.61:                               ;   in Loop: Header=BB407_33 Depth=1
	s_or_saveexec_b32 s2, s2
                                        ; implicit-def: $sgpr10
	s_delay_alu instid0(SALU_CYCLE_1)
	s_xor_b32 exec_lo, exec_lo, s2
	s_cbranch_execnz .LBB407_80
.LBB407_62:                             ;   in Loop: Header=BB407_33 Depth=1
	s_or_b32 exec_lo, exec_lo, s2
	v_mov_b32_e32 v37, s10
	s_and_saveexec_b32 s2, s1
.LBB407_63:                             ;   in Loop: Header=BB407_33 Depth=1
	v_mov_b32_e32 v37, v39
.LBB407_64:                             ;   in Loop: Header=BB407_33 Depth=1
	s_or_b32 exec_lo, exec_lo, s2
.LBB407_65:                             ;   in Loop: Header=BB407_33 Depth=1
	s_delay_alu instid0(SALU_CYCLE_1) | instskip(NEXT) | instid1(SALU_CYCLE_1)
	s_or_b32 exec_lo, exec_lo, s0
	s_mov_b32 s0, exec_lo
	v_cmpx_gt_u64_e64 s[4:5], v[1:2]
	s_xor_b32 s0, exec_lo, s0
	s_cbranch_execnz .LBB407_69
; %bb.66:                               ;   in Loop: Header=BB407_33 Depth=1
	s_or_b32 exec_lo, exec_lo, s0
	s_delay_alu instid0(SALU_CYCLE_1)
	s_mov_b32 s0, exec_lo
	v_cmpx_gt_u64_e64 s[4:5], v[3:4]
	s_cbranch_execnz .LBB407_70
.LBB407_67:                             ;   in Loop: Header=BB407_33 Depth=1
	s_or_b32 exec_lo, exec_lo, s0
	s_delay_alu instid0(SALU_CYCLE_1)
	s_mov_b32 s0, exec_lo
	v_cmpx_gt_u64_e64 s[4:5], v[5:6]
	s_cbranch_execnz .LBB407_71
.LBB407_68:                             ;   in Loop: Header=BB407_33 Depth=1
	s_or_b32 exec_lo, exec_lo, s0
	s_delay_alu instid0(SALU_CYCLE_1)
	s_mov_b32 s0, exec_lo
	v_cmpx_gt_u64_e64 s[4:5], v[7:8]
	s_cbranch_execz .LBB407_32
	s_branch .LBB407_72
.LBB407_69:                             ;   in Loop: Header=BB407_33 Depth=1
	v_add_co_u32 v1, vcc_lo, v11, s8
	v_add_co_ci_u32_e32 v2, vcc_lo, s9, v12, vcc_lo
	global_store_b8 v[1:2], v36, off
	s_or_b32 exec_lo, exec_lo, s0
	s_delay_alu instid0(SALU_CYCLE_1)
	s_mov_b32 s0, exec_lo
	v_cmpx_gt_u64_e64 s[4:5], v[3:4]
	s_cbranch_execz .LBB407_67
.LBB407_70:                             ;   in Loop: Header=BB407_33 Depth=1
	v_add_co_u32 v1, vcc_lo, v27, s8
	v_add_co_ci_u32_e32 v2, vcc_lo, s9, v28, vcc_lo
	global_store_b8 v[1:2], v35, off
	s_or_b32 exec_lo, exec_lo, s0
	s_delay_alu instid0(SALU_CYCLE_1)
	s_mov_b32 s0, exec_lo
	v_cmpx_gt_u64_e64 s[4:5], v[5:6]
	s_cbranch_execz .LBB407_68
.LBB407_71:                             ;   in Loop: Header=BB407_33 Depth=1
	v_add_co_u32 v1, vcc_lo, v21, s8
	v_add_co_ci_u32_e32 v2, vcc_lo, s9, v22, vcc_lo
	global_store_b8 v[1:2], v38, off
	s_or_b32 exec_lo, exec_lo, s0
	s_delay_alu instid0(SALU_CYCLE_1)
	s_mov_b32 s0, exec_lo
	v_cmpx_gt_u64_e64 s[4:5], v[7:8]
	s_cbranch_execz .LBB407_32
.LBB407_72:                             ;   in Loop: Header=BB407_33 Depth=1
	v_add_co_u32 v1, vcc_lo, v15, s8
	v_add_co_ci_u32_e32 v2, vcc_lo, s9, v16, vcc_lo
	global_store_b8 v[1:2], v37, off
	s_branch .LBB407_32
.LBB407_73:                             ;   in Loop: Header=BB407_33 Depth=1
	v_bfe_u32 v36, v38, 21, 1
	s_mov_b32 s11, exec_lo
	s_delay_alu instid0(VALU_DEP_1) | instskip(NEXT) | instid1(VALU_DEP_1)
	v_add3_u32 v36, v38, v36, 0x88fffff
                                        ; implicit-def: $vgpr38
	v_lshrrev_b32_e32 v37, 21, v36
	s_or_saveexec_b32 s12, s2
                                        ; implicit-def: $sgpr2
	s_delay_alu instid0(SALU_CYCLE_1)
	s_xor_b32 exec_lo, exec_lo, s12
	s_cbranch_execz .LBB407_44
.LBB407_74:                             ;   in Loop: Header=BB407_33 Depth=1
	v_add_f32_e32 v36, 0x42800000, v38
	s_and_not1_b32 s11, s11, exec_lo
	s_delay_alu instid0(VALU_DEP_1) | instskip(NEXT) | instid1(VALU_DEP_1)
	v_and_b32_e32 v37, 0xff, v36
	v_cmp_ne_u32_e64 s2, 0, v37
	s_delay_alu instid0(VALU_DEP_1)
	s_and_b32 s13, s2, exec_lo
	s_mov_b32 s2, 0
	s_or_b32 s11, s11, s13
	s_or_b32 exec_lo, exec_lo, s12
	v_mov_b32_e32 v36, s2
	s_and_saveexec_b32 s2, s11
	s_cbranch_execnz .LBB407_45
	s_branch .LBB407_46
.LBB407_75:                             ;   in Loop: Header=BB407_33 Depth=1
	v_bfe_u32 v35, v38, 21, 1
	s_mov_b32 s10, exec_lo
	s_delay_alu instid0(VALU_DEP_1) | instskip(NEXT) | instid1(VALU_DEP_1)
	v_add3_u32 v35, v38, v35, 0x88fffff
                                        ; implicit-def: $vgpr38
	v_lshrrev_b32_e32 v37, 21, v35
	s_or_saveexec_b32 s11, s1
                                        ; implicit-def: $sgpr1
	s_delay_alu instid0(SALU_CYCLE_1)
	s_xor_b32 exec_lo, exec_lo, s11
	s_cbranch_execz .LBB407_50
.LBB407_76:                             ;   in Loop: Header=BB407_33 Depth=1
	v_add_f32_e32 v35, 0x42800000, v38
	s_and_not1_b32 s10, s10, exec_lo
	s_delay_alu instid0(VALU_DEP_1) | instskip(NEXT) | instid1(VALU_DEP_1)
	v_and_b32_e32 v37, 0xff, v35
	v_cmp_ne_u32_e64 s1, 0, v37
	s_delay_alu instid0(VALU_DEP_1)
	s_and_b32 s12, s1, exec_lo
	s_mov_b32 s1, 0
	s_or_b32 s10, s10, s12
	s_or_b32 exec_lo, exec_lo, s11
	v_mov_b32_e32 v35, s1
	s_and_saveexec_b32 s1, s10
	s_cbranch_execnz .LBB407_51
	s_branch .LBB407_52
.LBB407_77:                             ;   in Loop: Header=BB407_33 Depth=1
	v_bfe_u32 v38, v40, 21, 1
	s_mov_b32 s2, exec_lo
	s_delay_alu instid0(VALU_DEP_1) | instskip(NEXT) | instid1(VALU_DEP_1)
	v_add3_u32 v38, v40, v38, 0x88fffff
                                        ; implicit-def: $vgpr40
	v_lshrrev_b32_e32 v39, 21, v38
	s_or_saveexec_b32 s10, s0
                                        ; implicit-def: $sgpr0
	s_delay_alu instid0(SALU_CYCLE_1)
	s_xor_b32 exec_lo, exec_lo, s10
	s_cbranch_execz .LBB407_56
.LBB407_78:                             ;   in Loop: Header=BB407_33 Depth=1
	v_add_f32_e32 v38, 0x42800000, v40
	s_and_not1_b32 s2, s2, exec_lo
	s_delay_alu instid0(VALU_DEP_1) | instskip(NEXT) | instid1(VALU_DEP_1)
	v_and_b32_e32 v39, 0xff, v38
	v_cmp_ne_u32_e64 s0, 0, v39
	s_delay_alu instid0(VALU_DEP_1)
	s_and_b32 s11, s0, exec_lo
	s_mov_b32 s0, 0
	s_or_b32 s2, s2, s11
	s_or_b32 exec_lo, exec_lo, s10
	v_mov_b32_e32 v38, s0
	s_and_saveexec_b32 s0, s2
	s_cbranch_execnz .LBB407_57
	s_branch .LBB407_58
.LBB407_79:                             ;   in Loop: Header=BB407_33 Depth=1
	v_bfe_u32 v37, v40, 21, 1
	s_mov_b32 s1, exec_lo
	s_delay_alu instid0(VALU_DEP_1) | instskip(NEXT) | instid1(VALU_DEP_1)
	v_add3_u32 v37, v40, v37, 0x88fffff
                                        ; implicit-def: $vgpr40
	v_lshrrev_b32_e32 v39, 21, v37
	s_or_saveexec_b32 s2, s2
                                        ; implicit-def: $sgpr10
	s_delay_alu instid0(SALU_CYCLE_1)
	s_xor_b32 exec_lo, exec_lo, s2
	s_cbranch_execz .LBB407_62
.LBB407_80:                             ;   in Loop: Header=BB407_33 Depth=1
	v_add_f32_e32 v37, 0x42800000, v40
	s_and_not1_b32 s1, s1, exec_lo
	s_mov_b32 s10, 0
	s_delay_alu instid0(VALU_DEP_1) | instskip(NEXT) | instid1(VALU_DEP_1)
	v_and_b32_e32 v39, 0xff, v37
	v_cmp_ne_u32_e32 vcc_lo, 0, v39
	s_and_b32 s11, vcc_lo, exec_lo
	s_delay_alu instid0(SALU_CYCLE_1)
	s_or_b32 s1, s1, s11
	s_or_b32 exec_lo, exec_lo, s2
	v_mov_b32_e32 v37, s10
	s_and_saveexec_b32 s2, s1
	s_cbranch_execnz .LBB407_63
	s_branch .LBB407_64
.LBB407_81:
	s_nop 0
	s_sendmsg sendmsg(MSG_DEALLOC_VGPRS)
	s_endpgm
	.section	.rodata,"a",@progbits
	.p2align	6, 0x0
	.amdhsa_kernel _ZN2at6native12_GLOBAL__N_125multi_tensor_apply_kernelINS1_18TensorListMetadataILi2EEENS1_11CopyFunctorIN3c1015Float8_e5m2fnuzEbLi2ELi1ELi1EEEJNS0_4CopyIS7_bEEEEEvT_T0_DpT1_
		.amdhsa_group_segment_fixed_size 0
		.amdhsa_private_segment_fixed_size 0
		.amdhsa_kernarg_size 3408
		.amdhsa_user_sgpr_count 15
		.amdhsa_user_sgpr_dispatch_ptr 0
		.amdhsa_user_sgpr_queue_ptr 0
		.amdhsa_user_sgpr_kernarg_segment_ptr 1
		.amdhsa_user_sgpr_dispatch_id 0
		.amdhsa_user_sgpr_private_segment_size 0
		.amdhsa_wavefront_size32 1
		.amdhsa_uses_dynamic_stack 0
		.amdhsa_enable_private_segment 0
		.amdhsa_system_sgpr_workgroup_id_x 1
		.amdhsa_system_sgpr_workgroup_id_y 0
		.amdhsa_system_sgpr_workgroup_id_z 0
		.amdhsa_system_sgpr_workgroup_info 0
		.amdhsa_system_vgpr_workitem_id 0
		.amdhsa_next_free_vgpr 41
		.amdhsa_next_free_sgpr 22
		.amdhsa_reserve_vcc 1
		.amdhsa_float_round_mode_32 0
		.amdhsa_float_round_mode_16_64 0
		.amdhsa_float_denorm_mode_32 3
		.amdhsa_float_denorm_mode_16_64 3
		.amdhsa_dx10_clamp 1
		.amdhsa_ieee_mode 1
		.amdhsa_fp16_overflow 0
		.amdhsa_workgroup_processor_mode 1
		.amdhsa_memory_ordered 1
		.amdhsa_forward_progress 0
		.amdhsa_shared_vgpr_count 0
		.amdhsa_exception_fp_ieee_invalid_op 0
		.amdhsa_exception_fp_denorm_src 0
		.amdhsa_exception_fp_ieee_div_zero 0
		.amdhsa_exception_fp_ieee_overflow 0
		.amdhsa_exception_fp_ieee_underflow 0
		.amdhsa_exception_fp_ieee_inexact 0
		.amdhsa_exception_int_div_zero 0
	.end_amdhsa_kernel
	.section	.text._ZN2at6native12_GLOBAL__N_125multi_tensor_apply_kernelINS1_18TensorListMetadataILi2EEENS1_11CopyFunctorIN3c1015Float8_e5m2fnuzEbLi2ELi1ELi1EEEJNS0_4CopyIS7_bEEEEEvT_T0_DpT1_,"axG",@progbits,_ZN2at6native12_GLOBAL__N_125multi_tensor_apply_kernelINS1_18TensorListMetadataILi2EEENS1_11CopyFunctorIN3c1015Float8_e5m2fnuzEbLi2ELi1ELi1EEEJNS0_4CopyIS7_bEEEEEvT_T0_DpT1_,comdat
.Lfunc_end407:
	.size	_ZN2at6native12_GLOBAL__N_125multi_tensor_apply_kernelINS1_18TensorListMetadataILi2EEENS1_11CopyFunctorIN3c1015Float8_e5m2fnuzEbLi2ELi1ELi1EEEJNS0_4CopyIS7_bEEEEEvT_T0_DpT1_, .Lfunc_end407-_ZN2at6native12_GLOBAL__N_125multi_tensor_apply_kernelINS1_18TensorListMetadataILi2EEENS1_11CopyFunctorIN3c1015Float8_e5m2fnuzEbLi2ELi1ELi1EEEJNS0_4CopyIS7_bEEEEEvT_T0_DpT1_
                                        ; -- End function
	.section	.AMDGPU.csdata,"",@progbits
; Kernel info:
; codeLenInByte = 2780
; NumSgprs: 24
; NumVgprs: 41
; ScratchSize: 0
; MemoryBound: 0
; FloatMode: 240
; IeeeMode: 1
; LDSByteSize: 0 bytes/workgroup (compile time only)
; SGPRBlocks: 2
; VGPRBlocks: 5
; NumSGPRsForWavesPerEU: 24
; NumVGPRsForWavesPerEU: 41
; Occupancy: 16
; WaveLimiterHint : 0
; COMPUTE_PGM_RSRC2:SCRATCH_EN: 0
; COMPUTE_PGM_RSRC2:USER_SGPR: 15
; COMPUTE_PGM_RSRC2:TRAP_HANDLER: 0
; COMPUTE_PGM_RSRC2:TGID_X_EN: 1
; COMPUTE_PGM_RSRC2:TGID_Y_EN: 0
; COMPUTE_PGM_RSRC2:TGID_Z_EN: 0
; COMPUTE_PGM_RSRC2:TIDIG_COMP_CNT: 0
	.section	.text._ZN2at6native12_GLOBAL__N_125multi_tensor_apply_kernelINS1_18TensorListMetadataILi2EEENS1_11CopyFunctorIN3c1015Float8_e5m2fnuzENS6_13Float8_e4m3fnELi2ELi1ELi1EEEJNS0_4CopyIS7_S8_EEEEEvT_T0_DpT1_,"axG",@progbits,_ZN2at6native12_GLOBAL__N_125multi_tensor_apply_kernelINS1_18TensorListMetadataILi2EEENS1_11CopyFunctorIN3c1015Float8_e5m2fnuzENS6_13Float8_e4m3fnELi2ELi1ELi1EEEJNS0_4CopyIS7_S8_EEEEEvT_T0_DpT1_,comdat
	.globl	_ZN2at6native12_GLOBAL__N_125multi_tensor_apply_kernelINS1_18TensorListMetadataILi2EEENS1_11CopyFunctorIN3c1015Float8_e5m2fnuzENS6_13Float8_e4m3fnELi2ELi1ELi1EEEJNS0_4CopyIS7_S8_EEEEEvT_T0_DpT1_ ; -- Begin function _ZN2at6native12_GLOBAL__N_125multi_tensor_apply_kernelINS1_18TensorListMetadataILi2EEENS1_11CopyFunctorIN3c1015Float8_e5m2fnuzENS6_13Float8_e4m3fnELi2ELi1ELi1EEEJNS0_4CopyIS7_S8_EEEEEvT_T0_DpT1_
	.p2align	8
	.type	_ZN2at6native12_GLOBAL__N_125multi_tensor_apply_kernelINS1_18TensorListMetadataILi2EEENS1_11CopyFunctorIN3c1015Float8_e5m2fnuzENS6_13Float8_e4m3fnELi2ELi1ELi1EEEJNS0_4CopyIS7_S8_EEEEEvT_T0_DpT1_,@function
_ZN2at6native12_GLOBAL__N_125multi_tensor_apply_kernelINS1_18TensorListMetadataILi2EEENS1_11CopyFunctorIN3c1015Float8_e5m2fnuzENS6_13Float8_e4m3fnELi2ELi1ELi1EEEJNS0_4CopyIS7_S8_EEEEEvT_T0_DpT1_: ; @_ZN2at6native12_GLOBAL__N_125multi_tensor_apply_kernelINS1_18TensorListMetadataILi2EEENS1_11CopyFunctorIN3c1015Float8_e5m2fnuzENS6_13Float8_e4m3fnELi2ELi1ELi1EEEJNS0_4CopyIS7_S8_EEEEEvT_T0_DpT1_
; %bb.0:
	v_mov_b32_e32 v1, s15
	s_add_u32 s2, s0, s15
	s_mul_i32 s4, s15, 3
	s_addc_u32 s3, s1, 0
	s_mul_hi_u32 s5, s15, 3
	global_load_u8 v1, v1, s[0:1] offset:1536
	s_add_u32 s2, s2, s4
	s_addc_u32 s3, s3, s5
	s_load_b32 s2, s[2:3], 0x740
	s_waitcnt vmcnt(0)
	v_readfirstlane_b32 s4, v1
	s_delay_alu instid0(VALU_DEP_1)
	s_lshl_b32 s3, s4, 3
	s_clause 0x2
	s_load_b64 s[6:7], s[0:1], s3 offset:0x0
	s_load_b64 s[8:9], s[0:1], s3 offset:0x200
	;; [unrolled: 1-line block ×3, first 2 shown]
	s_waitcnt lgkmcnt(0)
	s_ashr_i32 s3, s2, 31
	s_delay_alu instid0(SALU_CYCLE_1) | instskip(NEXT) | instid1(SALU_CYCLE_1)
	s_lshl_b64 s[10:11], s[2:3], 16
	s_add_u32 s3, s6, s10
	s_addc_u32 s14, s7, s11
	s_add_u32 s12, s8, s10
	s_addc_u32 s13, s9, s11
	s_delay_alu instid0(SALU_CYCLE_1) | instskip(NEXT) | instid1(SALU_CYCLE_1)
	s_or_b64 s[16:17], s[4:5], s[12:13]
	s_or_b32 s2, s3, s16
	s_delay_alu instid0(SALU_CYCLE_1)
	s_and_b32 s2, s2, 3
	s_sub_u32 s4, s4, s10
	s_subb_u32 s5, s5, s11
	s_cmp_eq_u32 s2, 0
	s_mov_b32 s2, -1
	s_cbranch_scc0 .LBB408_37
; %bb.1:
	v_dual_mov_b32 v2, 0 :: v_dual_lshlrev_b32 v1, 2, v0
	s_mov_b32 s15, exec_lo
	s_delay_alu instid0(VALU_DEP_1)
	v_cmpx_gt_i64_e64 s[4:5], v[1:2]
	s_cbranch_execz .LBB408_36
; %bb.2:
	s_load_b32 s2, s[0:1], 0xc5c
	s_mov_b32 s17, 0
	s_waitcnt lgkmcnt(0)
	s_and_b32 s2, s2, 0xffff
	s_delay_alu instid0(SALU_CYCLE_1)
	s_lshl_b32 s16, s2, 2
	s_branch .LBB408_5
.LBB408_3:                              ;   in Loop: Header=BB408_5 Depth=1
	s_or_b32 exec_lo, exec_lo, s19
.LBB408_4:                              ;   in Loop: Header=BB408_5 Depth=1
	s_delay_alu instid0(SALU_CYCLE_1)
	s_or_b32 exec_lo, exec_lo, s2
	v_add_co_u32 v8, vcc_lo, s12, v1
	v_add_co_ci_u32_e32 v9, vcc_lo, s13, v2, vcc_lo
	v_add_co_u32 v1, vcc_lo, s16, v1
	v_add_co_ci_u32_e32 v2, vcc_lo, 0, v2, vcc_lo
	v_lshlrev_b32_e32 v5, 16, v7
	v_lshlrev_b32_e32 v4, 8, v4
	v_and_b32_e32 v3, 0xff, v3
	s_delay_alu instid0(VALU_DEP_4) | instskip(SKIP_3) | instid1(VALU_DEP_3)
	v_cmp_le_i64_e32 vcc_lo, s[4:5], v[1:2]
	v_cmp_lt_u64_e64 s2, 0xffff, v[1:2]
	v_perm_b32 v5, v6, v5, 0x4020c0c
	v_and_b32_e32 v4, 0xff00, v4
	s_or_b32 s2, vcc_lo, s2
	s_delay_alu instid0(VALU_DEP_1) | instskip(SKIP_1) | instid1(SALU_CYCLE_1)
	v_or3_b32 v3, v5, v4, v3
	s_and_b32 s2, exec_lo, s2
	s_or_b32 s17, s2, s17
	global_store_b32 v[8:9], v3, off
	s_and_not1_b32 exec_lo, exec_lo, s17
	s_cbranch_execz .LBB408_36
.LBB408_5:                              ; =>This Inner Loop Header: Depth=1
	v_add_co_u32 v3, vcc_lo, s3, v1
	v_add_co_ci_u32_e32 v4, vcc_lo, s14, v2, vcc_lo
	s_mov_b32 s2, exec_lo
	global_load_b32 v5, v[3:4], off
	s_waitcnt vmcnt(0)
	v_lshlrev_b32_e32 v3, 24, v5
	s_delay_alu instid0(VALU_DEP_1) | instskip(NEXT) | instid1(VALU_DEP_1)
	v_and_b32_e32 v4, 0x7f000000, v3
	v_clz_i32_u32_e32 v6, v4
	v_add_nc_u32_e32 v8, 0x1000000, v4
	v_cmp_ne_u32_e32 vcc_lo, 0, v4
	s_delay_alu instid0(VALU_DEP_3) | instskip(NEXT) | instid1(VALU_DEP_1)
	v_min_u32_e32 v6, 32, v6
	v_sub_nc_u32_e64 v6, v6, 4 clamp
	s_delay_alu instid0(VALU_DEP_1) | instskip(SKIP_1) | instid1(VALU_DEP_2)
	v_dual_mov_b32 v4, 0x80 :: v_dual_lshlrev_b32 v7, v6, v4
	v_lshlrev_b32_e32 v6, 23, v6
	v_lshrrev_b32_e32 v7, 4, v7
	s_delay_alu instid0(VALU_DEP_1) | instskip(SKIP_1) | instid1(VALU_DEP_2)
	v_sub_nc_u32_e32 v6, v7, v6
	v_ashrrev_i32_e32 v7, 8, v8
	v_add_nc_u32_e32 v6, 0x3c000000, v6
	s_delay_alu instid0(VALU_DEP_1) | instskip(NEXT) | instid1(VALU_DEP_1)
	v_and_or_b32 v6, 0x7f800000, v7, v6
	v_cndmask_b32_e32 v8, 0, v6, vcc_lo
	s_delay_alu instid0(VALU_DEP_1) | instskip(SKIP_1) | instid1(VALU_DEP_2)
	v_and_or_b32 v6, 0x80000000, v3, v8
	v_mov_b32_e32 v3, 0x80
	v_and_b32_e32 v7, 0x7fffffff, v6
	s_delay_alu instid0(VALU_DEP_1)
	v_cmpx_gt_u32_e32 0x47800000, v7
	s_cbranch_execz .LBB408_11
; %bb.6:                                ;   in Loop: Header=BB408_5 Depth=1
	v_cmp_lt_u32_e32 vcc_lo, 0x37ffffff, v7
	s_mov_b32 s18, 0
                                        ; implicit-def: $vgpr7
	s_and_saveexec_b32 s19, vcc_lo
	s_delay_alu instid0(SALU_CYCLE_1)
	s_xor_b32 s19, exec_lo, s19
	s_cbranch_execnz .LBB408_27
; %bb.7:                                ;   in Loop: Header=BB408_5 Depth=1
	s_or_saveexec_b32 s19, s19
                                        ; implicit-def: $sgpr20
	s_delay_alu instid0(SALU_CYCLE_1)
	s_xor_b32 exec_lo, exec_lo, s19
	s_cbranch_execnz .LBB408_28
.LBB408_8:                              ;   in Loop: Header=BB408_5 Depth=1
	s_or_b32 exec_lo, exec_lo, s19
	v_mov_b32_e32 v3, s20
	s_and_saveexec_b32 s19, s18
.LBB408_9:                              ;   in Loop: Header=BB408_5 Depth=1
	v_lshrrev_b32_e32 v3, 24, v6
	s_delay_alu instid0(VALU_DEP_1)
	v_and_or_b32 v3, 0x80, v3, v7
.LBB408_10:                             ;   in Loop: Header=BB408_5 Depth=1
	s_or_b32 exec_lo, exec_lo, s19
.LBB408_11:                             ;   in Loop: Header=BB408_5 Depth=1
	s_delay_alu instid0(SALU_CYCLE_1) | instskip(SKIP_2) | instid1(VALU_DEP_1)
	s_or_b32 exec_lo, exec_lo, s2
	v_lshlrev_b32_e32 v6, 16, v5
	s_mov_b32 s2, exec_lo
	v_and_b32_e32 v7, 0x7f000000, v6
	s_delay_alu instid0(VALU_DEP_1) | instskip(SKIP_2) | instid1(VALU_DEP_3)
	v_clz_i32_u32_e32 v8, v7
	v_add_nc_u32_e32 v10, 0x1000000, v7
	v_cmp_ne_u32_e32 vcc_lo, 0, v7
	v_min_u32_e32 v8, 32, v8
	s_delay_alu instid0(VALU_DEP_1) | instskip(NEXT) | instid1(VALU_DEP_1)
	v_sub_nc_u32_e64 v8, v8, 4 clamp
	v_lshlrev_b32_e32 v9, v8, v7
	v_lshlrev_b32_e32 v8, 23, v8
	s_delay_alu instid0(VALU_DEP_2) | instskip(NEXT) | instid1(VALU_DEP_1)
	v_lshrrev_b32_e32 v9, 4, v9
	v_sub_nc_u32_e32 v8, v9, v8
	v_ashrrev_i32_e32 v9, 8, v10
	s_delay_alu instid0(VALU_DEP_2) | instskip(NEXT) | instid1(VALU_DEP_1)
	v_add_nc_u32_e32 v8, 0x3c000000, v8
	v_and_or_b32 v8, 0x7f800000, v9, v8
	s_delay_alu instid0(VALU_DEP_1) | instskip(NEXT) | instid1(VALU_DEP_1)
	v_cndmask_b32_e32 v8, 0, v8, vcc_lo
	v_and_or_b32 v6, 0x80000000, v6, v8
	s_delay_alu instid0(VALU_DEP_1) | instskip(NEXT) | instid1(VALU_DEP_1)
	v_and_b32_e32 v7, 0x7fffffff, v6
	v_cmpx_gt_u32_e32 0x47800000, v7
	s_cbranch_execz .LBB408_17
; %bb.12:                               ;   in Loop: Header=BB408_5 Depth=1
	v_cmp_lt_u32_e32 vcc_lo, 0x37ffffff, v7
	s_mov_b32 s18, 0
                                        ; implicit-def: $vgpr7
	s_and_saveexec_b32 s19, vcc_lo
	s_delay_alu instid0(SALU_CYCLE_1)
	s_xor_b32 s19, exec_lo, s19
	s_cbranch_execnz .LBB408_29
; %bb.13:                               ;   in Loop: Header=BB408_5 Depth=1
	s_or_saveexec_b32 s19, s19
                                        ; implicit-def: $sgpr20
	s_delay_alu instid0(SALU_CYCLE_1)
	s_xor_b32 exec_lo, exec_lo, s19
	s_cbranch_execnz .LBB408_30
.LBB408_14:                             ;   in Loop: Header=BB408_5 Depth=1
	s_or_b32 exec_lo, exec_lo, s19
	v_mov_b32_e32 v4, s20
	s_and_saveexec_b32 s19, s18
.LBB408_15:                             ;   in Loop: Header=BB408_5 Depth=1
	v_lshrrev_b32_e32 v4, 24, v6
	s_delay_alu instid0(VALU_DEP_1)
	v_and_or_b32 v4, 0x80, v4, v7
.LBB408_16:                             ;   in Loop: Header=BB408_5 Depth=1
	s_or_b32 exec_lo, exec_lo, s19
.LBB408_17:                             ;   in Loop: Header=BB408_5 Depth=1
	s_delay_alu instid0(SALU_CYCLE_1) | instskip(SKIP_2) | instid1(VALU_DEP_1)
	s_or_b32 exec_lo, exec_lo, s2
	v_lshlrev_b32_e32 v6, 8, v5
	s_mov_b32 s2, exec_lo
	v_and_b32_e32 v7, 0x7f000000, v6
	s_delay_alu instid0(VALU_DEP_1) | instskip(SKIP_2) | instid1(VALU_DEP_3)
	v_clz_i32_u32_e32 v8, v7
	v_add_nc_u32_e32 v10, 0x1000000, v7
	v_cmp_ne_u32_e32 vcc_lo, 0, v7
	v_min_u32_e32 v8, 32, v8
	s_delay_alu instid0(VALU_DEP_1) | instskip(NEXT) | instid1(VALU_DEP_1)
	v_sub_nc_u32_e64 v8, v8, 4 clamp
	v_lshlrev_b32_e32 v9, v8, v7
	v_dual_mov_b32 v7, 0x80 :: v_dual_lshlrev_b32 v8, 23, v8
	s_delay_alu instid0(VALU_DEP_2) | instskip(NEXT) | instid1(VALU_DEP_1)
	v_lshrrev_b32_e32 v9, 4, v9
	v_sub_nc_u32_e32 v8, v9, v8
	v_ashrrev_i32_e32 v9, 8, v10
	s_delay_alu instid0(VALU_DEP_2) | instskip(NEXT) | instid1(VALU_DEP_1)
	v_add_nc_u32_e32 v8, 0x3c000000, v8
	v_and_or_b32 v8, 0x7f800000, v9, v8
	s_delay_alu instid0(VALU_DEP_1) | instskip(NEXT) | instid1(VALU_DEP_1)
	v_cndmask_b32_e32 v10, 0, v8, vcc_lo
	v_and_or_b32 v8, 0x80000000, v6, v10
	v_mov_b32_e32 v6, 0x80
	s_delay_alu instid0(VALU_DEP_2) | instskip(NEXT) | instid1(VALU_DEP_1)
	v_and_b32_e32 v9, 0x7fffffff, v8
	v_cmpx_gt_u32_e32 0x47800000, v9
	s_cbranch_execz .LBB408_23
; %bb.18:                               ;   in Loop: Header=BB408_5 Depth=1
	v_cmp_lt_u32_e32 vcc_lo, 0x37ffffff, v9
	s_mov_b32 s18, 0
                                        ; implicit-def: $vgpr9
	s_and_saveexec_b32 s19, vcc_lo
	s_delay_alu instid0(SALU_CYCLE_1)
	s_xor_b32 s19, exec_lo, s19
	s_cbranch_execnz .LBB408_31
; %bb.19:                               ;   in Loop: Header=BB408_5 Depth=1
	s_or_saveexec_b32 s19, s19
                                        ; implicit-def: $sgpr20
	s_delay_alu instid0(SALU_CYCLE_1)
	s_xor_b32 exec_lo, exec_lo, s19
	s_cbranch_execnz .LBB408_32
.LBB408_20:                             ;   in Loop: Header=BB408_5 Depth=1
	s_or_b32 exec_lo, exec_lo, s19
	v_mov_b32_e32 v7, s20
	s_and_saveexec_b32 s19, s18
.LBB408_21:                             ;   in Loop: Header=BB408_5 Depth=1
	v_lshrrev_b32_e32 v7, 24, v8
	s_delay_alu instid0(VALU_DEP_1)
	v_and_or_b32 v7, 0x80, v7, v9
.LBB408_22:                             ;   in Loop: Header=BB408_5 Depth=1
	s_or_b32 exec_lo, exec_lo, s19
.LBB408_23:                             ;   in Loop: Header=BB408_5 Depth=1
	s_delay_alu instid0(SALU_CYCLE_1) | instskip(SKIP_2) | instid1(VALU_DEP_1)
	s_or_b32 exec_lo, exec_lo, s2
	v_and_b32_e32 v8, 0x7f000000, v5
	s_mov_b32 s2, exec_lo
	v_clz_i32_u32_e32 v9, v8
	v_cmp_ne_u32_e32 vcc_lo, 0, v8
	v_add_nc_u32_e32 v11, 0x1000000, v8
	s_delay_alu instid0(VALU_DEP_3) | instskip(NEXT) | instid1(VALU_DEP_1)
	v_min_u32_e32 v9, 32, v9
	v_sub_nc_u32_e64 v9, v9, 4 clamp
	s_delay_alu instid0(VALU_DEP_1) | instskip(SKIP_1) | instid1(VALU_DEP_2)
	v_lshlrev_b32_e32 v10, v9, v8
	v_lshlrev_b32_e32 v9, 23, v9
	v_lshrrev_b32_e32 v10, 4, v10
	s_delay_alu instid0(VALU_DEP_1) | instskip(SKIP_1) | instid1(VALU_DEP_2)
	v_sub_nc_u32_e32 v9, v10, v9
	v_ashrrev_i32_e32 v10, 8, v11
	v_add_nc_u32_e32 v9, 0x3c000000, v9
	s_delay_alu instid0(VALU_DEP_1) | instskip(NEXT) | instid1(VALU_DEP_1)
	v_and_or_b32 v9, 0x7f800000, v10, v9
	v_cndmask_b32_e32 v9, 0, v9, vcc_lo
	s_delay_alu instid0(VALU_DEP_1) | instskip(NEXT) | instid1(VALU_DEP_1)
	v_and_or_b32 v5, 0x80000000, v5, v9
	v_and_b32_e32 v8, 0x7fffffff, v5
	s_delay_alu instid0(VALU_DEP_1)
	v_cmpx_gt_u32_e32 0x47800000, v8
	s_cbranch_execz .LBB408_4
; %bb.24:                               ;   in Loop: Header=BB408_5 Depth=1
	v_cmp_lt_u32_e32 vcc_lo, 0x37ffffff, v8
	s_mov_b32 s18, 0
                                        ; implicit-def: $vgpr8
	s_and_saveexec_b32 s19, vcc_lo
	s_delay_alu instid0(SALU_CYCLE_1)
	s_xor_b32 s19, exec_lo, s19
	s_cbranch_execnz .LBB408_33
; %bb.25:                               ;   in Loop: Header=BB408_5 Depth=1
	s_or_saveexec_b32 s19, s19
                                        ; implicit-def: $sgpr20
	s_delay_alu instid0(SALU_CYCLE_1)
	s_xor_b32 exec_lo, exec_lo, s19
	s_cbranch_execnz .LBB408_34
.LBB408_26:                             ;   in Loop: Header=BB408_5 Depth=1
	s_or_b32 exec_lo, exec_lo, s19
	v_mov_b32_e32 v6, s20
	s_and_saveexec_b32 s19, s18
	s_cbranch_execz .LBB408_3
	s_branch .LBB408_35
.LBB408_27:                             ;   in Loop: Header=BB408_5 Depth=1
	v_bfe_u32 v3, v8, 21, 1
	s_mov_b32 s18, exec_lo
	s_delay_alu instid0(VALU_DEP_1) | instskip(NEXT) | instid1(VALU_DEP_1)
	v_add3_u32 v3, v6, v3, 0x88fffff
	v_lshrrev_b32_e32 v7, 21, v3
	s_or_saveexec_b32 s19, s19
                                        ; implicit-def: $sgpr20
	s_delay_alu instid0(SALU_CYCLE_1)
	s_xor_b32 exec_lo, exec_lo, s19
	s_cbranch_execz .LBB408_8
.LBB408_28:                             ;   in Loop: Header=BB408_5 Depth=1
	v_add_f32_e64 v3, 0x42800000, |v6|
	s_and_not1_b32 s18, s18, exec_lo
	s_mov_b32 s20, 0
	s_delay_alu instid0(VALU_DEP_1) | instskip(NEXT) | instid1(VALU_DEP_1)
	v_and_b32_e32 v7, 0xff, v3
	v_cmp_ne_u32_e32 vcc_lo, 0, v7
	s_and_b32 s21, vcc_lo, exec_lo
	s_delay_alu instid0(SALU_CYCLE_1)
	s_or_b32 s18, s18, s21
	s_or_b32 exec_lo, exec_lo, s19
	v_mov_b32_e32 v3, s20
	s_and_saveexec_b32 s19, s18
	s_cbranch_execnz .LBB408_9
	s_branch .LBB408_10
.LBB408_29:                             ;   in Loop: Header=BB408_5 Depth=1
	v_bfe_u32 v4, v8, 21, 1
	s_mov_b32 s18, exec_lo
	s_delay_alu instid0(VALU_DEP_1) | instskip(NEXT) | instid1(VALU_DEP_1)
	v_add3_u32 v4, v6, v4, 0x88fffff
	v_lshrrev_b32_e32 v7, 21, v4
	s_or_saveexec_b32 s19, s19
                                        ; implicit-def: $sgpr20
	s_delay_alu instid0(SALU_CYCLE_1)
	s_xor_b32 exec_lo, exec_lo, s19
	s_cbranch_execz .LBB408_14
.LBB408_30:                             ;   in Loop: Header=BB408_5 Depth=1
	v_add_f32_e64 v4, 0x42800000, |v6|
	s_and_not1_b32 s18, s18, exec_lo
	s_mov_b32 s20, 0
	s_delay_alu instid0(VALU_DEP_1) | instskip(NEXT) | instid1(VALU_DEP_1)
	v_and_b32_e32 v7, 0xff, v4
	v_cmp_ne_u32_e32 vcc_lo, 0, v7
	s_and_b32 s21, vcc_lo, exec_lo
	s_delay_alu instid0(SALU_CYCLE_1)
	s_or_b32 s18, s18, s21
	s_or_b32 exec_lo, exec_lo, s19
	v_mov_b32_e32 v4, s20
	s_and_saveexec_b32 s19, s18
	s_cbranch_execnz .LBB408_15
	s_branch .LBB408_16
.LBB408_31:                             ;   in Loop: Header=BB408_5 Depth=1
	v_bfe_u32 v7, v10, 21, 1
	s_mov_b32 s18, exec_lo
	s_delay_alu instid0(VALU_DEP_1) | instskip(NEXT) | instid1(VALU_DEP_1)
	v_add3_u32 v7, v8, v7, 0x88fffff
	v_lshrrev_b32_e32 v9, 21, v7
	s_or_saveexec_b32 s19, s19
                                        ; implicit-def: $sgpr20
	s_delay_alu instid0(SALU_CYCLE_1)
	s_xor_b32 exec_lo, exec_lo, s19
	s_cbranch_execz .LBB408_20
.LBB408_32:                             ;   in Loop: Header=BB408_5 Depth=1
	v_add_f32_e64 v7, 0x42800000, |v8|
	s_and_not1_b32 s18, s18, exec_lo
	s_mov_b32 s20, 0
	s_delay_alu instid0(VALU_DEP_1) | instskip(NEXT) | instid1(VALU_DEP_1)
	v_and_b32_e32 v9, 0xff, v7
	v_cmp_ne_u32_e32 vcc_lo, 0, v9
	s_and_b32 s21, vcc_lo, exec_lo
	s_delay_alu instid0(SALU_CYCLE_1)
	s_or_b32 s18, s18, s21
	s_or_b32 exec_lo, exec_lo, s19
	v_mov_b32_e32 v7, s20
	s_and_saveexec_b32 s19, s18
	s_cbranch_execnz .LBB408_21
	s_branch .LBB408_22
.LBB408_33:                             ;   in Loop: Header=BB408_5 Depth=1
	v_bfe_u32 v6, v9, 21, 1
	s_mov_b32 s18, exec_lo
	s_delay_alu instid0(VALU_DEP_1) | instskip(NEXT) | instid1(VALU_DEP_1)
	v_add3_u32 v6, v5, v6, 0x88fffff
	v_lshrrev_b32_e32 v8, 21, v6
	s_or_saveexec_b32 s19, s19
                                        ; implicit-def: $sgpr20
	s_delay_alu instid0(SALU_CYCLE_1)
	s_xor_b32 exec_lo, exec_lo, s19
	s_cbranch_execz .LBB408_26
.LBB408_34:                             ;   in Loop: Header=BB408_5 Depth=1
	v_add_f32_e64 v6, 0x42800000, |v5|
	s_and_not1_b32 s18, s18, exec_lo
	s_mov_b32 s20, 0
	s_delay_alu instid0(VALU_DEP_1) | instskip(NEXT) | instid1(VALU_DEP_1)
	v_and_b32_e32 v8, 0xff, v6
	v_cmp_ne_u32_e32 vcc_lo, 0, v8
	s_and_b32 s21, vcc_lo, exec_lo
	s_delay_alu instid0(SALU_CYCLE_1)
	s_or_b32 s18, s18, s21
	s_or_b32 exec_lo, exec_lo, s19
	v_mov_b32_e32 v6, s20
	s_and_saveexec_b32 s19, s18
	s_cbranch_execz .LBB408_3
.LBB408_35:                             ;   in Loop: Header=BB408_5 Depth=1
	v_lshrrev_b32_e32 v5, 24, v5
	s_delay_alu instid0(VALU_DEP_1)
	v_and_or_b32 v6, 0x80, v5, v8
	s_branch .LBB408_3
.LBB408_36:
	s_or_b32 exec_lo, exec_lo, s15
	s_mov_b32 s2, 0
.LBB408_37:
	s_delay_alu instid0(SALU_CYCLE_1)
	s_and_not1_b32 vcc_lo, exec_lo, s2
	s_cbranch_vccnz .LBB408_89
; %bb.38:
	v_cmp_lt_i64_e64 s2, s[4:5], 1
	s_delay_alu instid0(VALU_DEP_1)
	s_and_b32 vcc_lo, exec_lo, s2
	s_cbranch_vccnz .LBB408_89
; %bb.39:
	s_load_b32 s0, s[0:1], 0xc5c
	v_add_co_u32 v1, s1, s10, v0
	s_delay_alu instid0(VALU_DEP_1) | instskip(SKIP_1) | instid1(VALU_DEP_3)
	v_add_co_ci_u32_e64 v2, null, s11, 0, s1
	v_cmp_gt_u64_e64 s1, 0x10000, s[4:5]
	v_add_co_u32 v9, vcc_lo, s6, v1
	s_delay_alu instid0(VALU_DEP_3)
	v_add_co_ci_u32_e32 v10, vcc_lo, s7, v2, vcc_lo
	v_add_co_u32 v11, vcc_lo, s8, v1
	v_add_co_ci_u32_e32 v12, vcc_lo, s9, v2, vcc_lo
                                        ; implicit-def: $vgpr31
                                        ; implicit-def: $vgpr32
                                        ; implicit-def: $vgpr33
                                        ; implicit-def: $vgpr34
	s_waitcnt lgkmcnt(0)
	s_and_b32 s0, s0, 0xffff
	s_and_b32 s1, s1, exec_lo
	s_mul_i32 s13, s0, 3
	s_cselect_b32 s3, s5, 0
	s_cselect_b32 s2, s4, 0x10000
	s_lshl_b32 s12, s0, 1
	s_lshl_b32 s1, s0, 2
	s_add_u32 s14, s10, s13
	s_addc_u32 s15, s11, 0
	v_add_co_u32 v3, s14, s14, v0
	s_delay_alu instid0(VALU_DEP_1) | instskip(SKIP_1) | instid1(VALU_DEP_2)
	v_add_co_ci_u32_e64 v4, null, s15, 0, s14
	s_add_u32 s10, s10, s12
	v_add_co_u32 v13, vcc_lo, s6, v3
	s_delay_alu instid0(VALU_DEP_2)
	v_add_co_ci_u32_e32 v14, vcc_lo, s7, v4, vcc_lo
	v_add_co_u32 v15, vcc_lo, s8, v3
	s_addc_u32 s11, s11, 0
	v_add_co_u32 v3, s10, s10, v0
	v_add_co_ci_u32_e32 v16, vcc_lo, s9, v4, vcc_lo
	v_add_co_ci_u32_e64 v4, null, s11, 0, s10
	s_delay_alu instid0(VALU_DEP_3) | instskip(SKIP_1) | instid1(VALU_DEP_3)
	v_add_co_u32 v19, vcc_lo, s6, v3
	v_add_co_u32 v17, s10, s13, v0
	v_add_co_ci_u32_e32 v20, vcc_lo, s7, v4, vcc_lo
	v_add_co_u32 v21, vcc_lo, s8, v3
	v_add_co_ci_u32_e32 v22, vcc_lo, s9, v4, vcc_lo
	v_add_co_u32 v1, vcc_lo, v1, s0
	v_add_co_ci_u32_e32 v2, vcc_lo, 0, v2, vcc_lo
	v_add_co_ci_u32_e64 v18, null, 0, 0, s10
	s_delay_alu instid0(VALU_DEP_3) | instskip(NEXT) | instid1(VALU_DEP_3)
	v_add_co_u32 v25, vcc_lo, s6, v1
	v_add_co_ci_u32_e32 v26, vcc_lo, s7, v2, vcc_lo
	v_add_co_u32 v23, s10, s12, v0
	v_add_co_u32 v27, vcc_lo, s8, v1
	v_add_co_u32 v29, s0, v0, s0
	v_add_co_ci_u32_e64 v24, null, 0, 0, s10
	v_add_co_ci_u32_e32 v28, vcc_lo, s9, v2, vcc_lo
	v_add_co_ci_u32_e64 v30, null, 0, 0, s0
	s_mov_b64 s[6:7], 0
	s_branch .LBB408_41
.LBB408_40:                             ;   in Loop: Header=BB408_41 Depth=1
	s_or_b32 exec_lo, exec_lo, s0
	s_add_u32 s6, s6, s1
	s_addc_u32 s7, s7, 0
	s_delay_alu instid0(SALU_CYCLE_1) | instskip(SKIP_1) | instid1(VALU_DEP_1)
	v_cmp_ge_i64_e64 s0, s[6:7], s[4:5]
	v_cmp_lt_u64_e64 s8, 0xffff, s[6:7]
	s_or_b32 s0, s0, s8
	s_delay_alu instid0(SALU_CYCLE_1)
	s_and_b32 vcc_lo, exec_lo, s0
	s_cbranch_vccnz .LBB408_89
.LBB408_41:                             ; =>This Inner Loop Header: Depth=1
	v_add_co_u32 v1, s0, v0, s6
	s_delay_alu instid0(VALU_DEP_1) | instskip(NEXT) | instid1(VALU_DEP_1)
	v_add_co_ci_u32_e64 v2, null, 0, s7, s0
	v_cmp_gt_i64_e32 vcc_lo, s[4:5], v[1:2]
	v_cmp_gt_u64_e64 s0, 0x10000, v[1:2]
	s_delay_alu instid0(VALU_DEP_1) | instskip(NEXT) | instid1(SALU_CYCLE_1)
	s_and_b32 s8, vcc_lo, s0
	s_and_saveexec_b32 s0, s8
	s_cbranch_execz .LBB408_43
; %bb.42:                               ;   in Loop: Header=BB408_41 Depth=1
	v_add_co_u32 v3, vcc_lo, v9, s6
	v_add_co_ci_u32_e32 v4, vcc_lo, s7, v10, vcc_lo
	global_load_u8 v34, v[3:4], off
.LBB408_43:                             ;   in Loop: Header=BB408_41 Depth=1
	s_or_b32 exec_lo, exec_lo, s0
	v_add_co_u32 v3, vcc_lo, v29, s6
	v_add_co_ci_u32_e32 v4, vcc_lo, s7, v30, vcc_lo
	s_delay_alu instid0(VALU_DEP_1) | instskip(SKIP_1) | instid1(VALU_DEP_1)
	v_cmp_gt_i64_e32 vcc_lo, s[4:5], v[3:4]
	v_cmp_gt_u64_e64 s0, 0x10000, v[3:4]
	s_and_b32 s8, vcc_lo, s0
	s_delay_alu instid0(SALU_CYCLE_1)
	s_and_saveexec_b32 s0, s8
	s_cbranch_execz .LBB408_45
; %bb.44:                               ;   in Loop: Header=BB408_41 Depth=1
	v_add_co_u32 v5, vcc_lo, v25, s6
	v_add_co_ci_u32_e32 v6, vcc_lo, s7, v26, vcc_lo
	global_load_u8 v33, v[5:6], off
.LBB408_45:                             ;   in Loop: Header=BB408_41 Depth=1
	s_or_b32 exec_lo, exec_lo, s0
	v_add_co_u32 v5, vcc_lo, v23, s6
	v_add_co_ci_u32_e32 v6, vcc_lo, s7, v24, vcc_lo
	s_delay_alu instid0(VALU_DEP_1) | instskip(SKIP_1) | instid1(VALU_DEP_1)
	v_cmp_gt_i64_e32 vcc_lo, s[4:5], v[5:6]
	v_cmp_gt_u64_e64 s0, 0x10000, v[5:6]
	s_and_b32 s8, vcc_lo, s0
	s_delay_alu instid0(SALU_CYCLE_1)
	;; [unrolled: 15-line block ×3, first 2 shown]
	s_and_saveexec_b32 s0, s8
	s_cbranch_execz .LBB408_49
; %bb.48:                               ;   in Loop: Header=BB408_41 Depth=1
	v_add_co_u32 v35, vcc_lo, v13, s6
	v_add_co_ci_u32_e32 v36, vcc_lo, s7, v14, vcc_lo
	global_load_u8 v31, v[35:36], off
.LBB408_49:                             ;   in Loop: Header=BB408_41 Depth=1
	s_or_b32 exec_lo, exec_lo, s0
	s_waitcnt vmcnt(0)
	v_lshlrev_b32_e32 v35, 24, v34
	s_mov_b32 s0, exec_lo
	s_delay_alu instid0(VALU_DEP_1) | instskip(NEXT) | instid1(VALU_DEP_1)
	v_and_b32_e32 v36, 0x7f000000, v35
	v_clz_i32_u32_e32 v37, v36
	v_add_nc_u32_e32 v39, 0x1000000, v36
	v_cmp_ne_u32_e32 vcc_lo, 0, v36
	s_delay_alu instid0(VALU_DEP_3) | instskip(NEXT) | instid1(VALU_DEP_1)
	v_min_u32_e32 v37, 32, v37
	v_sub_nc_u32_e64 v37, v37, 4 clamp
	s_delay_alu instid0(VALU_DEP_1) | instskip(SKIP_1) | instid1(VALU_DEP_2)
	v_lshlrev_b32_e32 v38, v37, v36
	v_dual_mov_b32 v36, 0x80 :: v_dual_lshlrev_b32 v37, 23, v37
	v_lshrrev_b32_e32 v38, 4, v38
	s_delay_alu instid0(VALU_DEP_1) | instskip(SKIP_1) | instid1(VALU_DEP_2)
	v_sub_nc_u32_e32 v37, v38, v37
	v_ashrrev_i32_e32 v38, 8, v39
	v_add_nc_u32_e32 v37, 0x3c000000, v37
	s_delay_alu instid0(VALU_DEP_1) | instskip(NEXT) | instid1(VALU_DEP_1)
	v_and_or_b32 v37, 0x7f800000, v38, v37
	v_cndmask_b32_e32 v39, 0, v37, vcc_lo
	s_delay_alu instid0(VALU_DEP_1) | instskip(SKIP_1) | instid1(VALU_DEP_2)
	v_and_or_b32 v37, 0x80000000, v35, v39
	v_mov_b32_e32 v35, 0x80
	v_and_b32_e32 v38, 0x7fffffff, v37
	s_delay_alu instid0(VALU_DEP_1)
	v_cmpx_gt_u32_e32 0x47800000, v38
	s_cbranch_execz .LBB408_55
; %bb.50:                               ;   in Loop: Header=BB408_41 Depth=1
	v_cmp_lt_u32_e32 vcc_lo, 0x37ffffff, v38
	s_mov_b32 s8, 0
                                        ; implicit-def: $vgpr38
	s_and_saveexec_b32 s9, vcc_lo
	s_delay_alu instid0(SALU_CYCLE_1)
	s_xor_b32 s9, exec_lo, s9
	s_cbranch_execnz .LBB408_81
; %bb.51:                               ;   in Loop: Header=BB408_41 Depth=1
	s_or_saveexec_b32 s9, s9
                                        ; implicit-def: $sgpr10
	s_delay_alu instid0(SALU_CYCLE_1)
	s_xor_b32 exec_lo, exec_lo, s9
	s_cbranch_execnz .LBB408_82
.LBB408_52:                             ;   in Loop: Header=BB408_41 Depth=1
	s_or_b32 exec_lo, exec_lo, s9
	v_mov_b32_e32 v36, s10
	s_and_saveexec_b32 s9, s8
.LBB408_53:                             ;   in Loop: Header=BB408_41 Depth=1
	v_lshrrev_b32_e32 v36, 24, v37
	s_delay_alu instid0(VALU_DEP_1)
	v_and_or_b32 v36, 0x80, v36, v38
.LBB408_54:                             ;   in Loop: Header=BB408_41 Depth=1
	s_or_b32 exec_lo, exec_lo, s9
.LBB408_55:                             ;   in Loop: Header=BB408_41 Depth=1
	s_delay_alu instid0(SALU_CYCLE_1) | instskip(SKIP_2) | instid1(VALU_DEP_1)
	s_or_b32 exec_lo, exec_lo, s0
	v_lshlrev_b32_e32 v37, 24, v33
	s_mov_b32 s0, exec_lo
	v_and_b32_e32 v38, 0x7f000000, v37
	s_delay_alu instid0(VALU_DEP_1) | instskip(SKIP_2) | instid1(VALU_DEP_3)
	v_clz_i32_u32_e32 v39, v38
	v_add_nc_u32_e32 v41, 0x1000000, v38
	v_cmp_ne_u32_e32 vcc_lo, 0, v38
	v_min_u32_e32 v39, 32, v39
	s_delay_alu instid0(VALU_DEP_1) | instskip(NEXT) | instid1(VALU_DEP_1)
	v_sub_nc_u32_e64 v39, v39, 4 clamp
	v_lshlrev_b32_e32 v40, v39, v38
	v_lshlrev_b32_e32 v39, 23, v39
	s_delay_alu instid0(VALU_DEP_2) | instskip(NEXT) | instid1(VALU_DEP_1)
	v_lshrrev_b32_e32 v40, 4, v40
	v_sub_nc_u32_e32 v39, v40, v39
	v_ashrrev_i32_e32 v40, 8, v41
	s_delay_alu instid0(VALU_DEP_2) | instskip(NEXT) | instid1(VALU_DEP_1)
	v_add_nc_u32_e32 v39, 0x3c000000, v39
	v_and_or_b32 v39, 0x7f800000, v40, v39
	s_delay_alu instid0(VALU_DEP_1) | instskip(NEXT) | instid1(VALU_DEP_1)
	v_cndmask_b32_e32 v39, 0, v39, vcc_lo
	v_and_or_b32 v37, 0x80000000, v37, v39
	s_delay_alu instid0(VALU_DEP_1) | instskip(NEXT) | instid1(VALU_DEP_1)
	v_and_b32_e32 v38, 0x7fffffff, v37
	v_cmpx_gt_u32_e32 0x47800000, v38
	s_cbranch_execz .LBB408_61
; %bb.56:                               ;   in Loop: Header=BB408_41 Depth=1
	v_cmp_lt_u32_e32 vcc_lo, 0x37ffffff, v38
	s_mov_b32 s8, 0
                                        ; implicit-def: $vgpr38
	s_and_saveexec_b32 s9, vcc_lo
	s_delay_alu instid0(SALU_CYCLE_1)
	s_xor_b32 s9, exec_lo, s9
	s_cbranch_execnz .LBB408_83
; %bb.57:                               ;   in Loop: Header=BB408_41 Depth=1
	s_or_saveexec_b32 s9, s9
                                        ; implicit-def: $sgpr10
	s_delay_alu instid0(SALU_CYCLE_1)
	s_xor_b32 exec_lo, exec_lo, s9
	s_cbranch_execnz .LBB408_84
.LBB408_58:                             ;   in Loop: Header=BB408_41 Depth=1
	s_or_b32 exec_lo, exec_lo, s9
	v_mov_b32_e32 v35, s10
	s_and_saveexec_b32 s9, s8
.LBB408_59:                             ;   in Loop: Header=BB408_41 Depth=1
	v_lshrrev_b32_e32 v35, 24, v37
	s_delay_alu instid0(VALU_DEP_1)
	v_and_or_b32 v35, 0x80, v35, v38
.LBB408_60:                             ;   in Loop: Header=BB408_41 Depth=1
	s_or_b32 exec_lo, exec_lo, s9
.LBB408_61:                             ;   in Loop: Header=BB408_41 Depth=1
	s_delay_alu instid0(SALU_CYCLE_1) | instskip(SKIP_2) | instid1(VALU_DEP_1)
	s_or_b32 exec_lo, exec_lo, s0
	v_lshlrev_b32_e32 v37, 24, v32
	s_mov_b32 s0, exec_lo
	v_and_b32_e32 v38, 0x7f000000, v37
	s_delay_alu instid0(VALU_DEP_1) | instskip(SKIP_2) | instid1(VALU_DEP_3)
	v_clz_i32_u32_e32 v39, v38
	v_add_nc_u32_e32 v41, 0x1000000, v38
	v_cmp_ne_u32_e32 vcc_lo, 0, v38
	v_min_u32_e32 v39, 32, v39
	s_delay_alu instid0(VALU_DEP_1) | instskip(NEXT) | instid1(VALU_DEP_1)
	v_sub_nc_u32_e64 v39, v39, 4 clamp
	v_lshlrev_b32_e32 v40, v39, v38
	v_dual_mov_b32 v38, 0x80 :: v_dual_lshlrev_b32 v39, 23, v39
	s_delay_alu instid0(VALU_DEP_2) | instskip(NEXT) | instid1(VALU_DEP_1)
	v_lshrrev_b32_e32 v40, 4, v40
	v_sub_nc_u32_e32 v39, v40, v39
	v_ashrrev_i32_e32 v40, 8, v41
	s_delay_alu instid0(VALU_DEP_2) | instskip(NEXT) | instid1(VALU_DEP_1)
	v_add_nc_u32_e32 v39, 0x3c000000, v39
	v_and_or_b32 v39, 0x7f800000, v40, v39
	s_delay_alu instid0(VALU_DEP_1) | instskip(NEXT) | instid1(VALU_DEP_1)
	v_cndmask_b32_e32 v41, 0, v39, vcc_lo
	v_and_or_b32 v39, 0x80000000, v37, v41
	v_mov_b32_e32 v37, 0x80
	s_delay_alu instid0(VALU_DEP_2) | instskip(NEXT) | instid1(VALU_DEP_1)
	v_and_b32_e32 v40, 0x7fffffff, v39
	v_cmpx_gt_u32_e32 0x47800000, v40
	s_cbranch_execz .LBB408_67
; %bb.62:                               ;   in Loop: Header=BB408_41 Depth=1
	v_cmp_lt_u32_e32 vcc_lo, 0x37ffffff, v40
	s_mov_b32 s8, 0
                                        ; implicit-def: $vgpr40
	s_and_saveexec_b32 s9, vcc_lo
	s_delay_alu instid0(SALU_CYCLE_1)
	s_xor_b32 s9, exec_lo, s9
	s_cbranch_execnz .LBB408_85
; %bb.63:                               ;   in Loop: Header=BB408_41 Depth=1
	s_or_saveexec_b32 s9, s9
                                        ; implicit-def: $sgpr10
	s_delay_alu instid0(SALU_CYCLE_1)
	s_xor_b32 exec_lo, exec_lo, s9
	s_cbranch_execnz .LBB408_86
.LBB408_64:                             ;   in Loop: Header=BB408_41 Depth=1
	s_or_b32 exec_lo, exec_lo, s9
	v_mov_b32_e32 v38, s10
	s_and_saveexec_b32 s9, s8
.LBB408_65:                             ;   in Loop: Header=BB408_41 Depth=1
	v_lshrrev_b32_e32 v38, 24, v39
	s_delay_alu instid0(VALU_DEP_1)
	v_and_or_b32 v38, 0x80, v38, v40
.LBB408_66:                             ;   in Loop: Header=BB408_41 Depth=1
	s_or_b32 exec_lo, exec_lo, s9
.LBB408_67:                             ;   in Loop: Header=BB408_41 Depth=1
	s_delay_alu instid0(SALU_CYCLE_1) | instskip(SKIP_2) | instid1(VALU_DEP_1)
	s_or_b32 exec_lo, exec_lo, s0
	v_lshlrev_b32_e32 v39, 24, v31
	s_mov_b32 s0, exec_lo
	v_and_b32_e32 v40, 0x7f000000, v39
	s_delay_alu instid0(VALU_DEP_1) | instskip(SKIP_2) | instid1(VALU_DEP_3)
	v_clz_i32_u32_e32 v41, v40
	v_add_nc_u32_e32 v43, 0x1000000, v40
	v_cmp_ne_u32_e32 vcc_lo, 0, v40
	v_min_u32_e32 v41, 32, v41
	s_delay_alu instid0(VALU_DEP_1) | instskip(NEXT) | instid1(VALU_DEP_1)
	v_sub_nc_u32_e64 v41, v41, 4 clamp
	v_lshlrev_b32_e32 v42, v41, v40
	v_lshlrev_b32_e32 v41, 23, v41
	s_delay_alu instid0(VALU_DEP_2) | instskip(NEXT) | instid1(VALU_DEP_1)
	v_lshrrev_b32_e32 v42, 4, v42
	v_sub_nc_u32_e32 v41, v42, v41
	v_ashrrev_i32_e32 v42, 8, v43
	s_delay_alu instid0(VALU_DEP_2) | instskip(NEXT) | instid1(VALU_DEP_1)
	v_add_nc_u32_e32 v41, 0x3c000000, v41
	v_and_or_b32 v41, 0x7f800000, v42, v41
	s_delay_alu instid0(VALU_DEP_1) | instskip(NEXT) | instid1(VALU_DEP_1)
	v_cndmask_b32_e32 v41, 0, v41, vcc_lo
	v_and_or_b32 v39, 0x80000000, v39, v41
	s_delay_alu instid0(VALU_DEP_1) | instskip(NEXT) | instid1(VALU_DEP_1)
	v_and_b32_e32 v40, 0x7fffffff, v39
	v_cmpx_gt_u32_e32 0x47800000, v40
	s_cbranch_execz .LBB408_73
; %bb.68:                               ;   in Loop: Header=BB408_41 Depth=1
	v_cmp_lt_u32_e32 vcc_lo, 0x37ffffff, v40
	s_mov_b32 s8, 0
                                        ; implicit-def: $vgpr40
	s_and_saveexec_b32 s9, vcc_lo
	s_delay_alu instid0(SALU_CYCLE_1)
	s_xor_b32 s9, exec_lo, s9
	s_cbranch_execnz .LBB408_87
; %bb.69:                               ;   in Loop: Header=BB408_41 Depth=1
	s_or_saveexec_b32 s9, s9
                                        ; implicit-def: $sgpr10
	s_delay_alu instid0(SALU_CYCLE_1)
	s_xor_b32 exec_lo, exec_lo, s9
	s_cbranch_execnz .LBB408_88
.LBB408_70:                             ;   in Loop: Header=BB408_41 Depth=1
	s_or_b32 exec_lo, exec_lo, s9
	v_mov_b32_e32 v37, s10
	s_and_saveexec_b32 s9, s8
.LBB408_71:                             ;   in Loop: Header=BB408_41 Depth=1
	v_lshrrev_b32_e32 v37, 24, v39
	s_delay_alu instid0(VALU_DEP_1)
	v_and_or_b32 v37, 0x80, v37, v40
.LBB408_72:                             ;   in Loop: Header=BB408_41 Depth=1
	s_or_b32 exec_lo, exec_lo, s9
.LBB408_73:                             ;   in Loop: Header=BB408_41 Depth=1
	s_delay_alu instid0(SALU_CYCLE_1) | instskip(NEXT) | instid1(SALU_CYCLE_1)
	s_or_b32 exec_lo, exec_lo, s0
	s_mov_b32 s0, exec_lo
	v_cmpx_gt_u64_e64 s[2:3], v[1:2]
	s_xor_b32 s0, exec_lo, s0
	s_cbranch_execnz .LBB408_77
; %bb.74:                               ;   in Loop: Header=BB408_41 Depth=1
	s_or_b32 exec_lo, exec_lo, s0
	s_delay_alu instid0(SALU_CYCLE_1)
	s_mov_b32 s0, exec_lo
	v_cmpx_gt_u64_e64 s[2:3], v[3:4]
	s_cbranch_execnz .LBB408_78
.LBB408_75:                             ;   in Loop: Header=BB408_41 Depth=1
	s_or_b32 exec_lo, exec_lo, s0
	s_delay_alu instid0(SALU_CYCLE_1)
	s_mov_b32 s0, exec_lo
	v_cmpx_gt_u64_e64 s[2:3], v[5:6]
	s_cbranch_execnz .LBB408_79
.LBB408_76:                             ;   in Loop: Header=BB408_41 Depth=1
	s_or_b32 exec_lo, exec_lo, s0
	s_delay_alu instid0(SALU_CYCLE_1)
	s_mov_b32 s0, exec_lo
	v_cmpx_gt_u64_e64 s[2:3], v[7:8]
	s_cbranch_execz .LBB408_40
	s_branch .LBB408_80
.LBB408_77:                             ;   in Loop: Header=BB408_41 Depth=1
	v_add_co_u32 v1, vcc_lo, v11, s6
	v_add_co_ci_u32_e32 v2, vcc_lo, s7, v12, vcc_lo
	global_store_b8 v[1:2], v36, off
	s_or_b32 exec_lo, exec_lo, s0
	s_delay_alu instid0(SALU_CYCLE_1)
	s_mov_b32 s0, exec_lo
	v_cmpx_gt_u64_e64 s[2:3], v[3:4]
	s_cbranch_execz .LBB408_75
.LBB408_78:                             ;   in Loop: Header=BB408_41 Depth=1
	v_add_co_u32 v1, vcc_lo, v27, s6
	v_add_co_ci_u32_e32 v2, vcc_lo, s7, v28, vcc_lo
	global_store_b8 v[1:2], v35, off
	s_or_b32 exec_lo, exec_lo, s0
	s_delay_alu instid0(SALU_CYCLE_1)
	s_mov_b32 s0, exec_lo
	v_cmpx_gt_u64_e64 s[2:3], v[5:6]
	s_cbranch_execz .LBB408_76
.LBB408_79:                             ;   in Loop: Header=BB408_41 Depth=1
	v_add_co_u32 v1, vcc_lo, v21, s6
	v_add_co_ci_u32_e32 v2, vcc_lo, s7, v22, vcc_lo
	global_store_b8 v[1:2], v38, off
	s_or_b32 exec_lo, exec_lo, s0
	s_delay_alu instid0(SALU_CYCLE_1)
	s_mov_b32 s0, exec_lo
	v_cmpx_gt_u64_e64 s[2:3], v[7:8]
	s_cbranch_execz .LBB408_40
.LBB408_80:                             ;   in Loop: Header=BB408_41 Depth=1
	v_add_co_u32 v1, vcc_lo, v15, s6
	v_add_co_ci_u32_e32 v2, vcc_lo, s7, v16, vcc_lo
	global_store_b8 v[1:2], v37, off
	s_branch .LBB408_40
.LBB408_81:                             ;   in Loop: Header=BB408_41 Depth=1
	v_bfe_u32 v36, v39, 21, 1
	s_mov_b32 s8, exec_lo
	s_delay_alu instid0(VALU_DEP_1) | instskip(NEXT) | instid1(VALU_DEP_1)
	v_add3_u32 v36, v37, v36, 0x88fffff
	v_lshrrev_b32_e32 v38, 21, v36
	s_or_saveexec_b32 s9, s9
                                        ; implicit-def: $sgpr10
	s_delay_alu instid0(SALU_CYCLE_1)
	s_xor_b32 exec_lo, exec_lo, s9
	s_cbranch_execz .LBB408_52
.LBB408_82:                             ;   in Loop: Header=BB408_41 Depth=1
	v_add_f32_e64 v36, 0x42800000, |v37|
	s_and_not1_b32 s8, s8, exec_lo
	s_mov_b32 s10, 0
	s_delay_alu instid0(VALU_DEP_1) | instskip(NEXT) | instid1(VALU_DEP_1)
	v_and_b32_e32 v38, 0xff, v36
	v_cmp_ne_u32_e32 vcc_lo, 0, v38
	s_and_b32 s11, vcc_lo, exec_lo
	s_delay_alu instid0(SALU_CYCLE_1)
	s_or_b32 s8, s8, s11
	s_or_b32 exec_lo, exec_lo, s9
	v_mov_b32_e32 v36, s10
	s_and_saveexec_b32 s9, s8
	s_cbranch_execnz .LBB408_53
	s_branch .LBB408_54
.LBB408_83:                             ;   in Loop: Header=BB408_41 Depth=1
	v_bfe_u32 v35, v39, 21, 1
	s_mov_b32 s8, exec_lo
	s_delay_alu instid0(VALU_DEP_1) | instskip(NEXT) | instid1(VALU_DEP_1)
	v_add3_u32 v35, v37, v35, 0x88fffff
	v_lshrrev_b32_e32 v38, 21, v35
	s_or_saveexec_b32 s9, s9
                                        ; implicit-def: $sgpr10
	s_delay_alu instid0(SALU_CYCLE_1)
	s_xor_b32 exec_lo, exec_lo, s9
	s_cbranch_execz .LBB408_58
.LBB408_84:                             ;   in Loop: Header=BB408_41 Depth=1
	v_add_f32_e64 v35, 0x42800000, |v37|
	s_and_not1_b32 s8, s8, exec_lo
	s_mov_b32 s10, 0
	s_delay_alu instid0(VALU_DEP_1) | instskip(NEXT) | instid1(VALU_DEP_1)
	v_and_b32_e32 v38, 0xff, v35
	v_cmp_ne_u32_e32 vcc_lo, 0, v38
	s_and_b32 s11, vcc_lo, exec_lo
	s_delay_alu instid0(SALU_CYCLE_1)
	s_or_b32 s8, s8, s11
	s_or_b32 exec_lo, exec_lo, s9
	v_mov_b32_e32 v35, s10
	s_and_saveexec_b32 s9, s8
	s_cbranch_execnz .LBB408_59
	s_branch .LBB408_60
.LBB408_85:                             ;   in Loop: Header=BB408_41 Depth=1
	v_bfe_u32 v38, v41, 21, 1
	s_mov_b32 s8, exec_lo
	s_delay_alu instid0(VALU_DEP_1) | instskip(NEXT) | instid1(VALU_DEP_1)
	v_add3_u32 v38, v39, v38, 0x88fffff
	v_lshrrev_b32_e32 v40, 21, v38
	s_or_saveexec_b32 s9, s9
                                        ; implicit-def: $sgpr10
	s_delay_alu instid0(SALU_CYCLE_1)
	s_xor_b32 exec_lo, exec_lo, s9
	s_cbranch_execz .LBB408_64
.LBB408_86:                             ;   in Loop: Header=BB408_41 Depth=1
	v_add_f32_e64 v38, 0x42800000, |v39|
	s_and_not1_b32 s8, s8, exec_lo
	s_mov_b32 s10, 0
	s_delay_alu instid0(VALU_DEP_1) | instskip(NEXT) | instid1(VALU_DEP_1)
	v_and_b32_e32 v40, 0xff, v38
	v_cmp_ne_u32_e32 vcc_lo, 0, v40
	s_and_b32 s11, vcc_lo, exec_lo
	s_delay_alu instid0(SALU_CYCLE_1)
	s_or_b32 s8, s8, s11
	s_or_b32 exec_lo, exec_lo, s9
	v_mov_b32_e32 v38, s10
	s_and_saveexec_b32 s9, s8
	s_cbranch_execnz .LBB408_65
	s_branch .LBB408_66
.LBB408_87:                             ;   in Loop: Header=BB408_41 Depth=1
	v_bfe_u32 v37, v41, 21, 1
	s_mov_b32 s8, exec_lo
	s_delay_alu instid0(VALU_DEP_1) | instskip(NEXT) | instid1(VALU_DEP_1)
	v_add3_u32 v37, v39, v37, 0x88fffff
	v_lshrrev_b32_e32 v40, 21, v37
	s_or_saveexec_b32 s9, s9
                                        ; implicit-def: $sgpr10
	s_delay_alu instid0(SALU_CYCLE_1)
	s_xor_b32 exec_lo, exec_lo, s9
	s_cbranch_execz .LBB408_70
.LBB408_88:                             ;   in Loop: Header=BB408_41 Depth=1
	v_add_f32_e64 v37, 0x42800000, |v39|
	s_and_not1_b32 s8, s8, exec_lo
	s_mov_b32 s10, 0
	s_delay_alu instid0(VALU_DEP_1) | instskip(NEXT) | instid1(VALU_DEP_1)
	v_and_b32_e32 v40, 0xff, v37
	v_cmp_ne_u32_e32 vcc_lo, 0, v40
	s_and_b32 s11, vcc_lo, exec_lo
	s_delay_alu instid0(SALU_CYCLE_1)
	s_or_b32 s8, s8, s11
	s_or_b32 exec_lo, exec_lo, s9
	v_mov_b32_e32 v37, s10
	s_and_saveexec_b32 s9, s8
	s_cbranch_execnz .LBB408_71
	s_branch .LBB408_72
.LBB408_89:
	s_nop 0
	s_sendmsg sendmsg(MSG_DEALLOC_VGPRS)
	s_endpgm
	.section	.rodata,"a",@progbits
	.p2align	6, 0x0
	.amdhsa_kernel _ZN2at6native12_GLOBAL__N_125multi_tensor_apply_kernelINS1_18TensorListMetadataILi2EEENS1_11CopyFunctorIN3c1015Float8_e5m2fnuzENS6_13Float8_e4m3fnELi2ELi1ELi1EEEJNS0_4CopyIS7_S8_EEEEEvT_T0_DpT1_
		.amdhsa_group_segment_fixed_size 0
		.amdhsa_private_segment_fixed_size 0
		.amdhsa_kernarg_size 3408
		.amdhsa_user_sgpr_count 15
		.amdhsa_user_sgpr_dispatch_ptr 0
		.amdhsa_user_sgpr_queue_ptr 0
		.amdhsa_user_sgpr_kernarg_segment_ptr 1
		.amdhsa_user_sgpr_dispatch_id 0
		.amdhsa_user_sgpr_private_segment_size 0
		.amdhsa_wavefront_size32 1
		.amdhsa_uses_dynamic_stack 0
		.amdhsa_enable_private_segment 0
		.amdhsa_system_sgpr_workgroup_id_x 1
		.amdhsa_system_sgpr_workgroup_id_y 0
		.amdhsa_system_sgpr_workgroup_id_z 0
		.amdhsa_system_sgpr_workgroup_info 0
		.amdhsa_system_vgpr_workitem_id 0
		.amdhsa_next_free_vgpr 44
		.amdhsa_next_free_sgpr 22
		.amdhsa_reserve_vcc 1
		.amdhsa_float_round_mode_32 0
		.amdhsa_float_round_mode_16_64 0
		.amdhsa_float_denorm_mode_32 3
		.amdhsa_float_denorm_mode_16_64 3
		.amdhsa_dx10_clamp 1
		.amdhsa_ieee_mode 1
		.amdhsa_fp16_overflow 0
		.amdhsa_workgroup_processor_mode 1
		.amdhsa_memory_ordered 1
		.amdhsa_forward_progress 0
		.amdhsa_shared_vgpr_count 0
		.amdhsa_exception_fp_ieee_invalid_op 0
		.amdhsa_exception_fp_denorm_src 0
		.amdhsa_exception_fp_ieee_div_zero 0
		.amdhsa_exception_fp_ieee_overflow 0
		.amdhsa_exception_fp_ieee_underflow 0
		.amdhsa_exception_fp_ieee_inexact 0
		.amdhsa_exception_int_div_zero 0
	.end_amdhsa_kernel
	.section	.text._ZN2at6native12_GLOBAL__N_125multi_tensor_apply_kernelINS1_18TensorListMetadataILi2EEENS1_11CopyFunctorIN3c1015Float8_e5m2fnuzENS6_13Float8_e4m3fnELi2ELi1ELi1EEEJNS0_4CopyIS7_S8_EEEEEvT_T0_DpT1_,"axG",@progbits,_ZN2at6native12_GLOBAL__N_125multi_tensor_apply_kernelINS1_18TensorListMetadataILi2EEENS1_11CopyFunctorIN3c1015Float8_e5m2fnuzENS6_13Float8_e4m3fnELi2ELi1ELi1EEEJNS0_4CopyIS7_S8_EEEEEvT_T0_DpT1_,comdat
.Lfunc_end408:
	.size	_ZN2at6native12_GLOBAL__N_125multi_tensor_apply_kernelINS1_18TensorListMetadataILi2EEENS1_11CopyFunctorIN3c1015Float8_e5m2fnuzENS6_13Float8_e4m3fnELi2ELi1ELi1EEEJNS0_4CopyIS7_S8_EEEEEvT_T0_DpT1_, .Lfunc_end408-_ZN2at6native12_GLOBAL__N_125multi_tensor_apply_kernelINS1_18TensorListMetadataILi2EEENS1_11CopyFunctorIN3c1015Float8_e5m2fnuzENS6_13Float8_e4m3fnELi2ELi1ELi1EEEJNS0_4CopyIS7_S8_EEEEEvT_T0_DpT1_
                                        ; -- End function
	.section	.AMDGPU.csdata,"",@progbits
; Kernel info:
; codeLenInByte = 4192
; NumSgprs: 24
; NumVgprs: 44
; ScratchSize: 0
; MemoryBound: 0
; FloatMode: 240
; IeeeMode: 1
; LDSByteSize: 0 bytes/workgroup (compile time only)
; SGPRBlocks: 2
; VGPRBlocks: 5
; NumSGPRsForWavesPerEU: 24
; NumVGPRsForWavesPerEU: 44
; Occupancy: 16
; WaveLimiterHint : 0
; COMPUTE_PGM_RSRC2:SCRATCH_EN: 0
; COMPUTE_PGM_RSRC2:USER_SGPR: 15
; COMPUTE_PGM_RSRC2:TRAP_HANDLER: 0
; COMPUTE_PGM_RSRC2:TGID_X_EN: 1
; COMPUTE_PGM_RSRC2:TGID_Y_EN: 0
; COMPUTE_PGM_RSRC2:TGID_Z_EN: 0
; COMPUTE_PGM_RSRC2:TIDIG_COMP_CNT: 0
	.section	.text._ZN2at6native12_GLOBAL__N_125multi_tensor_apply_kernelINS1_18TensorListMetadataILi2EEENS1_11CopyFunctorIN3c1015Float8_e5m2fnuzENS6_15Float8_e4m3fnuzELi2ELi1ELi1EEEJNS0_4CopyIS7_S8_EEEEEvT_T0_DpT1_,"axG",@progbits,_ZN2at6native12_GLOBAL__N_125multi_tensor_apply_kernelINS1_18TensorListMetadataILi2EEENS1_11CopyFunctorIN3c1015Float8_e5m2fnuzENS6_15Float8_e4m3fnuzELi2ELi1ELi1EEEJNS0_4CopyIS7_S8_EEEEEvT_T0_DpT1_,comdat
	.globl	_ZN2at6native12_GLOBAL__N_125multi_tensor_apply_kernelINS1_18TensorListMetadataILi2EEENS1_11CopyFunctorIN3c1015Float8_e5m2fnuzENS6_15Float8_e4m3fnuzELi2ELi1ELi1EEEJNS0_4CopyIS7_S8_EEEEEvT_T0_DpT1_ ; -- Begin function _ZN2at6native12_GLOBAL__N_125multi_tensor_apply_kernelINS1_18TensorListMetadataILi2EEENS1_11CopyFunctorIN3c1015Float8_e5m2fnuzENS6_15Float8_e4m3fnuzELi2ELi1ELi1EEEJNS0_4CopyIS7_S8_EEEEEvT_T0_DpT1_
	.p2align	8
	.type	_ZN2at6native12_GLOBAL__N_125multi_tensor_apply_kernelINS1_18TensorListMetadataILi2EEENS1_11CopyFunctorIN3c1015Float8_e5m2fnuzENS6_15Float8_e4m3fnuzELi2ELi1ELi1EEEJNS0_4CopyIS7_S8_EEEEEvT_T0_DpT1_,@function
_ZN2at6native12_GLOBAL__N_125multi_tensor_apply_kernelINS1_18TensorListMetadataILi2EEENS1_11CopyFunctorIN3c1015Float8_e5m2fnuzENS6_15Float8_e4m3fnuzELi2ELi1ELi1EEEJNS0_4CopyIS7_S8_EEEEEvT_T0_DpT1_: ; @_ZN2at6native12_GLOBAL__N_125multi_tensor_apply_kernelINS1_18TensorListMetadataILi2EEENS1_11CopyFunctorIN3c1015Float8_e5m2fnuzENS6_15Float8_e4m3fnuzELi2ELi1ELi1EEEJNS0_4CopyIS7_S8_EEEEEvT_T0_DpT1_
; %bb.0:
	v_mov_b32_e32 v1, s15
	s_add_u32 s2, s0, s15
	s_mul_i32 s4, s15, 3
	s_addc_u32 s3, s1, 0
	s_mul_hi_u32 s5, s15, 3
	global_load_u8 v1, v1, s[0:1] offset:1536
	s_add_u32 s2, s2, s4
	s_addc_u32 s3, s3, s5
	s_load_b32 s2, s[2:3], 0x740
	s_waitcnt vmcnt(0)
	v_readfirstlane_b32 s4, v1
	s_delay_alu instid0(VALU_DEP_1)
	s_lshl_b32 s3, s4, 3
	s_clause 0x2
	s_load_b64 s[6:7], s[0:1], s3 offset:0x0
	s_load_b64 s[8:9], s[0:1], s3 offset:0x200
	;; [unrolled: 1-line block ×3, first 2 shown]
	s_waitcnt lgkmcnt(0)
	s_ashr_i32 s3, s2, 31
	s_delay_alu instid0(SALU_CYCLE_1) | instskip(NEXT) | instid1(SALU_CYCLE_1)
	s_lshl_b64 s[10:11], s[2:3], 16
	s_add_u32 s3, s6, s10
	s_addc_u32 s14, s7, s11
	s_add_u32 s12, s8, s10
	s_addc_u32 s13, s9, s11
	s_delay_alu instid0(SALU_CYCLE_1) | instskip(NEXT) | instid1(SALU_CYCLE_1)
	s_or_b64 s[16:17], s[4:5], s[12:13]
	s_or_b32 s2, s3, s16
	s_delay_alu instid0(SALU_CYCLE_1)
	s_and_b32 s2, s2, 3
	s_sub_u32 s4, s4, s10
	s_subb_u32 s5, s5, s11
	s_cmp_eq_u32 s2, 0
	s_mov_b32 s2, -1
	s_cbranch_scc0 .LBB409_69
; %bb.1:
	v_dual_mov_b32 v2, 0 :: v_dual_lshlrev_b32 v1, 2, v0
	s_mov_b32 s15, exec_lo
	s_delay_alu instid0(VALU_DEP_1)
	v_cmpx_gt_i64_e64 s[4:5], v[1:2]
	s_cbranch_execz .LBB409_68
; %bb.2:
	s_load_b32 s2, s[0:1], 0xc5c
	s_mov_b32 s17, 0
	s_waitcnt lgkmcnt(0)
	s_and_b32 s2, s2, 0xffff
	s_delay_alu instid0(SALU_CYCLE_1)
	s_lshl_b32 s16, s2, 2
	s_branch .LBB409_5
.LBB409_3:                              ;   in Loop: Header=BB409_5 Depth=1
	s_or_b32 exec_lo, exec_lo, s19
.LBB409_4:                              ;   in Loop: Header=BB409_5 Depth=1
	s_delay_alu instid0(SALU_CYCLE_1)
	s_or_b32 exec_lo, exec_lo, s2
	v_add_co_u32 v9, vcc_lo, s12, v1
	v_add_co_ci_u32_e32 v10, vcc_lo, s13, v2, vcc_lo
	v_add_co_u32 v1, vcc_lo, s16, v1
	v_add_co_ci_u32_e32 v2, vcc_lo, 0, v2, vcc_lo
	v_lshlrev_b32_e32 v3, 16, v6
	v_lshlrev_b32_e32 v5, 8, v5
	v_and_b32_e32 v4, 0xff, v4
	s_delay_alu instid0(VALU_DEP_4) | instskip(SKIP_3) | instid1(VALU_DEP_3)
	v_cmp_le_i64_e32 vcc_lo, s[4:5], v[1:2]
	v_cmp_lt_u64_e64 s2, 0xffff, v[1:2]
	v_perm_b32 v3, v8, v3, 0x4020c0c
	v_and_b32_e32 v5, 0xff00, v5
	s_or_b32 s2, vcc_lo, s2
	s_delay_alu instid0(VALU_DEP_1) | instskip(SKIP_1) | instid1(SALU_CYCLE_1)
	v_or3_b32 v3, v3, v5, v4
	s_and_b32 s2, exec_lo, s2
	s_or_b32 s17, s2, s17
	global_store_b32 v[9:10], v3, off
	s_and_not1_b32 exec_lo, exec_lo, s17
	s_cbranch_execz .LBB409_68
.LBB409_5:                              ; =>This Inner Loop Header: Depth=1
	v_add_co_u32 v3, vcc_lo, s3, v1
	v_add_co_ci_u32_e32 v4, vcc_lo, s14, v2, vcc_lo
	s_mov_b32 s2, 0
	s_mov_b32 s19, exec_lo
                                        ; implicit-def: $sgpr18
	global_load_b32 v3, v[3:4], off
	s_waitcnt vmcnt(0)
	v_and_b32_e32 v4, 0xff, v3
	s_delay_alu instid0(VALU_DEP_1)
	v_cmpx_lt_i16_e32 0x7f, v4
	s_xor_b32 s19, exec_lo, s19
	s_cbranch_execnz .LBB409_43
; %bb.6:                                ;   in Loop: Header=BB409_5 Depth=1
	s_or_saveexec_b32 s19, s19
	v_mov_b32_e32 v5, s18
	s_xor_b32 exec_lo, exec_lo, s19
	s_cbranch_execnz .LBB409_46
.LBB409_7:                              ;   in Loop: Header=BB409_5 Depth=1
	s_or_b32 exec_lo, exec_lo, s19
	s_and_saveexec_b32 s18, s2
	s_cbranch_execz .LBB409_9
.LBB409_8:                              ;   in Loop: Header=BB409_5 Depth=1
	v_bfe_u32 v7, v3, 3, 4
	v_lshlrev_b32_e32 v8, 24, v3
	s_delay_alu instid0(VALU_DEP_2) | instskip(SKIP_1) | instid1(VALU_DEP_1)
	v_cmp_eq_u32_e32 vcc_lo, 0, v7
	v_and_b32_e32 v4, 7, v3
	v_clz_i32_u32_e32 v5, v4
	s_delay_alu instid0(VALU_DEP_1) | instskip(NEXT) | instid1(VALU_DEP_1)
	v_min_u32_e32 v5, 32, v5
	v_subrev_nc_u32_e32 v6, 28, v5
	v_sub_nc_u32_e32 v5, 29, v5
	s_delay_alu instid0(VALU_DEP_1) | instskip(NEXT) | instid1(VALU_DEP_1)
	v_dual_cndmask_b32 v5, v7, v5 :: v_dual_lshlrev_b32 v6, v6, v3
	v_and_b32_e32 v6, 7, v6
	s_delay_alu instid0(VALU_DEP_2) | instskip(NEXT) | instid1(VALU_DEP_2)
	v_lshl_add_u32 v5, v5, 23, 0x3b800000
	v_cndmask_b32_e32 v4, v4, v6, vcc_lo
	v_and_b32_e32 v6, 0x80000000, v8
	s_delay_alu instid0(VALU_DEP_2) | instskip(NEXT) | instid1(VALU_DEP_1)
	v_lshlrev_b32_e32 v4, 20, v4
	v_or3_b32 v5, v6, v5, v4
.LBB409_9:                              ;   in Loop: Header=BB409_5 Depth=1
	s_or_b32 exec_lo, exec_lo, s18
	s_delay_alu instid0(VALU_DEP_1) | instskip(SKIP_2) | instid1(VALU_DEP_2)
	v_and_b32_e32 v6, 0x7fffffff, v5
	v_mov_b32_e32 v4, 0x80
	s_mov_b32 s2, exec_lo
	v_cmpx_gt_u32_e32 0x47800000, v6
	s_cbranch_execz .LBB409_15
; %bb.10:                               ;   in Loop: Header=BB409_5 Depth=1
	v_cmp_lt_u32_e32 vcc_lo, 0x37ffffff, v6
	s_mov_b32 s18, 0
                                        ; implicit-def: $vgpr6
	s_and_saveexec_b32 s19, vcc_lo
	s_delay_alu instid0(SALU_CYCLE_1)
	s_xor_b32 s19, exec_lo, s19
	s_cbranch_execnz .LBB409_59
; %bb.11:                               ;   in Loop: Header=BB409_5 Depth=1
	s_or_saveexec_b32 s19, s19
                                        ; implicit-def: $sgpr20
	s_delay_alu instid0(SALU_CYCLE_1)
	s_xor_b32 exec_lo, exec_lo, s19
	s_cbranch_execnz .LBB409_60
.LBB409_12:                             ;   in Loop: Header=BB409_5 Depth=1
	s_or_b32 exec_lo, exec_lo, s19
	v_mov_b32_e32 v4, s20
	s_and_saveexec_b32 s19, s18
.LBB409_13:                             ;   in Loop: Header=BB409_5 Depth=1
	v_lshrrev_b32_e32 v4, 24, v5
	s_delay_alu instid0(VALU_DEP_1)
	v_and_or_b32 v4, 0x80, v4, v6
.LBB409_14:                             ;   in Loop: Header=BB409_5 Depth=1
	s_or_b32 exec_lo, exec_lo, s19
.LBB409_15:                             ;   in Loop: Header=BB409_5 Depth=1
	s_delay_alu instid0(SALU_CYCLE_1) | instskip(SKIP_3) | instid1(VALU_DEP_1)
	s_or_b32 exec_lo, exec_lo, s2
	v_lshrrev_b32_e32 v5, 8, v3
	s_mov_b32 s2, 0
	s_mov_b32 s19, exec_lo
                                        ; implicit-def: $sgpr18
	v_and_b32_e32 v7, 0xff, v5
	s_delay_alu instid0(VALU_DEP_1)
	v_cmpx_lt_i16_e32 0x7f, v7
	s_xor_b32 s19, exec_lo, s19
	s_cbranch_execnz .LBB409_47
; %bb.16:                               ;   in Loop: Header=BB409_5 Depth=1
	s_or_saveexec_b32 s19, s19
	v_mov_b32_e32 v6, s18
	s_xor_b32 exec_lo, exec_lo, s19
	s_cbranch_execnz .LBB409_50
.LBB409_17:                             ;   in Loop: Header=BB409_5 Depth=1
	s_or_b32 exec_lo, exec_lo, s19
	s_and_saveexec_b32 s18, s2
	s_cbranch_execz .LBB409_19
.LBB409_18:                             ;   in Loop: Header=BB409_5 Depth=1
	v_bfe_u32 v6, v3, 8, 3
	v_bfe_u32 v9, v3, 11, 4
	s_delay_alu instid0(VALU_DEP_2) | instskip(NEXT) | instid1(VALU_DEP_2)
	v_clz_i32_u32_e32 v7, v6
	v_cmp_eq_u32_e32 vcc_lo, 0, v9
	s_delay_alu instid0(VALU_DEP_2) | instskip(NEXT) | instid1(VALU_DEP_1)
	v_min_u32_e32 v7, 32, v7
	v_subrev_nc_u32_e32 v8, 28, v7
	v_sub_nc_u32_e32 v7, 29, v7
	s_delay_alu instid0(VALU_DEP_1) | instskip(NEXT) | instid1(VALU_DEP_1)
	v_dual_cndmask_b32 v7, v9, v7 :: v_dual_lshlrev_b32 v8, v8, v5
	v_and_b32_e32 v8, 7, v8
	v_lshlrev_b32_e32 v5, 24, v5
	s_delay_alu instid0(VALU_DEP_3) | instskip(NEXT) | instid1(VALU_DEP_2)
	v_lshl_add_u32 v7, v7, 23, 0x3b800000
	v_dual_cndmask_b32 v6, v6, v8 :: v_dual_and_b32 v5, 0x80000000, v5
	s_delay_alu instid0(VALU_DEP_1) | instskip(NEXT) | instid1(VALU_DEP_1)
	v_lshlrev_b32_e32 v6, 20, v6
	v_or3_b32 v6, v5, v7, v6
.LBB409_19:                             ;   in Loop: Header=BB409_5 Depth=1
	s_or_b32 exec_lo, exec_lo, s18
	s_delay_alu instid0(VALU_DEP_1) | instskip(SKIP_2) | instid1(VALU_DEP_2)
	v_and_b32_e32 v7, 0x7fffffff, v6
	v_mov_b32_e32 v5, 0x80
	s_mov_b32 s2, exec_lo
	v_cmpx_gt_u32_e32 0x47800000, v7
	s_cbranch_execz .LBB409_25
; %bb.20:                               ;   in Loop: Header=BB409_5 Depth=1
	v_cmp_lt_u32_e32 vcc_lo, 0x37ffffff, v7
	s_mov_b32 s18, 0
                                        ; implicit-def: $vgpr7
	s_and_saveexec_b32 s19, vcc_lo
	s_delay_alu instid0(SALU_CYCLE_1)
	s_xor_b32 s19, exec_lo, s19
	s_cbranch_execnz .LBB409_61
; %bb.21:                               ;   in Loop: Header=BB409_5 Depth=1
	s_or_saveexec_b32 s19, s19
                                        ; implicit-def: $sgpr20
	s_delay_alu instid0(SALU_CYCLE_1)
	s_xor_b32 exec_lo, exec_lo, s19
	s_cbranch_execnz .LBB409_62
.LBB409_22:                             ;   in Loop: Header=BB409_5 Depth=1
	s_or_b32 exec_lo, exec_lo, s19
	v_mov_b32_e32 v5, s20
	s_and_saveexec_b32 s19, s18
.LBB409_23:                             ;   in Loop: Header=BB409_5 Depth=1
	v_lshrrev_b32_e32 v5, 24, v6
	s_delay_alu instid0(VALU_DEP_1)
	v_and_or_b32 v5, 0x80, v5, v7
.LBB409_24:                             ;   in Loop: Header=BB409_5 Depth=1
	s_or_b32 exec_lo, exec_lo, s19
.LBB409_25:                             ;   in Loop: Header=BB409_5 Depth=1
	s_delay_alu instid0(SALU_CYCLE_1) | instskip(SKIP_3) | instid1(VALU_DEP_1)
	s_or_b32 exec_lo, exec_lo, s2
	v_lshrrev_b32_e32 v6, 16, v3
	s_mov_b32 s2, 0
	s_mov_b32 s19, exec_lo
                                        ; implicit-def: $sgpr18
	v_and_b32_e32 v8, 0xff, v6
	s_delay_alu instid0(VALU_DEP_1)
	v_cmpx_lt_i16_e32 0x7f, v8
	s_xor_b32 s19, exec_lo, s19
	s_cbranch_execnz .LBB409_51
; %bb.26:                               ;   in Loop: Header=BB409_5 Depth=1
	s_or_saveexec_b32 s19, s19
	v_mov_b32_e32 v7, s18
	s_xor_b32 exec_lo, exec_lo, s19
	s_cbranch_execnz .LBB409_54
.LBB409_27:                             ;   in Loop: Header=BB409_5 Depth=1
	s_or_b32 exec_lo, exec_lo, s19
	s_and_saveexec_b32 s18, s2
	s_cbranch_execz .LBB409_29
.LBB409_28:                             ;   in Loop: Header=BB409_5 Depth=1
	v_bfe_u32 v7, v3, 16, 3
	v_bfe_u32 v10, v3, 19, 4
	s_delay_alu instid0(VALU_DEP_2) | instskip(NEXT) | instid1(VALU_DEP_2)
	v_clz_i32_u32_e32 v8, v7
	v_cmp_eq_u32_e32 vcc_lo, 0, v10
	s_delay_alu instid0(VALU_DEP_2) | instskip(NEXT) | instid1(VALU_DEP_1)
	v_min_u32_e32 v8, 32, v8
	v_subrev_nc_u32_e32 v9, 28, v8
	v_sub_nc_u32_e32 v8, 29, v8
	s_delay_alu instid0(VALU_DEP_1) | instskip(NEXT) | instid1(VALU_DEP_1)
	v_dual_cndmask_b32 v8, v10, v8 :: v_dual_lshlrev_b32 v9, v9, v6
	v_and_b32_e32 v9, 7, v9
	v_lshlrev_b32_e32 v6, 24, v6
	s_delay_alu instid0(VALU_DEP_3) | instskip(NEXT) | instid1(VALU_DEP_2)
	v_lshl_add_u32 v8, v8, 23, 0x3b800000
	v_dual_cndmask_b32 v7, v7, v9 :: v_dual_and_b32 v6, 0x80000000, v6
	s_delay_alu instid0(VALU_DEP_1) | instskip(NEXT) | instid1(VALU_DEP_1)
	v_lshlrev_b32_e32 v7, 20, v7
	v_or3_b32 v7, v6, v8, v7
.LBB409_29:                             ;   in Loop: Header=BB409_5 Depth=1
	s_or_b32 exec_lo, exec_lo, s18
	s_delay_alu instid0(VALU_DEP_1) | instskip(SKIP_2) | instid1(VALU_DEP_2)
	v_and_b32_e32 v8, 0x7fffffff, v7
	v_mov_b32_e32 v6, 0x80
	s_mov_b32 s2, exec_lo
	v_cmpx_gt_u32_e32 0x47800000, v8
	s_cbranch_execz .LBB409_35
; %bb.30:                               ;   in Loop: Header=BB409_5 Depth=1
	v_cmp_lt_u32_e32 vcc_lo, 0x37ffffff, v8
	s_mov_b32 s18, 0
                                        ; implicit-def: $vgpr8
	s_and_saveexec_b32 s19, vcc_lo
	s_delay_alu instid0(SALU_CYCLE_1)
	s_xor_b32 s19, exec_lo, s19
	s_cbranch_execnz .LBB409_63
; %bb.31:                               ;   in Loop: Header=BB409_5 Depth=1
	s_or_saveexec_b32 s19, s19
                                        ; implicit-def: $sgpr20
	s_delay_alu instid0(SALU_CYCLE_1)
	s_xor_b32 exec_lo, exec_lo, s19
	s_cbranch_execnz .LBB409_64
.LBB409_32:                             ;   in Loop: Header=BB409_5 Depth=1
	s_or_b32 exec_lo, exec_lo, s19
	v_mov_b32_e32 v6, s20
	s_and_saveexec_b32 s19, s18
.LBB409_33:                             ;   in Loop: Header=BB409_5 Depth=1
	v_lshrrev_b32_e32 v6, 24, v7
	s_delay_alu instid0(VALU_DEP_1)
	v_and_or_b32 v6, 0x80, v6, v8
.LBB409_34:                             ;   in Loop: Header=BB409_5 Depth=1
	s_or_b32 exec_lo, exec_lo, s19
.LBB409_35:                             ;   in Loop: Header=BB409_5 Depth=1
	s_delay_alu instid0(SALU_CYCLE_1) | instskip(SKIP_3) | instid1(VALU_DEP_1)
	s_or_b32 exec_lo, exec_lo, s2
	v_lshrrev_b32_e32 v8, 24, v3
	s_mov_b32 s2, 0
	s_mov_b32 s19, exec_lo
                                        ; implicit-def: $sgpr18
	v_cmpx_lt_i16_e32 0x7f, v8
	s_xor_b32 s19, exec_lo, s19
	s_cbranch_execnz .LBB409_55
; %bb.36:                               ;   in Loop: Header=BB409_5 Depth=1
	s_or_saveexec_b32 s19, s19
	v_mov_b32_e32 v7, s18
	s_xor_b32 exec_lo, exec_lo, s19
	s_cbranch_execnz .LBB409_58
.LBB409_37:                             ;   in Loop: Header=BB409_5 Depth=1
	s_or_b32 exec_lo, exec_lo, s19
	s_and_saveexec_b32 s18, s2
	s_cbranch_execz .LBB409_39
.LBB409_38:                             ;   in Loop: Header=BB409_5 Depth=1
	v_bfe_u32 v7, v3, 24, 3
	s_delay_alu instid0(VALU_DEP_1) | instskip(NEXT) | instid1(VALU_DEP_1)
	v_clz_i32_u32_e32 v9, v7
	v_min_u32_e32 v9, 32, v9
	s_delay_alu instid0(VALU_DEP_1) | instskip(SKIP_1) | instid1(VALU_DEP_2)
	v_subrev_nc_u32_e32 v10, 28, v9
	v_sub_nc_u32_e32 v9, 29, v9
	v_lshlrev_b32_e32 v8, v10, v8
	v_bfe_u32 v10, v3, 27, 4
	v_and_b32_e32 v3, 0x80000000, v3
	s_delay_alu instid0(VALU_DEP_2) | instskip(NEXT) | instid1(VALU_DEP_4)
	v_cmp_eq_u32_e32 vcc_lo, 0, v10
	v_dual_cndmask_b32 v9, v10, v9 :: v_dual_and_b32 v8, 7, v8
	s_delay_alu instid0(VALU_DEP_1) | instskip(NEXT) | instid1(VALU_DEP_2)
	v_cndmask_b32_e32 v7, v7, v8, vcc_lo
	v_lshl_add_u32 v8, v9, 23, 0x3b800000
	s_delay_alu instid0(VALU_DEP_2) | instskip(NEXT) | instid1(VALU_DEP_1)
	v_lshlrev_b32_e32 v7, 20, v7
	v_or3_b32 v7, v3, v8, v7
.LBB409_39:                             ;   in Loop: Header=BB409_5 Depth=1
	s_or_b32 exec_lo, exec_lo, s18
	s_delay_alu instid0(VALU_DEP_1) | instskip(SKIP_2) | instid1(VALU_DEP_2)
	v_and_b32_e32 v3, 0x7fffffff, v7
	v_mov_b32_e32 v8, 0x80
	s_mov_b32 s2, exec_lo
	v_cmpx_gt_u32_e32 0x47800000, v3
	s_cbranch_execz .LBB409_4
; %bb.40:                               ;   in Loop: Header=BB409_5 Depth=1
	v_cmp_lt_u32_e32 vcc_lo, 0x37ffffff, v3
	s_mov_b32 s18, 0
                                        ; implicit-def: $vgpr3
	s_and_saveexec_b32 s19, vcc_lo
	s_delay_alu instid0(SALU_CYCLE_1)
	s_xor_b32 s19, exec_lo, s19
	s_cbranch_execnz .LBB409_65
; %bb.41:                               ;   in Loop: Header=BB409_5 Depth=1
	s_or_saveexec_b32 s19, s19
                                        ; implicit-def: $sgpr20
	s_delay_alu instid0(SALU_CYCLE_1)
	s_xor_b32 exec_lo, exec_lo, s19
	s_cbranch_execnz .LBB409_66
.LBB409_42:                             ;   in Loop: Header=BB409_5 Depth=1
	s_or_b32 exec_lo, exec_lo, s19
	v_mov_b32_e32 v8, s20
	s_and_saveexec_b32 s19, s18
	s_cbranch_execz .LBB409_3
	s_branch .LBB409_67
.LBB409_43:                             ;   in Loop: Header=BB409_5 Depth=1
	s_mov_b32 s2, -1
	s_mov_b32 s20, exec_lo
                                        ; implicit-def: $sgpr18
	v_cmpx_eq_u16_e32 0x80, v4
; %bb.44:                               ;   in Loop: Header=BB409_5 Depth=1
	s_mov_b32 s18, 0x7f800001
	s_xor_b32 s2, exec_lo, -1
; %bb.45:                               ;   in Loop: Header=BB409_5 Depth=1
	s_or_b32 exec_lo, exec_lo, s20
	s_delay_alu instid0(SALU_CYCLE_1)
	s_and_b32 s2, s2, exec_lo
                                        ; implicit-def: $vgpr4
	s_or_saveexec_b32 s19, s19
	v_mov_b32_e32 v5, s18
	s_xor_b32 exec_lo, exec_lo, s19
	s_cbranch_execz .LBB409_7
.LBB409_46:                             ;   in Loop: Header=BB409_5 Depth=1
	v_cmp_ne_u16_e32 vcc_lo, 0, v4
	v_mov_b32_e32 v5, 0
	s_and_not1_b32 s2, s2, exec_lo
	s_and_b32 s18, vcc_lo, exec_lo
	s_delay_alu instid0(SALU_CYCLE_1)
	s_or_b32 s2, s2, s18
	s_or_b32 exec_lo, exec_lo, s19
	s_and_saveexec_b32 s18, s2
	s_cbranch_execnz .LBB409_8
	s_branch .LBB409_9
.LBB409_47:                             ;   in Loop: Header=BB409_5 Depth=1
	s_mov_b32 s2, -1
	s_mov_b32 s20, exec_lo
                                        ; implicit-def: $sgpr18
	v_cmpx_eq_u16_e32 0x80, v7
; %bb.48:                               ;   in Loop: Header=BB409_5 Depth=1
	s_mov_b32 s18, 0x7f800001
	s_xor_b32 s2, exec_lo, -1
; %bb.49:                               ;   in Loop: Header=BB409_5 Depth=1
	s_or_b32 exec_lo, exec_lo, s20
	s_delay_alu instid0(SALU_CYCLE_1)
	s_and_b32 s2, s2, exec_lo
                                        ; implicit-def: $vgpr7
	s_or_saveexec_b32 s19, s19
	v_mov_b32_e32 v6, s18
	s_xor_b32 exec_lo, exec_lo, s19
	s_cbranch_execz .LBB409_17
.LBB409_50:                             ;   in Loop: Header=BB409_5 Depth=1
	v_cmp_ne_u16_e32 vcc_lo, 0, v7
	v_mov_b32_e32 v6, 0
	s_and_not1_b32 s2, s2, exec_lo
	s_and_b32 s18, vcc_lo, exec_lo
	s_delay_alu instid0(SALU_CYCLE_1)
	s_or_b32 s2, s2, s18
	s_or_b32 exec_lo, exec_lo, s19
	s_and_saveexec_b32 s18, s2
	s_cbranch_execnz .LBB409_18
	s_branch .LBB409_19
.LBB409_51:                             ;   in Loop: Header=BB409_5 Depth=1
	s_mov_b32 s2, -1
	s_mov_b32 s20, exec_lo
                                        ; implicit-def: $sgpr18
	v_cmpx_eq_u16_e32 0x80, v8
; %bb.52:                               ;   in Loop: Header=BB409_5 Depth=1
	s_mov_b32 s18, 0x7f800001
	s_xor_b32 s2, exec_lo, -1
; %bb.53:                               ;   in Loop: Header=BB409_5 Depth=1
	s_or_b32 exec_lo, exec_lo, s20
	s_delay_alu instid0(SALU_CYCLE_1)
	s_and_b32 s2, s2, exec_lo
                                        ; implicit-def: $vgpr8
	s_or_saveexec_b32 s19, s19
	v_mov_b32_e32 v7, s18
	s_xor_b32 exec_lo, exec_lo, s19
	s_cbranch_execz .LBB409_27
.LBB409_54:                             ;   in Loop: Header=BB409_5 Depth=1
	v_cmp_ne_u16_e32 vcc_lo, 0, v8
	v_mov_b32_e32 v7, 0
	s_and_not1_b32 s2, s2, exec_lo
	s_and_b32 s18, vcc_lo, exec_lo
	s_delay_alu instid0(SALU_CYCLE_1)
	s_or_b32 s2, s2, s18
	s_or_b32 exec_lo, exec_lo, s19
	s_and_saveexec_b32 s18, s2
	s_cbranch_execnz .LBB409_28
	s_branch .LBB409_29
.LBB409_55:                             ;   in Loop: Header=BB409_5 Depth=1
	s_mov_b32 s2, -1
	s_mov_b32 s20, exec_lo
                                        ; implicit-def: $sgpr18
	v_cmpx_eq_u16_e32 0x80, v8
; %bb.56:                               ;   in Loop: Header=BB409_5 Depth=1
	s_mov_b32 s18, 0x7f800001
	s_xor_b32 s2, exec_lo, -1
; %bb.57:                               ;   in Loop: Header=BB409_5 Depth=1
	s_or_b32 exec_lo, exec_lo, s20
	s_delay_alu instid0(SALU_CYCLE_1)
	s_and_b32 s2, s2, exec_lo
	s_or_saveexec_b32 s19, s19
	v_mov_b32_e32 v7, s18
	s_xor_b32 exec_lo, exec_lo, s19
	s_cbranch_execz .LBB409_37
.LBB409_58:                             ;   in Loop: Header=BB409_5 Depth=1
	v_cmp_ne_u16_e32 vcc_lo, 0, v8
	v_mov_b32_e32 v7, 0
	s_and_not1_b32 s2, s2, exec_lo
	s_and_b32 s18, vcc_lo, exec_lo
	s_delay_alu instid0(SALU_CYCLE_1)
	s_or_b32 s2, s2, s18
	s_or_b32 exec_lo, exec_lo, s19
	s_and_saveexec_b32 s18, s2
	s_cbranch_execnz .LBB409_38
	s_branch .LBB409_39
.LBB409_59:                             ;   in Loop: Header=BB409_5 Depth=1
	v_bfe_u32 v4, v5, 21, 1
	s_mov_b32 s18, exec_lo
	s_delay_alu instid0(VALU_DEP_1) | instskip(NEXT) | instid1(VALU_DEP_1)
	v_add3_u32 v4, v5, v4, 0x88fffff
	v_lshrrev_b32_e32 v6, 21, v4
	s_or_saveexec_b32 s19, s19
                                        ; implicit-def: $sgpr20
	s_delay_alu instid0(SALU_CYCLE_1)
	s_xor_b32 exec_lo, exec_lo, s19
	s_cbranch_execz .LBB409_12
.LBB409_60:                             ;   in Loop: Header=BB409_5 Depth=1
	v_add_f32_e64 v4, 0x42800000, |v5|
	s_and_not1_b32 s18, s18, exec_lo
	s_mov_b32 s20, 0
	s_delay_alu instid0(VALU_DEP_1) | instskip(NEXT) | instid1(VALU_DEP_1)
	v_and_b32_e32 v6, 0xff, v4
	v_cmp_ne_u32_e32 vcc_lo, 0, v6
	s_and_b32 s21, vcc_lo, exec_lo
	s_delay_alu instid0(SALU_CYCLE_1)
	s_or_b32 s18, s18, s21
	s_or_b32 exec_lo, exec_lo, s19
	v_mov_b32_e32 v4, s20
	s_and_saveexec_b32 s19, s18
	s_cbranch_execnz .LBB409_13
	s_branch .LBB409_14
.LBB409_61:                             ;   in Loop: Header=BB409_5 Depth=1
	v_bfe_u32 v5, v6, 21, 1
	s_mov_b32 s18, exec_lo
	s_delay_alu instid0(VALU_DEP_1) | instskip(NEXT) | instid1(VALU_DEP_1)
	v_add3_u32 v5, v6, v5, 0x88fffff
	v_lshrrev_b32_e32 v7, 21, v5
	s_or_saveexec_b32 s19, s19
                                        ; implicit-def: $sgpr20
	s_delay_alu instid0(SALU_CYCLE_1)
	s_xor_b32 exec_lo, exec_lo, s19
	s_cbranch_execz .LBB409_22
.LBB409_62:                             ;   in Loop: Header=BB409_5 Depth=1
	v_add_f32_e64 v5, 0x42800000, |v6|
	s_and_not1_b32 s18, s18, exec_lo
	s_mov_b32 s20, 0
	s_delay_alu instid0(VALU_DEP_1) | instskip(NEXT) | instid1(VALU_DEP_1)
	v_and_b32_e32 v7, 0xff, v5
	v_cmp_ne_u32_e32 vcc_lo, 0, v7
	s_and_b32 s21, vcc_lo, exec_lo
	s_delay_alu instid0(SALU_CYCLE_1)
	s_or_b32 s18, s18, s21
	s_or_b32 exec_lo, exec_lo, s19
	v_mov_b32_e32 v5, s20
	s_and_saveexec_b32 s19, s18
	s_cbranch_execnz .LBB409_23
	s_branch .LBB409_24
.LBB409_63:                             ;   in Loop: Header=BB409_5 Depth=1
	v_bfe_u32 v6, v7, 21, 1
	s_mov_b32 s18, exec_lo
	s_delay_alu instid0(VALU_DEP_1) | instskip(NEXT) | instid1(VALU_DEP_1)
	v_add3_u32 v6, v7, v6, 0x88fffff
	v_lshrrev_b32_e32 v8, 21, v6
	s_or_saveexec_b32 s19, s19
                                        ; implicit-def: $sgpr20
	s_delay_alu instid0(SALU_CYCLE_1)
	s_xor_b32 exec_lo, exec_lo, s19
	s_cbranch_execz .LBB409_32
.LBB409_64:                             ;   in Loop: Header=BB409_5 Depth=1
	v_add_f32_e64 v6, 0x42800000, |v7|
	s_and_not1_b32 s18, s18, exec_lo
	s_mov_b32 s20, 0
	s_delay_alu instid0(VALU_DEP_1) | instskip(NEXT) | instid1(VALU_DEP_1)
	v_and_b32_e32 v8, 0xff, v6
	v_cmp_ne_u32_e32 vcc_lo, 0, v8
	s_and_b32 s21, vcc_lo, exec_lo
	s_delay_alu instid0(SALU_CYCLE_1)
	s_or_b32 s18, s18, s21
	s_or_b32 exec_lo, exec_lo, s19
	v_mov_b32_e32 v6, s20
	s_and_saveexec_b32 s19, s18
	s_cbranch_execnz .LBB409_33
	s_branch .LBB409_34
.LBB409_65:                             ;   in Loop: Header=BB409_5 Depth=1
	v_bfe_u32 v3, v7, 21, 1
	s_mov_b32 s18, exec_lo
	s_delay_alu instid0(VALU_DEP_1) | instskip(NEXT) | instid1(VALU_DEP_1)
	v_add3_u32 v3, v7, v3, 0x88fffff
	v_lshrrev_b32_e32 v3, 21, v3
	s_or_saveexec_b32 s19, s19
                                        ; implicit-def: $sgpr20
	s_delay_alu instid0(SALU_CYCLE_1)
	s_xor_b32 exec_lo, exec_lo, s19
	s_cbranch_execz .LBB409_42
.LBB409_66:                             ;   in Loop: Header=BB409_5 Depth=1
	v_add_f32_e64 v3, 0x42800000, |v7|
	s_and_not1_b32 s18, s18, exec_lo
	s_mov_b32 s20, 0
	s_delay_alu instid0(VALU_DEP_1) | instskip(NEXT) | instid1(VALU_DEP_1)
	v_and_b32_e32 v3, 0xff, v3
	v_cmp_ne_u32_e32 vcc_lo, 0, v3
	s_and_b32 s21, vcc_lo, exec_lo
	s_delay_alu instid0(SALU_CYCLE_1)
	s_or_b32 s18, s18, s21
	s_or_b32 exec_lo, exec_lo, s19
	v_mov_b32_e32 v8, s20
	s_and_saveexec_b32 s19, s18
	s_cbranch_execz .LBB409_3
.LBB409_67:                             ;   in Loop: Header=BB409_5 Depth=1
	v_lshrrev_b32_e32 v7, 24, v7
	s_delay_alu instid0(VALU_DEP_1)
	v_and_or_b32 v8, 0x80, v7, v3
	s_branch .LBB409_3
.LBB409_68:
	s_or_b32 exec_lo, exec_lo, s15
	s_mov_b32 s2, 0
.LBB409_69:
	s_delay_alu instid0(SALU_CYCLE_1)
	s_and_not1_b32 vcc_lo, exec_lo, s2
	s_cbranch_vccnz .LBB409_153
; %bb.70:
	v_cmp_lt_i64_e64 s2, s[4:5], 1
	s_delay_alu instid0(VALU_DEP_1)
	s_and_b32 vcc_lo, exec_lo, s2
	s_cbranch_vccnz .LBB409_153
; %bb.71:
	s_load_b32 s0, s[0:1], 0xc5c
	v_add_co_u32 v1, s1, s10, v0
	s_delay_alu instid0(VALU_DEP_1) | instskip(SKIP_1) | instid1(VALU_DEP_3)
	v_add_co_ci_u32_e64 v2, null, s11, 0, s1
	v_cmp_gt_u64_e64 s1, 0x10000, s[4:5]
	v_add_co_u32 v9, vcc_lo, s6, v1
	s_delay_alu instid0(VALU_DEP_3)
	v_add_co_ci_u32_e32 v10, vcc_lo, s7, v2, vcc_lo
	v_add_co_u32 v11, vcc_lo, s8, v1
	v_add_co_ci_u32_e32 v12, vcc_lo, s9, v2, vcc_lo
                                        ; implicit-def: $vgpr31
                                        ; implicit-def: $vgpr32
                                        ; implicit-def: $vgpr33
                                        ; implicit-def: $vgpr34
	s_waitcnt lgkmcnt(0)
	s_and_b32 s0, s0, 0xffff
	s_and_b32 s1, s1, exec_lo
	s_mul_i32 s13, s0, 3
	s_cselect_b32 s3, s5, 0
	s_cselect_b32 s2, s4, 0x10000
	s_lshl_b32 s12, s0, 1
	s_lshl_b32 s1, s0, 2
	s_add_u32 s14, s10, s13
	s_addc_u32 s15, s11, 0
	v_add_co_u32 v3, s14, s14, v0
	s_delay_alu instid0(VALU_DEP_1) | instskip(SKIP_1) | instid1(VALU_DEP_2)
	v_add_co_ci_u32_e64 v4, null, s15, 0, s14
	s_add_u32 s10, s10, s12
	v_add_co_u32 v13, vcc_lo, s6, v3
	s_delay_alu instid0(VALU_DEP_2)
	v_add_co_ci_u32_e32 v14, vcc_lo, s7, v4, vcc_lo
	v_add_co_u32 v15, vcc_lo, s8, v3
	s_addc_u32 s11, s11, 0
	v_add_co_u32 v3, s10, s10, v0
	v_add_co_ci_u32_e32 v16, vcc_lo, s9, v4, vcc_lo
	v_add_co_ci_u32_e64 v4, null, s11, 0, s10
	s_delay_alu instid0(VALU_DEP_3) | instskip(SKIP_1) | instid1(VALU_DEP_3)
	v_add_co_u32 v19, vcc_lo, s6, v3
	v_add_co_u32 v17, s10, s13, v0
	v_add_co_ci_u32_e32 v20, vcc_lo, s7, v4, vcc_lo
	v_add_co_u32 v21, vcc_lo, s8, v3
	v_add_co_ci_u32_e32 v22, vcc_lo, s9, v4, vcc_lo
	v_add_co_u32 v1, vcc_lo, v1, s0
	v_add_co_ci_u32_e32 v2, vcc_lo, 0, v2, vcc_lo
	v_add_co_ci_u32_e64 v18, null, 0, 0, s10
	s_delay_alu instid0(VALU_DEP_3) | instskip(NEXT) | instid1(VALU_DEP_3)
	v_add_co_u32 v25, vcc_lo, s6, v1
	v_add_co_ci_u32_e32 v26, vcc_lo, s7, v2, vcc_lo
	v_add_co_u32 v23, s10, s12, v0
	v_add_co_u32 v27, vcc_lo, s8, v1
	v_add_co_u32 v29, s0, v0, s0
	v_add_co_ci_u32_e64 v24, null, 0, 0, s10
	v_add_co_ci_u32_e32 v28, vcc_lo, s9, v2, vcc_lo
	v_add_co_ci_u32_e64 v30, null, 0, 0, s0
	s_mov_b64 s[6:7], 0
	s_branch .LBB409_73
.LBB409_72:                             ;   in Loop: Header=BB409_73 Depth=1
	s_or_b32 exec_lo, exec_lo, s0
	s_add_u32 s6, s6, s1
	s_addc_u32 s7, s7, 0
	s_delay_alu instid0(SALU_CYCLE_1) | instskip(SKIP_1) | instid1(VALU_DEP_1)
	v_cmp_ge_i64_e64 s0, s[6:7], s[4:5]
	v_cmp_lt_u64_e64 s8, 0xffff, s[6:7]
	s_or_b32 s0, s0, s8
	s_delay_alu instid0(SALU_CYCLE_1)
	s_and_b32 vcc_lo, exec_lo, s0
	s_cbranch_vccnz .LBB409_153
.LBB409_73:                             ; =>This Inner Loop Header: Depth=1
	v_add_co_u32 v1, s0, v0, s6
	s_delay_alu instid0(VALU_DEP_1) | instskip(NEXT) | instid1(VALU_DEP_1)
	v_add_co_ci_u32_e64 v2, null, 0, s7, s0
	v_cmp_gt_i64_e32 vcc_lo, s[4:5], v[1:2]
	v_cmp_gt_u64_e64 s0, 0x10000, v[1:2]
	s_delay_alu instid0(VALU_DEP_1) | instskip(NEXT) | instid1(SALU_CYCLE_1)
	s_and_b32 s8, vcc_lo, s0
	s_and_saveexec_b32 s0, s8
	s_cbranch_execz .LBB409_75
; %bb.74:                               ;   in Loop: Header=BB409_73 Depth=1
	v_add_co_u32 v3, vcc_lo, v9, s6
	v_add_co_ci_u32_e32 v4, vcc_lo, s7, v10, vcc_lo
	global_load_u8 v34, v[3:4], off
.LBB409_75:                             ;   in Loop: Header=BB409_73 Depth=1
	s_or_b32 exec_lo, exec_lo, s0
	v_add_co_u32 v3, vcc_lo, v29, s6
	v_add_co_ci_u32_e32 v4, vcc_lo, s7, v30, vcc_lo
	s_delay_alu instid0(VALU_DEP_1) | instskip(SKIP_1) | instid1(VALU_DEP_1)
	v_cmp_gt_i64_e32 vcc_lo, s[4:5], v[3:4]
	v_cmp_gt_u64_e64 s0, 0x10000, v[3:4]
	s_and_b32 s8, vcc_lo, s0
	s_delay_alu instid0(SALU_CYCLE_1)
	s_and_saveexec_b32 s0, s8
	s_cbranch_execz .LBB409_77
; %bb.76:                               ;   in Loop: Header=BB409_73 Depth=1
	v_add_co_u32 v5, vcc_lo, v25, s6
	v_add_co_ci_u32_e32 v6, vcc_lo, s7, v26, vcc_lo
	global_load_u8 v33, v[5:6], off
.LBB409_77:                             ;   in Loop: Header=BB409_73 Depth=1
	s_or_b32 exec_lo, exec_lo, s0
	v_add_co_u32 v5, vcc_lo, v23, s6
	v_add_co_ci_u32_e32 v6, vcc_lo, s7, v24, vcc_lo
	s_delay_alu instid0(VALU_DEP_1) | instskip(SKIP_1) | instid1(VALU_DEP_1)
	v_cmp_gt_i64_e32 vcc_lo, s[4:5], v[5:6]
	v_cmp_gt_u64_e64 s0, 0x10000, v[5:6]
	s_and_b32 s8, vcc_lo, s0
	s_delay_alu instid0(SALU_CYCLE_1)
	;; [unrolled: 15-line block ×3, first 2 shown]
	s_and_saveexec_b32 s0, s8
	s_cbranch_execz .LBB409_81
; %bb.80:                               ;   in Loop: Header=BB409_73 Depth=1
	v_add_co_u32 v35, vcc_lo, v13, s6
	v_add_co_ci_u32_e32 v36, vcc_lo, s7, v14, vcc_lo
	global_load_u8 v31, v[35:36], off
.LBB409_81:                             ;   in Loop: Header=BB409_73 Depth=1
	s_or_b32 exec_lo, exec_lo, s0
	s_waitcnt vmcnt(0)
	v_and_b32_e32 v35, 0xff, v34
	s_mov_b32 s0, 0
	s_mov_b32 s9, exec_lo
                                        ; implicit-def: $sgpr8
	s_delay_alu instid0(VALU_DEP_1)
	v_cmpx_lt_i16_e32 0x7f, v35
	s_xor_b32 s9, exec_lo, s9
	s_cbranch_execnz .LBB409_125
; %bb.82:                               ;   in Loop: Header=BB409_73 Depth=1
	s_or_saveexec_b32 s9, s9
	v_mov_b32_e32 v36, s8
	s_xor_b32 exec_lo, exec_lo, s9
	s_cbranch_execnz .LBB409_128
.LBB409_83:                             ;   in Loop: Header=BB409_73 Depth=1
	s_or_b32 exec_lo, exec_lo, s9
	s_and_saveexec_b32 s8, s0
	s_cbranch_execz .LBB409_85
.LBB409_84:                             ;   in Loop: Header=BB409_73 Depth=1
	v_lshrrev_b16 v38, 3, v34
	v_lshlrev_b32_e32 v39, 24, v34
	s_delay_alu instid0(VALU_DEP_2) | instskip(NEXT) | instid1(VALU_DEP_1)
	v_and_b32_e32 v38, 15, v38
	v_cmp_eq_u32_e32 vcc_lo, 0, v38
	v_and_b32_e32 v35, 7, v34
	s_delay_alu instid0(VALU_DEP_1) | instskip(NEXT) | instid1(VALU_DEP_1)
	v_clz_i32_u32_e32 v36, v35
	v_min_u32_e32 v36, 32, v36
	s_delay_alu instid0(VALU_DEP_1) | instskip(SKIP_1) | instid1(VALU_DEP_1)
	v_subrev_nc_u32_e32 v37, 28, v36
	v_sub_nc_u32_e32 v36, 29, v36
	v_dual_cndmask_b32 v36, v38, v36 :: v_dual_lshlrev_b32 v37, v37, v34
	s_delay_alu instid0(VALU_DEP_1) | instskip(NEXT) | instid1(VALU_DEP_2)
	v_and_b32_e32 v37, 7, v37
	v_lshl_add_u32 v36, v36, 23, 0x3b800000
	s_delay_alu instid0(VALU_DEP_2) | instskip(SKIP_1) | instid1(VALU_DEP_2)
	v_cndmask_b32_e32 v35, v35, v37, vcc_lo
	v_and_b32_e32 v37, 0x80000000, v39
	v_lshlrev_b32_e32 v35, 20, v35
	s_delay_alu instid0(VALU_DEP_1)
	v_or3_b32 v36, v37, v36, v35
.LBB409_85:                             ;   in Loop: Header=BB409_73 Depth=1
	s_or_b32 exec_lo, exec_lo, s8
	s_delay_alu instid0(VALU_DEP_1) | instskip(SKIP_2) | instid1(VALU_DEP_2)
	v_and_b32_e32 v37, 0x7fffffff, v36
	v_mov_b32_e32 v35, 0x80
	s_mov_b32 s0, exec_lo
	v_cmpx_gt_u32_e32 0x47800000, v37
	s_cbranch_execz .LBB409_91
; %bb.86:                               ;   in Loop: Header=BB409_73 Depth=1
	v_cmp_lt_u32_e32 vcc_lo, 0x37ffffff, v37
	s_mov_b32 s8, 0
                                        ; implicit-def: $vgpr37
	s_and_saveexec_b32 s9, vcc_lo
	s_delay_alu instid0(SALU_CYCLE_1)
	s_xor_b32 s9, exec_lo, s9
	s_cbranch_execnz .LBB409_145
; %bb.87:                               ;   in Loop: Header=BB409_73 Depth=1
	s_or_saveexec_b32 s9, s9
                                        ; implicit-def: $sgpr10
	s_delay_alu instid0(SALU_CYCLE_1)
	s_xor_b32 exec_lo, exec_lo, s9
	s_cbranch_execnz .LBB409_146
.LBB409_88:                             ;   in Loop: Header=BB409_73 Depth=1
	s_or_b32 exec_lo, exec_lo, s9
	v_mov_b32_e32 v35, s10
	s_and_saveexec_b32 s9, s8
.LBB409_89:                             ;   in Loop: Header=BB409_73 Depth=1
	v_lshrrev_b32_e32 v35, 24, v36
	s_delay_alu instid0(VALU_DEP_1)
	v_and_or_b32 v35, 0x80, v35, v37
.LBB409_90:                             ;   in Loop: Header=BB409_73 Depth=1
	s_or_b32 exec_lo, exec_lo, s9
.LBB409_91:                             ;   in Loop: Header=BB409_73 Depth=1
	s_delay_alu instid0(SALU_CYCLE_1) | instskip(SKIP_3) | instid1(VALU_DEP_1)
	s_or_b32 exec_lo, exec_lo, s0
	v_and_b32_e32 v36, 0xff, v33
	s_mov_b32 s0, 0
	s_mov_b32 s9, exec_lo
                                        ; implicit-def: $sgpr8
	v_cmpx_lt_i16_e32 0x7f, v36
	s_xor_b32 s9, exec_lo, s9
	s_cbranch_execnz .LBB409_129
; %bb.92:                               ;   in Loop: Header=BB409_73 Depth=1
	s_or_saveexec_b32 s9, s9
	v_mov_b32_e32 v37, s8
	s_xor_b32 exec_lo, exec_lo, s9
	s_cbranch_execnz .LBB409_132
.LBB409_93:                             ;   in Loop: Header=BB409_73 Depth=1
	s_or_b32 exec_lo, exec_lo, s9
	s_and_saveexec_b32 s8, s0
	s_cbranch_execz .LBB409_95
.LBB409_94:                             ;   in Loop: Header=BB409_73 Depth=1
	v_and_b32_e32 v36, 7, v33
	v_lshrrev_b16 v39, 3, v33
	v_lshlrev_b32_e32 v40, 24, v33
	s_delay_alu instid0(VALU_DEP_3) | instskip(NEXT) | instid1(VALU_DEP_1)
	v_clz_i32_u32_e32 v37, v36
	v_min_u32_e32 v37, 32, v37
	s_delay_alu instid0(VALU_DEP_1) | instskip(SKIP_1) | instid1(VALU_DEP_2)
	v_subrev_nc_u32_e32 v38, 28, v37
	v_sub_nc_u32_e32 v37, 29, v37
	v_lshlrev_b32_e32 v38, v38, v33
	s_delay_alu instid0(VALU_DEP_1) | instskip(SKIP_1) | instid1(VALU_DEP_1)
	v_and_b32_e32 v38, 7, v38
	v_and_b32_e32 v39, 15, v39
	v_cmp_eq_u32_e32 vcc_lo, 0, v39
	s_delay_alu instid0(VALU_DEP_3) | instskip(SKIP_1) | instid1(VALU_DEP_2)
	v_dual_cndmask_b32 v36, v36, v38 :: v_dual_cndmask_b32 v37, v39, v37
	v_and_b32_e32 v38, 0x80000000, v40
	v_lshlrev_b32_e32 v36, 20, v36
	s_delay_alu instid0(VALU_DEP_3) | instskip(NEXT) | instid1(VALU_DEP_1)
	v_lshl_add_u32 v37, v37, 23, 0x3b800000
	v_or3_b32 v37, v38, v37, v36
.LBB409_95:                             ;   in Loop: Header=BB409_73 Depth=1
	s_or_b32 exec_lo, exec_lo, s8
	s_delay_alu instid0(VALU_DEP_1) | instskip(SKIP_2) | instid1(VALU_DEP_2)
	v_and_b32_e32 v38, 0x7fffffff, v37
	v_mov_b32_e32 v36, 0x80
	s_mov_b32 s0, exec_lo
	v_cmpx_gt_u32_e32 0x47800000, v38
	s_cbranch_execz .LBB409_101
; %bb.96:                               ;   in Loop: Header=BB409_73 Depth=1
	v_cmp_lt_u32_e32 vcc_lo, 0x37ffffff, v38
	s_mov_b32 s8, 0
                                        ; implicit-def: $vgpr38
	s_and_saveexec_b32 s9, vcc_lo
	s_delay_alu instid0(SALU_CYCLE_1)
	s_xor_b32 s9, exec_lo, s9
	s_cbranch_execnz .LBB409_147
; %bb.97:                               ;   in Loop: Header=BB409_73 Depth=1
	s_or_saveexec_b32 s9, s9
                                        ; implicit-def: $sgpr10
	s_delay_alu instid0(SALU_CYCLE_1)
	s_xor_b32 exec_lo, exec_lo, s9
	s_cbranch_execnz .LBB409_148
.LBB409_98:                             ;   in Loop: Header=BB409_73 Depth=1
	s_or_b32 exec_lo, exec_lo, s9
	v_mov_b32_e32 v36, s10
	s_and_saveexec_b32 s9, s8
.LBB409_99:                             ;   in Loop: Header=BB409_73 Depth=1
	v_lshrrev_b32_e32 v36, 24, v37
	s_delay_alu instid0(VALU_DEP_1)
	v_and_or_b32 v36, 0x80, v36, v38
.LBB409_100:                            ;   in Loop: Header=BB409_73 Depth=1
	s_or_b32 exec_lo, exec_lo, s9
.LBB409_101:                            ;   in Loop: Header=BB409_73 Depth=1
	s_delay_alu instid0(SALU_CYCLE_1) | instskip(SKIP_3) | instid1(VALU_DEP_1)
	s_or_b32 exec_lo, exec_lo, s0
	v_and_b32_e32 v37, 0xff, v32
	s_mov_b32 s0, 0
	s_mov_b32 s9, exec_lo
                                        ; implicit-def: $sgpr8
	v_cmpx_lt_i16_e32 0x7f, v37
	s_xor_b32 s9, exec_lo, s9
	s_cbranch_execnz .LBB409_133
; %bb.102:                              ;   in Loop: Header=BB409_73 Depth=1
	s_or_saveexec_b32 s9, s9
	v_mov_b32_e32 v38, s8
	s_xor_b32 exec_lo, exec_lo, s9
	s_cbranch_execnz .LBB409_136
.LBB409_103:                            ;   in Loop: Header=BB409_73 Depth=1
	s_or_b32 exec_lo, exec_lo, s9
	s_and_saveexec_b32 s8, s0
	s_cbranch_execz .LBB409_105
.LBB409_104:                            ;   in Loop: Header=BB409_73 Depth=1
	v_lshrrev_b16 v40, 3, v32
	v_lshlrev_b32_e32 v41, 24, v32
	s_delay_alu instid0(VALU_DEP_2) | instskip(NEXT) | instid1(VALU_DEP_1)
	v_and_b32_e32 v40, 15, v40
	v_cmp_eq_u32_e32 vcc_lo, 0, v40
	v_and_b32_e32 v37, 7, v32
	s_delay_alu instid0(VALU_DEP_1) | instskip(NEXT) | instid1(VALU_DEP_1)
	v_clz_i32_u32_e32 v38, v37
	v_min_u32_e32 v38, 32, v38
	s_delay_alu instid0(VALU_DEP_1) | instskip(SKIP_1) | instid1(VALU_DEP_1)
	v_subrev_nc_u32_e32 v39, 28, v38
	v_sub_nc_u32_e32 v38, 29, v38
	v_dual_cndmask_b32 v38, v40, v38 :: v_dual_lshlrev_b32 v39, v39, v32
	s_delay_alu instid0(VALU_DEP_1) | instskip(NEXT) | instid1(VALU_DEP_2)
	v_and_b32_e32 v39, 7, v39
	v_lshl_add_u32 v38, v38, 23, 0x3b800000
	s_delay_alu instid0(VALU_DEP_2) | instskip(SKIP_1) | instid1(VALU_DEP_2)
	v_cndmask_b32_e32 v37, v37, v39, vcc_lo
	v_and_b32_e32 v39, 0x80000000, v41
	v_lshlrev_b32_e32 v37, 20, v37
	s_delay_alu instid0(VALU_DEP_1)
	v_or3_b32 v38, v39, v38, v37
.LBB409_105:                            ;   in Loop: Header=BB409_73 Depth=1
	s_or_b32 exec_lo, exec_lo, s8
	s_delay_alu instid0(VALU_DEP_1) | instskip(SKIP_2) | instid1(VALU_DEP_2)
	v_and_b32_e32 v39, 0x7fffffff, v38
	v_mov_b32_e32 v37, 0x80
	s_mov_b32 s0, exec_lo
	v_cmpx_gt_u32_e32 0x47800000, v39
	s_cbranch_execz .LBB409_111
; %bb.106:                              ;   in Loop: Header=BB409_73 Depth=1
	v_cmp_lt_u32_e32 vcc_lo, 0x37ffffff, v39
	s_mov_b32 s8, 0
                                        ; implicit-def: $vgpr39
	s_and_saveexec_b32 s9, vcc_lo
	s_delay_alu instid0(SALU_CYCLE_1)
	s_xor_b32 s9, exec_lo, s9
	s_cbranch_execnz .LBB409_149
; %bb.107:                              ;   in Loop: Header=BB409_73 Depth=1
	s_or_saveexec_b32 s9, s9
                                        ; implicit-def: $sgpr10
	s_delay_alu instid0(SALU_CYCLE_1)
	s_xor_b32 exec_lo, exec_lo, s9
	s_cbranch_execnz .LBB409_150
.LBB409_108:                            ;   in Loop: Header=BB409_73 Depth=1
	s_or_b32 exec_lo, exec_lo, s9
	v_mov_b32_e32 v37, s10
	s_and_saveexec_b32 s9, s8
.LBB409_109:                            ;   in Loop: Header=BB409_73 Depth=1
	v_lshrrev_b32_e32 v37, 24, v38
	s_delay_alu instid0(VALU_DEP_1)
	v_and_or_b32 v37, 0x80, v37, v39
.LBB409_110:                            ;   in Loop: Header=BB409_73 Depth=1
	s_or_b32 exec_lo, exec_lo, s9
.LBB409_111:                            ;   in Loop: Header=BB409_73 Depth=1
	s_delay_alu instid0(SALU_CYCLE_1) | instskip(SKIP_3) | instid1(VALU_DEP_1)
	s_or_b32 exec_lo, exec_lo, s0
	v_and_b32_e32 v39, 0xff, v31
	s_mov_b32 s0, 0
	s_mov_b32 s9, exec_lo
                                        ; implicit-def: $sgpr8
	v_cmpx_lt_i16_e32 0x7f, v39
	s_xor_b32 s9, exec_lo, s9
	s_cbranch_execnz .LBB409_137
; %bb.112:                              ;   in Loop: Header=BB409_73 Depth=1
	s_or_saveexec_b32 s9, s9
	v_mov_b32_e32 v38, s8
	s_xor_b32 exec_lo, exec_lo, s9
	s_cbranch_execnz .LBB409_140
.LBB409_113:                            ;   in Loop: Header=BB409_73 Depth=1
	s_or_b32 exec_lo, exec_lo, s9
	s_and_saveexec_b32 s8, s0
	s_cbranch_execz .LBB409_115
.LBB409_114:                            ;   in Loop: Header=BB409_73 Depth=1
	v_and_b32_e32 v38, 7, v31
	v_lshrrev_b16 v41, 3, v31
	v_lshlrev_b32_e32 v42, 24, v31
	s_delay_alu instid0(VALU_DEP_3) | instskip(NEXT) | instid1(VALU_DEP_1)
	v_clz_i32_u32_e32 v39, v38
	v_min_u32_e32 v39, 32, v39
	s_delay_alu instid0(VALU_DEP_1) | instskip(SKIP_1) | instid1(VALU_DEP_2)
	v_subrev_nc_u32_e32 v40, 28, v39
	v_sub_nc_u32_e32 v39, 29, v39
	v_lshlrev_b32_e32 v40, v40, v31
	s_delay_alu instid0(VALU_DEP_1) | instskip(SKIP_1) | instid1(VALU_DEP_1)
	v_and_b32_e32 v40, 7, v40
	v_and_b32_e32 v41, 15, v41
	v_cmp_eq_u32_e32 vcc_lo, 0, v41
	s_delay_alu instid0(VALU_DEP_3) | instskip(SKIP_1) | instid1(VALU_DEP_2)
	v_dual_cndmask_b32 v38, v38, v40 :: v_dual_cndmask_b32 v39, v41, v39
	v_and_b32_e32 v40, 0x80000000, v42
	v_lshlrev_b32_e32 v38, 20, v38
	s_delay_alu instid0(VALU_DEP_3) | instskip(NEXT) | instid1(VALU_DEP_1)
	v_lshl_add_u32 v39, v39, 23, 0x3b800000
	v_or3_b32 v38, v40, v39, v38
.LBB409_115:                            ;   in Loop: Header=BB409_73 Depth=1
	s_or_b32 exec_lo, exec_lo, s8
	s_delay_alu instid0(VALU_DEP_1) | instskip(SKIP_2) | instid1(VALU_DEP_2)
	v_and_b32_e32 v40, 0x7fffffff, v38
	v_mov_b32_e32 v39, 0x80
	s_mov_b32 s0, exec_lo
	v_cmpx_gt_u32_e32 0x47800000, v40
	s_cbranch_execz .LBB409_121
; %bb.116:                              ;   in Loop: Header=BB409_73 Depth=1
	v_cmp_lt_u32_e32 vcc_lo, 0x37ffffff, v40
	s_mov_b32 s8, 0
                                        ; implicit-def: $vgpr40
	s_and_saveexec_b32 s9, vcc_lo
	s_delay_alu instid0(SALU_CYCLE_1)
	s_xor_b32 s9, exec_lo, s9
	s_cbranch_execnz .LBB409_151
; %bb.117:                              ;   in Loop: Header=BB409_73 Depth=1
	s_or_saveexec_b32 s9, s9
                                        ; implicit-def: $sgpr10
	s_delay_alu instid0(SALU_CYCLE_1)
	s_xor_b32 exec_lo, exec_lo, s9
	s_cbranch_execnz .LBB409_152
.LBB409_118:                            ;   in Loop: Header=BB409_73 Depth=1
	s_or_b32 exec_lo, exec_lo, s9
	v_mov_b32_e32 v39, s10
	s_and_saveexec_b32 s9, s8
.LBB409_119:                            ;   in Loop: Header=BB409_73 Depth=1
	v_lshrrev_b32_e32 v38, 24, v38
	s_delay_alu instid0(VALU_DEP_1)
	v_and_or_b32 v39, 0x80, v38, v40
.LBB409_120:                            ;   in Loop: Header=BB409_73 Depth=1
	s_or_b32 exec_lo, exec_lo, s9
.LBB409_121:                            ;   in Loop: Header=BB409_73 Depth=1
	s_delay_alu instid0(SALU_CYCLE_1) | instskip(NEXT) | instid1(SALU_CYCLE_1)
	s_or_b32 exec_lo, exec_lo, s0
	s_mov_b32 s0, exec_lo
	v_cmpx_gt_u64_e64 s[2:3], v[1:2]
	s_xor_b32 s0, exec_lo, s0
	s_cbranch_execnz .LBB409_141
; %bb.122:                              ;   in Loop: Header=BB409_73 Depth=1
	s_or_b32 exec_lo, exec_lo, s0
	s_delay_alu instid0(SALU_CYCLE_1)
	s_mov_b32 s0, exec_lo
	v_cmpx_gt_u64_e64 s[2:3], v[3:4]
	s_cbranch_execnz .LBB409_142
.LBB409_123:                            ;   in Loop: Header=BB409_73 Depth=1
	s_or_b32 exec_lo, exec_lo, s0
	s_delay_alu instid0(SALU_CYCLE_1)
	s_mov_b32 s0, exec_lo
	v_cmpx_gt_u64_e64 s[2:3], v[5:6]
	s_cbranch_execnz .LBB409_143
.LBB409_124:                            ;   in Loop: Header=BB409_73 Depth=1
	s_or_b32 exec_lo, exec_lo, s0
	s_delay_alu instid0(SALU_CYCLE_1)
	s_mov_b32 s0, exec_lo
	v_cmpx_gt_u64_e64 s[2:3], v[7:8]
	s_cbranch_execz .LBB409_72
	s_branch .LBB409_144
.LBB409_125:                            ;   in Loop: Header=BB409_73 Depth=1
	s_mov_b32 s0, -1
	s_mov_b32 s10, exec_lo
                                        ; implicit-def: $sgpr8
	v_cmpx_eq_u16_e32 0x80, v35
; %bb.126:                              ;   in Loop: Header=BB409_73 Depth=1
	s_mov_b32 s8, 0x7f800001
	s_xor_b32 s0, exec_lo, -1
; %bb.127:                              ;   in Loop: Header=BB409_73 Depth=1
	s_or_b32 exec_lo, exec_lo, s10
	s_delay_alu instid0(SALU_CYCLE_1)
	s_and_b32 s0, s0, exec_lo
                                        ; implicit-def: $vgpr35
	s_or_saveexec_b32 s9, s9
	v_mov_b32_e32 v36, s8
	s_xor_b32 exec_lo, exec_lo, s9
	s_cbranch_execz .LBB409_83
.LBB409_128:                            ;   in Loop: Header=BB409_73 Depth=1
	v_cmp_ne_u16_e32 vcc_lo, 0, v35
	v_mov_b32_e32 v36, 0
	s_and_not1_b32 s0, s0, exec_lo
	s_and_b32 s8, vcc_lo, exec_lo
	s_delay_alu instid0(SALU_CYCLE_1)
	s_or_b32 s0, s0, s8
	s_or_b32 exec_lo, exec_lo, s9
	s_and_saveexec_b32 s8, s0
	s_cbranch_execnz .LBB409_84
	s_branch .LBB409_85
.LBB409_129:                            ;   in Loop: Header=BB409_73 Depth=1
	s_mov_b32 s0, -1
	s_mov_b32 s10, exec_lo
                                        ; implicit-def: $sgpr8
	v_cmpx_eq_u16_e32 0x80, v36
; %bb.130:                              ;   in Loop: Header=BB409_73 Depth=1
	s_mov_b32 s8, 0x7f800001
	s_xor_b32 s0, exec_lo, -1
; %bb.131:                              ;   in Loop: Header=BB409_73 Depth=1
	s_or_b32 exec_lo, exec_lo, s10
	s_delay_alu instid0(SALU_CYCLE_1)
	s_and_b32 s0, s0, exec_lo
                                        ; implicit-def: $vgpr36
	s_or_saveexec_b32 s9, s9
	v_mov_b32_e32 v37, s8
	s_xor_b32 exec_lo, exec_lo, s9
	s_cbranch_execz .LBB409_93
.LBB409_132:                            ;   in Loop: Header=BB409_73 Depth=1
	v_cmp_ne_u16_e32 vcc_lo, 0, v36
	v_mov_b32_e32 v37, 0
	s_and_not1_b32 s0, s0, exec_lo
	s_and_b32 s8, vcc_lo, exec_lo
	s_delay_alu instid0(SALU_CYCLE_1)
	s_or_b32 s0, s0, s8
	s_or_b32 exec_lo, exec_lo, s9
	s_and_saveexec_b32 s8, s0
	s_cbranch_execnz .LBB409_94
	s_branch .LBB409_95
.LBB409_133:                            ;   in Loop: Header=BB409_73 Depth=1
	s_mov_b32 s0, -1
	s_mov_b32 s10, exec_lo
                                        ; implicit-def: $sgpr8
	v_cmpx_eq_u16_e32 0x80, v37
; %bb.134:                              ;   in Loop: Header=BB409_73 Depth=1
	s_mov_b32 s8, 0x7f800001
	s_xor_b32 s0, exec_lo, -1
; %bb.135:                              ;   in Loop: Header=BB409_73 Depth=1
	s_or_b32 exec_lo, exec_lo, s10
	s_delay_alu instid0(SALU_CYCLE_1)
	s_and_b32 s0, s0, exec_lo
                                        ; implicit-def: $vgpr37
	s_or_saveexec_b32 s9, s9
	v_mov_b32_e32 v38, s8
	s_xor_b32 exec_lo, exec_lo, s9
	s_cbranch_execz .LBB409_103
.LBB409_136:                            ;   in Loop: Header=BB409_73 Depth=1
	v_cmp_ne_u16_e32 vcc_lo, 0, v37
	v_mov_b32_e32 v38, 0
	s_and_not1_b32 s0, s0, exec_lo
	s_and_b32 s8, vcc_lo, exec_lo
	s_delay_alu instid0(SALU_CYCLE_1)
	s_or_b32 s0, s0, s8
	s_or_b32 exec_lo, exec_lo, s9
	s_and_saveexec_b32 s8, s0
	s_cbranch_execnz .LBB409_104
	s_branch .LBB409_105
.LBB409_137:                            ;   in Loop: Header=BB409_73 Depth=1
	s_mov_b32 s0, -1
	s_mov_b32 s10, exec_lo
                                        ; implicit-def: $sgpr8
	v_cmpx_eq_u16_e32 0x80, v39
; %bb.138:                              ;   in Loop: Header=BB409_73 Depth=1
	s_mov_b32 s8, 0x7f800001
	s_xor_b32 s0, exec_lo, -1
; %bb.139:                              ;   in Loop: Header=BB409_73 Depth=1
	s_or_b32 exec_lo, exec_lo, s10
	s_delay_alu instid0(SALU_CYCLE_1)
	s_and_b32 s0, s0, exec_lo
                                        ; implicit-def: $vgpr39
	s_or_saveexec_b32 s9, s9
	v_mov_b32_e32 v38, s8
	s_xor_b32 exec_lo, exec_lo, s9
	s_cbranch_execz .LBB409_113
.LBB409_140:                            ;   in Loop: Header=BB409_73 Depth=1
	v_cmp_ne_u16_e32 vcc_lo, 0, v39
	v_mov_b32_e32 v38, 0
	s_and_not1_b32 s0, s0, exec_lo
	s_and_b32 s8, vcc_lo, exec_lo
	s_delay_alu instid0(SALU_CYCLE_1)
	s_or_b32 s0, s0, s8
	s_or_b32 exec_lo, exec_lo, s9
	s_and_saveexec_b32 s8, s0
	s_cbranch_execnz .LBB409_114
	s_branch .LBB409_115
.LBB409_141:                            ;   in Loop: Header=BB409_73 Depth=1
	v_add_co_u32 v1, vcc_lo, v11, s6
	v_add_co_ci_u32_e32 v2, vcc_lo, s7, v12, vcc_lo
	global_store_b8 v[1:2], v35, off
	s_or_b32 exec_lo, exec_lo, s0
	s_delay_alu instid0(SALU_CYCLE_1)
	s_mov_b32 s0, exec_lo
	v_cmpx_gt_u64_e64 s[2:3], v[3:4]
	s_cbranch_execz .LBB409_123
.LBB409_142:                            ;   in Loop: Header=BB409_73 Depth=1
	v_add_co_u32 v1, vcc_lo, v27, s6
	v_add_co_ci_u32_e32 v2, vcc_lo, s7, v28, vcc_lo
	global_store_b8 v[1:2], v36, off
	s_or_b32 exec_lo, exec_lo, s0
	s_delay_alu instid0(SALU_CYCLE_1)
	s_mov_b32 s0, exec_lo
	v_cmpx_gt_u64_e64 s[2:3], v[5:6]
	s_cbranch_execz .LBB409_124
.LBB409_143:                            ;   in Loop: Header=BB409_73 Depth=1
	v_add_co_u32 v1, vcc_lo, v21, s6
	v_add_co_ci_u32_e32 v2, vcc_lo, s7, v22, vcc_lo
	global_store_b8 v[1:2], v37, off
	s_or_b32 exec_lo, exec_lo, s0
	s_delay_alu instid0(SALU_CYCLE_1)
	s_mov_b32 s0, exec_lo
	v_cmpx_gt_u64_e64 s[2:3], v[7:8]
	s_cbranch_execz .LBB409_72
.LBB409_144:                            ;   in Loop: Header=BB409_73 Depth=1
	v_add_co_u32 v1, vcc_lo, v15, s6
	v_add_co_ci_u32_e32 v2, vcc_lo, s7, v16, vcc_lo
	global_store_b8 v[1:2], v39, off
	s_branch .LBB409_72
.LBB409_145:                            ;   in Loop: Header=BB409_73 Depth=1
	v_bfe_u32 v35, v36, 21, 1
	s_mov_b32 s8, exec_lo
	s_delay_alu instid0(VALU_DEP_1) | instskip(NEXT) | instid1(VALU_DEP_1)
	v_add3_u32 v35, v36, v35, 0x88fffff
	v_lshrrev_b32_e32 v37, 21, v35
	s_or_saveexec_b32 s9, s9
                                        ; implicit-def: $sgpr10
	s_delay_alu instid0(SALU_CYCLE_1)
	s_xor_b32 exec_lo, exec_lo, s9
	s_cbranch_execz .LBB409_88
.LBB409_146:                            ;   in Loop: Header=BB409_73 Depth=1
	v_add_f32_e64 v35, 0x42800000, |v36|
	s_and_not1_b32 s8, s8, exec_lo
	s_mov_b32 s10, 0
	s_delay_alu instid0(VALU_DEP_1) | instskip(NEXT) | instid1(VALU_DEP_1)
	v_and_b32_e32 v37, 0xff, v35
	v_cmp_ne_u32_e32 vcc_lo, 0, v37
	s_and_b32 s11, vcc_lo, exec_lo
	s_delay_alu instid0(SALU_CYCLE_1)
	s_or_b32 s8, s8, s11
	s_or_b32 exec_lo, exec_lo, s9
	v_mov_b32_e32 v35, s10
	s_and_saveexec_b32 s9, s8
	s_cbranch_execnz .LBB409_89
	s_branch .LBB409_90
.LBB409_147:                            ;   in Loop: Header=BB409_73 Depth=1
	v_bfe_u32 v36, v37, 21, 1
	s_mov_b32 s8, exec_lo
	s_delay_alu instid0(VALU_DEP_1) | instskip(NEXT) | instid1(VALU_DEP_1)
	v_add3_u32 v36, v37, v36, 0x88fffff
	v_lshrrev_b32_e32 v38, 21, v36
	s_or_saveexec_b32 s9, s9
                                        ; implicit-def: $sgpr10
	s_delay_alu instid0(SALU_CYCLE_1)
	s_xor_b32 exec_lo, exec_lo, s9
	s_cbranch_execz .LBB409_98
.LBB409_148:                            ;   in Loop: Header=BB409_73 Depth=1
	v_add_f32_e64 v36, 0x42800000, |v37|
	s_and_not1_b32 s8, s8, exec_lo
	s_mov_b32 s10, 0
	s_delay_alu instid0(VALU_DEP_1) | instskip(NEXT) | instid1(VALU_DEP_1)
	v_and_b32_e32 v38, 0xff, v36
	v_cmp_ne_u32_e32 vcc_lo, 0, v38
	s_and_b32 s11, vcc_lo, exec_lo
	s_delay_alu instid0(SALU_CYCLE_1)
	s_or_b32 s8, s8, s11
	s_or_b32 exec_lo, exec_lo, s9
	v_mov_b32_e32 v36, s10
	s_and_saveexec_b32 s9, s8
	s_cbranch_execnz .LBB409_99
	s_branch .LBB409_100
.LBB409_149:                            ;   in Loop: Header=BB409_73 Depth=1
	v_bfe_u32 v37, v38, 21, 1
	s_mov_b32 s8, exec_lo
	s_delay_alu instid0(VALU_DEP_1) | instskip(NEXT) | instid1(VALU_DEP_1)
	v_add3_u32 v37, v38, v37, 0x88fffff
	v_lshrrev_b32_e32 v39, 21, v37
	s_or_saveexec_b32 s9, s9
                                        ; implicit-def: $sgpr10
	s_delay_alu instid0(SALU_CYCLE_1)
	s_xor_b32 exec_lo, exec_lo, s9
	s_cbranch_execz .LBB409_108
.LBB409_150:                            ;   in Loop: Header=BB409_73 Depth=1
	v_add_f32_e64 v37, 0x42800000, |v38|
	s_and_not1_b32 s8, s8, exec_lo
	s_mov_b32 s10, 0
	s_delay_alu instid0(VALU_DEP_1) | instskip(NEXT) | instid1(VALU_DEP_1)
	v_and_b32_e32 v39, 0xff, v37
	v_cmp_ne_u32_e32 vcc_lo, 0, v39
	s_and_b32 s11, vcc_lo, exec_lo
	s_delay_alu instid0(SALU_CYCLE_1)
	s_or_b32 s8, s8, s11
	s_or_b32 exec_lo, exec_lo, s9
	v_mov_b32_e32 v37, s10
	s_and_saveexec_b32 s9, s8
	s_cbranch_execnz .LBB409_109
	s_branch .LBB409_110
.LBB409_151:                            ;   in Loop: Header=BB409_73 Depth=1
	v_bfe_u32 v39, v38, 21, 1
	s_mov_b32 s8, exec_lo
	s_delay_alu instid0(VALU_DEP_1) | instskip(NEXT) | instid1(VALU_DEP_1)
	v_add3_u32 v39, v38, v39, 0x88fffff
	v_lshrrev_b32_e32 v40, 21, v39
	s_or_saveexec_b32 s9, s9
                                        ; implicit-def: $sgpr10
	s_delay_alu instid0(SALU_CYCLE_1)
	s_xor_b32 exec_lo, exec_lo, s9
	s_cbranch_execz .LBB409_118
.LBB409_152:                            ;   in Loop: Header=BB409_73 Depth=1
	v_add_f32_e64 v39, 0x42800000, |v38|
	s_and_not1_b32 s8, s8, exec_lo
	s_mov_b32 s10, 0
	s_delay_alu instid0(VALU_DEP_1) | instskip(NEXT) | instid1(VALU_DEP_1)
	v_and_b32_e32 v40, 0xff, v39
	v_cmp_ne_u32_e32 vcc_lo, 0, v40
	s_and_b32 s11, vcc_lo, exec_lo
	s_delay_alu instid0(SALU_CYCLE_1)
	s_or_b32 s8, s8, s11
	s_or_b32 exec_lo, exec_lo, s9
	v_mov_b32_e32 v39, s10
	s_and_saveexec_b32 s9, s8
	s_cbranch_execnz .LBB409_119
	s_branch .LBB409_120
.LBB409_153:
	s_nop 0
	s_sendmsg sendmsg(MSG_DEALLOC_VGPRS)
	s_endpgm
	.section	.rodata,"a",@progbits
	.p2align	6, 0x0
	.amdhsa_kernel _ZN2at6native12_GLOBAL__N_125multi_tensor_apply_kernelINS1_18TensorListMetadataILi2EEENS1_11CopyFunctorIN3c1015Float8_e5m2fnuzENS6_15Float8_e4m3fnuzELi2ELi1ELi1EEEJNS0_4CopyIS7_S8_EEEEEvT_T0_DpT1_
		.amdhsa_group_segment_fixed_size 0
		.amdhsa_private_segment_fixed_size 0
		.amdhsa_kernarg_size 3408
		.amdhsa_user_sgpr_count 15
		.amdhsa_user_sgpr_dispatch_ptr 0
		.amdhsa_user_sgpr_queue_ptr 0
		.amdhsa_user_sgpr_kernarg_segment_ptr 1
		.amdhsa_user_sgpr_dispatch_id 0
		.amdhsa_user_sgpr_private_segment_size 0
		.amdhsa_wavefront_size32 1
		.amdhsa_uses_dynamic_stack 0
		.amdhsa_enable_private_segment 0
		.amdhsa_system_sgpr_workgroup_id_x 1
		.amdhsa_system_sgpr_workgroup_id_y 0
		.amdhsa_system_sgpr_workgroup_id_z 0
		.amdhsa_system_sgpr_workgroup_info 0
		.amdhsa_system_vgpr_workitem_id 0
		.amdhsa_next_free_vgpr 43
		.amdhsa_next_free_sgpr 22
		.amdhsa_reserve_vcc 1
		.amdhsa_float_round_mode_32 0
		.amdhsa_float_round_mode_16_64 0
		.amdhsa_float_denorm_mode_32 3
		.amdhsa_float_denorm_mode_16_64 3
		.amdhsa_dx10_clamp 1
		.amdhsa_ieee_mode 1
		.amdhsa_fp16_overflow 0
		.amdhsa_workgroup_processor_mode 1
		.amdhsa_memory_ordered 1
		.amdhsa_forward_progress 0
		.amdhsa_shared_vgpr_count 0
		.amdhsa_exception_fp_ieee_invalid_op 0
		.amdhsa_exception_fp_denorm_src 0
		.amdhsa_exception_fp_ieee_div_zero 0
		.amdhsa_exception_fp_ieee_overflow 0
		.amdhsa_exception_fp_ieee_underflow 0
		.amdhsa_exception_fp_ieee_inexact 0
		.amdhsa_exception_int_div_zero 0
	.end_amdhsa_kernel
	.section	.text._ZN2at6native12_GLOBAL__N_125multi_tensor_apply_kernelINS1_18TensorListMetadataILi2EEENS1_11CopyFunctorIN3c1015Float8_e5m2fnuzENS6_15Float8_e4m3fnuzELi2ELi1ELi1EEEJNS0_4CopyIS7_S8_EEEEEvT_T0_DpT1_,"axG",@progbits,_ZN2at6native12_GLOBAL__N_125multi_tensor_apply_kernelINS1_18TensorListMetadataILi2EEENS1_11CopyFunctorIN3c1015Float8_e5m2fnuzENS6_15Float8_e4m3fnuzELi2ELi1ELi1EEEJNS0_4CopyIS7_S8_EEEEEvT_T0_DpT1_,comdat
.Lfunc_end409:
	.size	_ZN2at6native12_GLOBAL__N_125multi_tensor_apply_kernelINS1_18TensorListMetadataILi2EEENS1_11CopyFunctorIN3c1015Float8_e5m2fnuzENS6_15Float8_e4m3fnuzELi2ELi1ELi1EEEJNS0_4CopyIS7_S8_EEEEEvT_T0_DpT1_, .Lfunc_end409-_ZN2at6native12_GLOBAL__N_125multi_tensor_apply_kernelINS1_18TensorListMetadataILi2EEENS1_11CopyFunctorIN3c1015Float8_e5m2fnuzENS6_15Float8_e4m3fnuzELi2ELi1ELi1EEEJNS0_4CopyIS7_S8_EEEEEvT_T0_DpT1_
                                        ; -- End function
	.section	.AMDGPU.csdata,"",@progbits
; Kernel info:
; codeLenInByte = 5424
; NumSgprs: 24
; NumVgprs: 43
; ScratchSize: 0
; MemoryBound: 0
; FloatMode: 240
; IeeeMode: 1
; LDSByteSize: 0 bytes/workgroup (compile time only)
; SGPRBlocks: 2
; VGPRBlocks: 5
; NumSGPRsForWavesPerEU: 24
; NumVGPRsForWavesPerEU: 43
; Occupancy: 16
; WaveLimiterHint : 0
; COMPUTE_PGM_RSRC2:SCRATCH_EN: 0
; COMPUTE_PGM_RSRC2:USER_SGPR: 15
; COMPUTE_PGM_RSRC2:TRAP_HANDLER: 0
; COMPUTE_PGM_RSRC2:TGID_X_EN: 1
; COMPUTE_PGM_RSRC2:TGID_Y_EN: 0
; COMPUTE_PGM_RSRC2:TGID_Z_EN: 0
; COMPUTE_PGM_RSRC2:TIDIG_COMP_CNT: 0
	.section	.text._ZN2at6native12_GLOBAL__N_125multi_tensor_apply_kernelINS1_18TensorListMetadataILi2EEENS1_11CopyFunctorIN3c1015Float8_e5m2fnuzENS6_11Float8_e5m2ELi2ELi1ELi1EEEJNS0_4CopyIS7_S8_EEEEEvT_T0_DpT1_,"axG",@progbits,_ZN2at6native12_GLOBAL__N_125multi_tensor_apply_kernelINS1_18TensorListMetadataILi2EEENS1_11CopyFunctorIN3c1015Float8_e5m2fnuzENS6_11Float8_e5m2ELi2ELi1ELi1EEEJNS0_4CopyIS7_S8_EEEEEvT_T0_DpT1_,comdat
	.globl	_ZN2at6native12_GLOBAL__N_125multi_tensor_apply_kernelINS1_18TensorListMetadataILi2EEENS1_11CopyFunctorIN3c1015Float8_e5m2fnuzENS6_11Float8_e5m2ELi2ELi1ELi1EEEJNS0_4CopyIS7_S8_EEEEEvT_T0_DpT1_ ; -- Begin function _ZN2at6native12_GLOBAL__N_125multi_tensor_apply_kernelINS1_18TensorListMetadataILi2EEENS1_11CopyFunctorIN3c1015Float8_e5m2fnuzENS6_11Float8_e5m2ELi2ELi1ELi1EEEJNS0_4CopyIS7_S8_EEEEEvT_T0_DpT1_
	.p2align	8
	.type	_ZN2at6native12_GLOBAL__N_125multi_tensor_apply_kernelINS1_18TensorListMetadataILi2EEENS1_11CopyFunctorIN3c1015Float8_e5m2fnuzENS6_11Float8_e5m2ELi2ELi1ELi1EEEJNS0_4CopyIS7_S8_EEEEEvT_T0_DpT1_,@function
_ZN2at6native12_GLOBAL__N_125multi_tensor_apply_kernelINS1_18TensorListMetadataILi2EEENS1_11CopyFunctorIN3c1015Float8_e5m2fnuzENS6_11Float8_e5m2ELi2ELi1ELi1EEEJNS0_4CopyIS7_S8_EEEEEvT_T0_DpT1_: ; @_ZN2at6native12_GLOBAL__N_125multi_tensor_apply_kernelINS1_18TensorListMetadataILi2EEENS1_11CopyFunctorIN3c1015Float8_e5m2fnuzENS6_11Float8_e5m2ELi2ELi1ELi1EEEJNS0_4CopyIS7_S8_EEEEEvT_T0_DpT1_
; %bb.0:
	v_mov_b32_e32 v1, s15
	s_add_u32 s2, s0, s15
	s_mul_i32 s4, s15, 3
	s_addc_u32 s3, s1, 0
	s_mul_hi_u32 s5, s15, 3
	global_load_u8 v1, v1, s[0:1] offset:1536
	s_add_u32 s2, s2, s4
	s_addc_u32 s3, s3, s5
	s_load_b32 s2, s[2:3], 0x740
	s_waitcnt vmcnt(0)
	v_readfirstlane_b32 s4, v1
	s_delay_alu instid0(VALU_DEP_1)
	s_lshl_b32 s3, s4, 3
	s_clause 0x2
	s_load_b64 s[6:7], s[0:1], s3 offset:0x0
	s_load_b64 s[8:9], s[0:1], s3 offset:0x200
	;; [unrolled: 1-line block ×3, first 2 shown]
	s_waitcnt lgkmcnt(0)
	s_ashr_i32 s3, s2, 31
	s_delay_alu instid0(SALU_CYCLE_1) | instskip(NEXT) | instid1(SALU_CYCLE_1)
	s_lshl_b64 s[10:11], s[2:3], 16
	s_add_u32 s3, s6, s10
	s_addc_u32 s14, s7, s11
	s_add_u32 s12, s8, s10
	s_addc_u32 s13, s9, s11
	s_delay_alu instid0(SALU_CYCLE_1) | instskip(NEXT) | instid1(SALU_CYCLE_1)
	s_or_b64 s[16:17], s[4:5], s[12:13]
	s_or_b32 s2, s3, s16
	s_delay_alu instid0(SALU_CYCLE_1)
	s_and_b32 s2, s2, 3
	s_sub_u32 s4, s4, s10
	s_subb_u32 s5, s5, s11
	s_cmp_eq_u32 s2, 0
	s_mov_b32 s2, -1
	s_cbranch_scc0 .LBB410_37
; %bb.1:
	v_dual_mov_b32 v2, 0 :: v_dual_lshlrev_b32 v1, 2, v0
	s_mov_b32 s15, exec_lo
	s_delay_alu instid0(VALU_DEP_1)
	v_cmpx_gt_i64_e64 s[4:5], v[1:2]
	s_cbranch_execz .LBB410_36
; %bb.2:
	s_load_b32 s2, s[0:1], 0xc5c
	s_mov_b32 s16, 0
	s_mov_b32 s18, 0xfe00000
	s_waitcnt lgkmcnt(0)
	s_and_b32 s2, s2, 0xffff
	s_delay_alu instid0(SALU_CYCLE_1)
	s_lshl_b32 s17, s2, 2
	s_branch .LBB410_5
.LBB410_3:                              ;   in Loop: Header=BB410_5 Depth=1
	s_or_b32 exec_lo, exec_lo, s20
.LBB410_4:                              ;   in Loop: Header=BB410_5 Depth=1
	s_delay_alu instid0(SALU_CYCLE_1)
	s_or_b32 exec_lo, exec_lo, s2
	v_add_co_u32 v8, vcc_lo, s12, v1
	v_add_co_ci_u32_e32 v9, vcc_lo, s13, v2, vcc_lo
	v_add_co_u32 v1, vcc_lo, s17, v1
	v_add_co_ci_u32_e32 v2, vcc_lo, 0, v2, vcc_lo
	v_lshlrev_b32_e32 v5, 16, v7
	v_lshlrev_b32_e32 v4, 8, v4
	v_and_b32_e32 v3, 0xff, v3
	s_delay_alu instid0(VALU_DEP_4) | instskip(SKIP_3) | instid1(VALU_DEP_3)
	v_cmp_le_i64_e32 vcc_lo, s[4:5], v[1:2]
	v_cmp_lt_u64_e64 s2, 0xffff, v[1:2]
	v_perm_b32 v5, v6, v5, 0x4020c0c
	v_and_b32_e32 v4, 0xff00, v4
	s_or_b32 s2, vcc_lo, s2
	s_delay_alu instid0(VALU_DEP_1) | instskip(SKIP_1) | instid1(SALU_CYCLE_1)
	v_or3_b32 v3, v5, v4, v3
	s_and_b32 s2, exec_lo, s2
	s_or_b32 s16, s2, s16
	global_store_b32 v[8:9], v3, off
	s_and_not1_b32 exec_lo, exec_lo, s16
	s_cbranch_execz .LBB410_36
.LBB410_5:                              ; =>This Inner Loop Header: Depth=1
	v_add_co_u32 v3, vcc_lo, s3, v1
	v_add_co_ci_u32_e32 v4, vcc_lo, s14, v2, vcc_lo
	s_mov_b32 s2, exec_lo
	global_load_b32 v5, v[3:4], off
	s_waitcnt vmcnt(0)
	v_lshlrev_b32_e32 v3, 25, v5
	v_lshlrev_b16 v4, 8, v5
	s_delay_alu instid0(VALU_DEP_2) | instskip(NEXT) | instid1(VALU_DEP_2)
	v_lshrrev_b32_e32 v6, 4, v3
	v_and_or_b32 v7, 0x7f00, v4, 0.5
	v_bfe_i32 v4, v4, 0, 16
	s_delay_alu instid0(VALU_DEP_3) | instskip(NEXT) | instid1(VALU_DEP_1)
	v_or_b32_e32 v6, 0x70000000, v6
	v_dual_add_f32 v7, -0.5, v7 :: v_dual_mul_f32 v6, 0x7800000, v6
	v_cmp_gt_u32_e32 vcc_lo, 0x8000000, v3
	s_delay_alu instid0(VALU_DEP_2) | instskip(NEXT) | instid1(VALU_DEP_1)
	v_dual_mov_b32 v3, 0x80 :: v_dual_cndmask_b32 v8, v6, v7
	v_and_or_b32 v6, 0x80000000, v4, v8
	v_mov_b32_e32 v4, 0x80
	s_delay_alu instid0(VALU_DEP_2) | instskip(NEXT) | instid1(VALU_DEP_1)
	v_and_b32_e32 v7, 0x7fffffff, v6
	v_cmpx_gt_u32_e32 0x47800000, v7
	s_cbranch_execz .LBB410_11
; %bb.6:                                ;   in Loop: Header=BB410_5 Depth=1
	v_cmp_lt_u32_e32 vcc_lo, 0x37ffffff, v7
	s_mov_b32 s19, 0
                                        ; implicit-def: $vgpr7
	s_and_saveexec_b32 s20, vcc_lo
	s_delay_alu instid0(SALU_CYCLE_1)
	s_xor_b32 s20, exec_lo, s20
	s_cbranch_execnz .LBB410_27
; %bb.7:                                ;   in Loop: Header=BB410_5 Depth=1
	s_or_saveexec_b32 s20, s20
                                        ; implicit-def: $sgpr21
	s_delay_alu instid0(SALU_CYCLE_1)
	s_xor_b32 exec_lo, exec_lo, s20
	s_cbranch_execnz .LBB410_28
.LBB410_8:                              ;   in Loop: Header=BB410_5 Depth=1
	s_or_b32 exec_lo, exec_lo, s20
	v_mov_b32_e32 v3, s21
	s_and_saveexec_b32 s20, s19
.LBB410_9:                              ;   in Loop: Header=BB410_5 Depth=1
	v_lshrrev_b32_e32 v3, 24, v6
	s_delay_alu instid0(VALU_DEP_1)
	v_and_or_b32 v3, 0x80, v3, v7
.LBB410_10:                             ;   in Loop: Header=BB410_5 Depth=1
	s_or_b32 exec_lo, exec_lo, s20
.LBB410_11:                             ;   in Loop: Header=BB410_5 Depth=1
	s_delay_alu instid0(SALU_CYCLE_1) | instskip(SKIP_4) | instid1(VALU_DEP_3)
	s_or_b32 exec_lo, exec_lo, s2
	v_and_or_b32 v7, 0x7f00, v5, 0.5
	v_lshlrev_b32_e32 v6, 13, v5
	v_lshlrev_b32_e32 v8, 17, v5
	s_mov_b32 s2, exec_lo
	v_add_f32_e32 v7, -0.5, v7
	s_delay_alu instid0(VALU_DEP_3) | instskip(NEXT) | instid1(VALU_DEP_3)
	v_and_or_b32 v6, v6, s18, 0x70000000
	v_cmp_gt_u32_e32 vcc_lo, 0x8000000, v8
	s_delay_alu instid0(VALU_DEP_2) | instskip(NEXT) | instid1(VALU_DEP_1)
	v_mul_f32_e32 v6, 0x7800000, v6
	v_cndmask_b32_e32 v8, v6, v7, vcc_lo
	v_lshlrev_b32_e32 v6, 16, v5
	s_delay_alu instid0(VALU_DEP_1) | instskip(NEXT) | instid1(VALU_DEP_1)
	v_and_or_b32 v6, 0x80000000, v6, v8
	v_and_b32_e32 v7, 0x7fffffff, v6
	s_delay_alu instid0(VALU_DEP_1)
	v_cmpx_gt_u32_e32 0x47800000, v7
	s_cbranch_execz .LBB410_17
; %bb.12:                               ;   in Loop: Header=BB410_5 Depth=1
	v_cmp_lt_u32_e32 vcc_lo, 0x37ffffff, v7
	s_mov_b32 s19, 0
                                        ; implicit-def: $vgpr7
	s_and_saveexec_b32 s20, vcc_lo
	s_delay_alu instid0(SALU_CYCLE_1)
	s_xor_b32 s20, exec_lo, s20
	s_cbranch_execnz .LBB410_29
; %bb.13:                               ;   in Loop: Header=BB410_5 Depth=1
	s_or_saveexec_b32 s20, s20
                                        ; implicit-def: $sgpr21
	s_delay_alu instid0(SALU_CYCLE_1)
	s_xor_b32 exec_lo, exec_lo, s20
	s_cbranch_execnz .LBB410_30
.LBB410_14:                             ;   in Loop: Header=BB410_5 Depth=1
	s_or_b32 exec_lo, exec_lo, s20
	v_mov_b32_e32 v4, s21
	s_and_saveexec_b32 s20, s19
.LBB410_15:                             ;   in Loop: Header=BB410_5 Depth=1
	v_lshrrev_b32_e32 v4, 24, v6
	s_delay_alu instid0(VALU_DEP_1)
	v_and_or_b32 v4, 0x80, v4, v7
.LBB410_16:                             ;   in Loop: Header=BB410_5 Depth=1
	s_or_b32 exec_lo, exec_lo, s20
.LBB410_17:                             ;   in Loop: Header=BB410_5 Depth=1
	s_delay_alu instid0(SALU_CYCLE_1) | instskip(SKIP_2) | instid1(VALU_DEP_1)
	s_or_b32 exec_lo, exec_lo, s2
	v_lshrrev_b32_e32 v6, 8, v5
	s_mov_b32 s2, exec_lo
	v_and_or_b32 v8, 0x7f00, v6, 0.5
	s_delay_alu instid0(VALU_DEP_1) | instskip(NEXT) | instid1(VALU_DEP_1)
	v_dual_add_f32 v8, -0.5, v8 :: v_dual_lshlrev_b32 v7, 5, v5
	v_and_or_b32 v7, v7, s18, 0x70000000
	s_delay_alu instid0(VALU_DEP_1) | instskip(NEXT) | instid1(VALU_DEP_1)
	v_dual_mul_f32 v7, 0x7800000, v7 :: v_dual_lshlrev_b32 v6, 17, v6
	v_cmp_gt_u32_e32 vcc_lo, 0x8000000, v6
	v_dual_mov_b32 v6, 0x80 :: v_dual_lshlrev_b32 v9, 8, v5
	s_delay_alu instid0(VALU_DEP_3) | instskip(NEXT) | instid1(VALU_DEP_1)
	v_dual_cndmask_b32 v10, v7, v8 :: v_dual_mov_b32 v7, 0x80
	v_and_or_b32 v8, 0x80000000, v9, v10
	s_delay_alu instid0(VALU_DEP_1) | instskip(NEXT) | instid1(VALU_DEP_1)
	v_and_b32_e32 v9, 0x7fffffff, v8
	v_cmpx_gt_u32_e32 0x47800000, v9
	s_cbranch_execz .LBB410_23
; %bb.18:                               ;   in Loop: Header=BB410_5 Depth=1
	v_cmp_lt_u32_e32 vcc_lo, 0x37ffffff, v9
	s_mov_b32 s19, 0
                                        ; implicit-def: $vgpr9
	s_and_saveexec_b32 s20, vcc_lo
	s_delay_alu instid0(SALU_CYCLE_1)
	s_xor_b32 s20, exec_lo, s20
	s_cbranch_execnz .LBB410_31
; %bb.19:                               ;   in Loop: Header=BB410_5 Depth=1
	s_or_saveexec_b32 s20, s20
                                        ; implicit-def: $sgpr21
	s_delay_alu instid0(SALU_CYCLE_1)
	s_xor_b32 exec_lo, exec_lo, s20
	s_cbranch_execnz .LBB410_32
.LBB410_20:                             ;   in Loop: Header=BB410_5 Depth=1
	s_or_b32 exec_lo, exec_lo, s20
	v_mov_b32_e32 v7, s21
	s_and_saveexec_b32 s20, s19
.LBB410_21:                             ;   in Loop: Header=BB410_5 Depth=1
	v_lshrrev_b32_e32 v7, 24, v8
	s_delay_alu instid0(VALU_DEP_1)
	v_and_or_b32 v7, 0x80, v7, v9
.LBB410_22:                             ;   in Loop: Header=BB410_5 Depth=1
	s_or_b32 exec_lo, exec_lo, s20
.LBB410_23:                             ;   in Loop: Header=BB410_5 Depth=1
	s_delay_alu instid0(SALU_CYCLE_1) | instskip(SKIP_3) | instid1(VALU_DEP_2)
	s_or_b32 exec_lo, exec_lo, s2
	v_lshrrev_b32_e32 v8, 16, v5
	v_lshrrev_b32_e32 v9, 3, v5
	s_mov_b32 s2, exec_lo
	v_and_or_b32 v10, 0x7f00, v8, 0.5
	s_delay_alu instid0(VALU_DEP_2) | instskip(SKIP_1) | instid1(VALU_DEP_2)
	v_and_or_b32 v9, v9, s18, 0x70000000
	v_lshlrev_b32_e32 v8, 17, v8
	v_dual_add_f32 v10, -0.5, v10 :: v_dual_mul_f32 v9, 0x7800000, v9
	s_delay_alu instid0(VALU_DEP_2) | instskip(NEXT) | instid1(VALU_DEP_2)
	v_cmp_gt_u32_e32 vcc_lo, 0x8000000, v8
	v_cndmask_b32_e32 v9, v9, v10, vcc_lo
	s_delay_alu instid0(VALU_DEP_1) | instskip(NEXT) | instid1(VALU_DEP_1)
	v_and_or_b32 v5, 0x80000000, v5, v9
	v_and_b32_e32 v8, 0x7fffffff, v5
	s_delay_alu instid0(VALU_DEP_1)
	v_cmpx_gt_u32_e32 0x47800000, v8
	s_cbranch_execz .LBB410_4
; %bb.24:                               ;   in Loop: Header=BB410_5 Depth=1
	v_cmp_lt_u32_e32 vcc_lo, 0x37ffffff, v8
	s_mov_b32 s19, 0
                                        ; implicit-def: $vgpr8
	s_and_saveexec_b32 s20, vcc_lo
	s_delay_alu instid0(SALU_CYCLE_1)
	s_xor_b32 s20, exec_lo, s20
	s_cbranch_execnz .LBB410_33
; %bb.25:                               ;   in Loop: Header=BB410_5 Depth=1
	s_or_saveexec_b32 s20, s20
                                        ; implicit-def: $sgpr21
	s_delay_alu instid0(SALU_CYCLE_1)
	s_xor_b32 exec_lo, exec_lo, s20
	s_cbranch_execnz .LBB410_34
.LBB410_26:                             ;   in Loop: Header=BB410_5 Depth=1
	s_or_b32 exec_lo, exec_lo, s20
	v_mov_b32_e32 v6, s21
	s_and_saveexec_b32 s20, s19
	s_cbranch_execz .LBB410_3
	s_branch .LBB410_35
.LBB410_27:                             ;   in Loop: Header=BB410_5 Depth=1
	v_bfe_u32 v3, v8, 21, 1
	s_mov_b32 s19, exec_lo
	s_delay_alu instid0(VALU_DEP_1) | instskip(NEXT) | instid1(VALU_DEP_1)
	v_add3_u32 v3, v6, v3, 0x88fffff
	v_lshrrev_b32_e32 v7, 21, v3
	s_or_saveexec_b32 s20, s20
                                        ; implicit-def: $sgpr21
	s_delay_alu instid0(SALU_CYCLE_1)
	s_xor_b32 exec_lo, exec_lo, s20
	s_cbranch_execz .LBB410_8
.LBB410_28:                             ;   in Loop: Header=BB410_5 Depth=1
	v_add_f32_e64 v3, 0x42800000, |v6|
	s_and_not1_b32 s19, s19, exec_lo
	s_mov_b32 s21, 0
	s_delay_alu instid0(VALU_DEP_1) | instskip(NEXT) | instid1(VALU_DEP_1)
	v_and_b32_e32 v7, 0xff, v3
	v_cmp_ne_u32_e32 vcc_lo, 0, v7
	s_and_b32 s22, vcc_lo, exec_lo
	s_delay_alu instid0(SALU_CYCLE_1)
	s_or_b32 s19, s19, s22
	s_or_b32 exec_lo, exec_lo, s20
	v_mov_b32_e32 v3, s21
	s_and_saveexec_b32 s20, s19
	s_cbranch_execnz .LBB410_9
	s_branch .LBB410_10
.LBB410_29:                             ;   in Loop: Header=BB410_5 Depth=1
	v_bfe_u32 v4, v8, 21, 1
	s_mov_b32 s19, exec_lo
	s_delay_alu instid0(VALU_DEP_1) | instskip(NEXT) | instid1(VALU_DEP_1)
	v_add3_u32 v4, v6, v4, 0x88fffff
	v_lshrrev_b32_e32 v7, 21, v4
	s_or_saveexec_b32 s20, s20
                                        ; implicit-def: $sgpr21
	s_delay_alu instid0(SALU_CYCLE_1)
	s_xor_b32 exec_lo, exec_lo, s20
	s_cbranch_execz .LBB410_14
.LBB410_30:                             ;   in Loop: Header=BB410_5 Depth=1
	v_add_f32_e64 v4, 0x42800000, |v6|
	s_and_not1_b32 s19, s19, exec_lo
	s_mov_b32 s21, 0
	s_delay_alu instid0(VALU_DEP_1) | instskip(NEXT) | instid1(VALU_DEP_1)
	v_and_b32_e32 v7, 0xff, v4
	v_cmp_ne_u32_e32 vcc_lo, 0, v7
	s_and_b32 s22, vcc_lo, exec_lo
	s_delay_alu instid0(SALU_CYCLE_1)
	s_or_b32 s19, s19, s22
	s_or_b32 exec_lo, exec_lo, s20
	v_mov_b32_e32 v4, s21
	s_and_saveexec_b32 s20, s19
	s_cbranch_execnz .LBB410_15
	s_branch .LBB410_16
.LBB410_31:                             ;   in Loop: Header=BB410_5 Depth=1
	v_bfe_u32 v7, v10, 21, 1
	s_mov_b32 s19, exec_lo
	s_delay_alu instid0(VALU_DEP_1) | instskip(NEXT) | instid1(VALU_DEP_1)
	v_add3_u32 v7, v8, v7, 0x88fffff
	v_lshrrev_b32_e32 v9, 21, v7
	s_or_saveexec_b32 s20, s20
                                        ; implicit-def: $sgpr21
	s_delay_alu instid0(SALU_CYCLE_1)
	s_xor_b32 exec_lo, exec_lo, s20
	s_cbranch_execz .LBB410_20
.LBB410_32:                             ;   in Loop: Header=BB410_5 Depth=1
	v_add_f32_e64 v7, 0x42800000, |v8|
	s_and_not1_b32 s19, s19, exec_lo
	s_mov_b32 s21, 0
	s_delay_alu instid0(VALU_DEP_1) | instskip(NEXT) | instid1(VALU_DEP_1)
	v_and_b32_e32 v9, 0xff, v7
	v_cmp_ne_u32_e32 vcc_lo, 0, v9
	s_and_b32 s22, vcc_lo, exec_lo
	s_delay_alu instid0(SALU_CYCLE_1)
	s_or_b32 s19, s19, s22
	s_or_b32 exec_lo, exec_lo, s20
	v_mov_b32_e32 v7, s21
	s_and_saveexec_b32 s20, s19
	s_cbranch_execnz .LBB410_21
	s_branch .LBB410_22
.LBB410_33:                             ;   in Loop: Header=BB410_5 Depth=1
	v_bfe_u32 v6, v9, 21, 1
	s_mov_b32 s19, exec_lo
	s_delay_alu instid0(VALU_DEP_1) | instskip(NEXT) | instid1(VALU_DEP_1)
	v_add3_u32 v6, v5, v6, 0x88fffff
	v_lshrrev_b32_e32 v8, 21, v6
	s_or_saveexec_b32 s20, s20
                                        ; implicit-def: $sgpr21
	s_delay_alu instid0(SALU_CYCLE_1)
	s_xor_b32 exec_lo, exec_lo, s20
	s_cbranch_execz .LBB410_26
.LBB410_34:                             ;   in Loop: Header=BB410_5 Depth=1
	v_add_f32_e64 v6, 0x42800000, |v5|
	s_and_not1_b32 s19, s19, exec_lo
	s_mov_b32 s21, 0
	s_delay_alu instid0(VALU_DEP_1) | instskip(NEXT) | instid1(VALU_DEP_1)
	v_and_b32_e32 v8, 0xff, v6
	v_cmp_ne_u32_e32 vcc_lo, 0, v8
	s_and_b32 s22, vcc_lo, exec_lo
	s_delay_alu instid0(SALU_CYCLE_1)
	s_or_b32 s19, s19, s22
	s_or_b32 exec_lo, exec_lo, s20
	v_mov_b32_e32 v6, s21
	s_and_saveexec_b32 s20, s19
	s_cbranch_execz .LBB410_3
.LBB410_35:                             ;   in Loop: Header=BB410_5 Depth=1
	v_lshrrev_b32_e32 v5, 24, v5
	s_delay_alu instid0(VALU_DEP_1)
	v_and_or_b32 v6, 0x80, v5, v8
	s_branch .LBB410_3
.LBB410_36:
	s_or_b32 exec_lo, exec_lo, s15
	s_mov_b32 s2, 0
.LBB410_37:
	s_delay_alu instid0(SALU_CYCLE_1)
	s_and_not1_b32 vcc_lo, exec_lo, s2
	s_cbranch_vccnz .LBB410_89
; %bb.38:
	v_cmp_lt_i64_e64 s2, s[4:5], 1
	s_delay_alu instid0(VALU_DEP_1)
	s_and_b32 vcc_lo, exec_lo, s2
	s_cbranch_vccnz .LBB410_89
; %bb.39:
	s_load_b32 s0, s[0:1], 0xc5c
	v_add_co_u32 v1, s1, s10, v0
	s_delay_alu instid0(VALU_DEP_1) | instskip(SKIP_1) | instid1(VALU_DEP_3)
	v_add_co_ci_u32_e64 v2, null, s11, 0, s1
	v_cmp_gt_u64_e64 s1, 0x10000, s[4:5]
	v_add_co_u32 v9, vcc_lo, s6, v1
	s_delay_alu instid0(VALU_DEP_3)
	v_add_co_ci_u32_e32 v10, vcc_lo, s7, v2, vcc_lo
	v_add_co_u32 v11, vcc_lo, s8, v1
	v_add_co_ci_u32_e32 v12, vcc_lo, s9, v2, vcc_lo
                                        ; implicit-def: $vgpr31
                                        ; implicit-def: $vgpr32
                                        ; implicit-def: $vgpr33
                                        ; implicit-def: $vgpr34
	s_waitcnt lgkmcnt(0)
	s_and_b32 s0, s0, 0xffff
	s_and_b32 s1, s1, exec_lo
	s_mul_i32 s13, s0, 3
	s_cselect_b32 s3, s5, 0
	s_cselect_b32 s2, s4, 0x10000
	s_lshl_b32 s12, s0, 1
	s_lshl_b32 s1, s0, 2
	s_add_u32 s14, s10, s13
	s_addc_u32 s15, s11, 0
	v_add_co_u32 v3, s14, s14, v0
	s_delay_alu instid0(VALU_DEP_1) | instskip(SKIP_1) | instid1(VALU_DEP_2)
	v_add_co_ci_u32_e64 v4, null, s15, 0, s14
	s_add_u32 s10, s10, s12
	v_add_co_u32 v13, vcc_lo, s6, v3
	s_delay_alu instid0(VALU_DEP_2)
	v_add_co_ci_u32_e32 v14, vcc_lo, s7, v4, vcc_lo
	v_add_co_u32 v15, vcc_lo, s8, v3
	s_addc_u32 s11, s11, 0
	v_add_co_u32 v3, s10, s10, v0
	v_add_co_ci_u32_e32 v16, vcc_lo, s9, v4, vcc_lo
	v_add_co_ci_u32_e64 v4, null, s11, 0, s10
	s_delay_alu instid0(VALU_DEP_3) | instskip(SKIP_1) | instid1(VALU_DEP_3)
	v_add_co_u32 v19, vcc_lo, s6, v3
	v_add_co_u32 v17, s10, s13, v0
	v_add_co_ci_u32_e32 v20, vcc_lo, s7, v4, vcc_lo
	v_add_co_u32 v21, vcc_lo, s8, v3
	v_add_co_ci_u32_e32 v22, vcc_lo, s9, v4, vcc_lo
	v_add_co_u32 v1, vcc_lo, v1, s0
	v_add_co_ci_u32_e32 v2, vcc_lo, 0, v2, vcc_lo
	v_add_co_ci_u32_e64 v18, null, 0, 0, s10
	s_delay_alu instid0(VALU_DEP_3) | instskip(NEXT) | instid1(VALU_DEP_3)
	v_add_co_u32 v25, vcc_lo, s6, v1
	v_add_co_ci_u32_e32 v26, vcc_lo, s7, v2, vcc_lo
	v_add_co_u32 v23, s10, s12, v0
	v_add_co_u32 v27, vcc_lo, s8, v1
	v_add_co_u32 v29, s0, v0, s0
	v_add_co_ci_u32_e64 v24, null, 0, 0, s10
	v_add_co_ci_u32_e32 v28, vcc_lo, s9, v2, vcc_lo
	v_add_co_ci_u32_e64 v30, null, 0, 0, s0
	s_mov_b64 s[6:7], 0
	s_branch .LBB410_41
.LBB410_40:                             ;   in Loop: Header=BB410_41 Depth=1
	s_or_b32 exec_lo, exec_lo, s0
	s_add_u32 s6, s6, s1
	s_addc_u32 s7, s7, 0
	s_delay_alu instid0(SALU_CYCLE_1) | instskip(SKIP_1) | instid1(VALU_DEP_1)
	v_cmp_ge_i64_e64 s0, s[6:7], s[4:5]
	v_cmp_lt_u64_e64 s8, 0xffff, s[6:7]
	s_or_b32 s0, s0, s8
	s_delay_alu instid0(SALU_CYCLE_1)
	s_and_b32 vcc_lo, exec_lo, s0
	s_cbranch_vccnz .LBB410_89
.LBB410_41:                             ; =>This Inner Loop Header: Depth=1
	v_add_co_u32 v1, s0, v0, s6
	s_delay_alu instid0(VALU_DEP_1) | instskip(NEXT) | instid1(VALU_DEP_1)
	v_add_co_ci_u32_e64 v2, null, 0, s7, s0
	v_cmp_gt_i64_e32 vcc_lo, s[4:5], v[1:2]
	v_cmp_gt_u64_e64 s0, 0x10000, v[1:2]
	s_delay_alu instid0(VALU_DEP_1) | instskip(NEXT) | instid1(SALU_CYCLE_1)
	s_and_b32 s8, vcc_lo, s0
	s_and_saveexec_b32 s0, s8
	s_cbranch_execz .LBB410_43
; %bb.42:                               ;   in Loop: Header=BB410_41 Depth=1
	v_add_co_u32 v3, vcc_lo, v9, s6
	v_add_co_ci_u32_e32 v4, vcc_lo, s7, v10, vcc_lo
	global_load_u8 v34, v[3:4], off
.LBB410_43:                             ;   in Loop: Header=BB410_41 Depth=1
	s_or_b32 exec_lo, exec_lo, s0
	v_add_co_u32 v3, vcc_lo, v29, s6
	v_add_co_ci_u32_e32 v4, vcc_lo, s7, v30, vcc_lo
	s_delay_alu instid0(VALU_DEP_1) | instskip(SKIP_1) | instid1(VALU_DEP_1)
	v_cmp_gt_i64_e32 vcc_lo, s[4:5], v[3:4]
	v_cmp_gt_u64_e64 s0, 0x10000, v[3:4]
	s_and_b32 s8, vcc_lo, s0
	s_delay_alu instid0(SALU_CYCLE_1)
	s_and_saveexec_b32 s0, s8
	s_cbranch_execz .LBB410_45
; %bb.44:                               ;   in Loop: Header=BB410_41 Depth=1
	v_add_co_u32 v5, vcc_lo, v25, s6
	v_add_co_ci_u32_e32 v6, vcc_lo, s7, v26, vcc_lo
	global_load_u8 v33, v[5:6], off
.LBB410_45:                             ;   in Loop: Header=BB410_41 Depth=1
	s_or_b32 exec_lo, exec_lo, s0
	v_add_co_u32 v5, vcc_lo, v23, s6
	v_add_co_ci_u32_e32 v6, vcc_lo, s7, v24, vcc_lo
	s_delay_alu instid0(VALU_DEP_1) | instskip(SKIP_1) | instid1(VALU_DEP_1)
	v_cmp_gt_i64_e32 vcc_lo, s[4:5], v[5:6]
	v_cmp_gt_u64_e64 s0, 0x10000, v[5:6]
	s_and_b32 s8, vcc_lo, s0
	s_delay_alu instid0(SALU_CYCLE_1)
	;; [unrolled: 15-line block ×3, first 2 shown]
	s_and_saveexec_b32 s0, s8
	s_cbranch_execz .LBB410_49
; %bb.48:                               ;   in Loop: Header=BB410_41 Depth=1
	v_add_co_u32 v35, vcc_lo, v13, s6
	v_add_co_ci_u32_e32 v36, vcc_lo, s7, v14, vcc_lo
	global_load_u8 v31, v[35:36], off
.LBB410_49:                             ;   in Loop: Header=BB410_41 Depth=1
	s_or_b32 exec_lo, exec_lo, s0
	s_waitcnt vmcnt(0)
	v_lshlrev_b32_e32 v35, 25, v34
	v_lshlrev_b16 v36, 8, v34
	s_mov_b32 s0, exec_lo
	s_delay_alu instid0(VALU_DEP_2) | instskip(NEXT) | instid1(VALU_DEP_2)
	v_lshrrev_b32_e32 v37, 4, v35
	v_and_or_b32 v38, 0x7f00, v36, 0.5
	v_cmp_gt_u32_e32 vcc_lo, 0x8000000, v35
	v_bfe_i32 v36, v36, 0, 16
	v_mov_b32_e32 v35, 0x80
	v_or_b32_e32 v37, 0x70000000, v37
	s_delay_alu instid0(VALU_DEP_1) | instskip(NEXT) | instid1(VALU_DEP_1)
	v_dual_add_f32 v38, -0.5, v38 :: v_dual_mul_f32 v37, 0x7800000, v37
	v_cndmask_b32_e32 v39, v37, v38, vcc_lo
	s_delay_alu instid0(VALU_DEP_1) | instskip(SKIP_1) | instid1(VALU_DEP_2)
	v_and_or_b32 v37, 0x80000000, v36, v39
	v_mov_b32_e32 v36, 0x80
	v_and_b32_e32 v38, 0x7fffffff, v37
	s_delay_alu instid0(VALU_DEP_1)
	v_cmpx_gt_u32_e32 0x47800000, v38
	s_cbranch_execz .LBB410_55
; %bb.50:                               ;   in Loop: Header=BB410_41 Depth=1
	v_cmp_lt_u32_e32 vcc_lo, 0x37ffffff, v38
	s_mov_b32 s8, 0
                                        ; implicit-def: $vgpr38
	s_and_saveexec_b32 s9, vcc_lo
	s_delay_alu instid0(SALU_CYCLE_1)
	s_xor_b32 s9, exec_lo, s9
	s_cbranch_execnz .LBB410_81
; %bb.51:                               ;   in Loop: Header=BB410_41 Depth=1
	s_or_saveexec_b32 s9, s9
                                        ; implicit-def: $sgpr10
	s_delay_alu instid0(SALU_CYCLE_1)
	s_xor_b32 exec_lo, exec_lo, s9
	s_cbranch_execnz .LBB410_82
.LBB410_52:                             ;   in Loop: Header=BB410_41 Depth=1
	s_or_b32 exec_lo, exec_lo, s9
	v_mov_b32_e32 v36, s10
	s_and_saveexec_b32 s9, s8
.LBB410_53:                             ;   in Loop: Header=BB410_41 Depth=1
	v_lshrrev_b32_e32 v36, 24, v37
	s_delay_alu instid0(VALU_DEP_1)
	v_and_or_b32 v36, 0x80, v36, v38
.LBB410_54:                             ;   in Loop: Header=BB410_41 Depth=1
	s_or_b32 exec_lo, exec_lo, s9
.LBB410_55:                             ;   in Loop: Header=BB410_41 Depth=1
	s_delay_alu instid0(SALU_CYCLE_1) | instskip(SKIP_2) | instid1(VALU_DEP_1)
	s_or_b32 exec_lo, exec_lo, s0
	v_lshlrev_b16 v38, 8, v33
	s_mov_b32 s0, exec_lo
	v_and_or_b32 v40, 0x7f00, v38, 0.5
	s_delay_alu instid0(VALU_DEP_1) | instskip(NEXT) | instid1(VALU_DEP_1)
	v_dual_add_f32 v40, -0.5, v40 :: v_dual_lshlrev_b32 v37, 25, v33
	v_lshrrev_b32_e32 v39, 4, v37
	v_cmp_gt_u32_e32 vcc_lo, 0x8000000, v37
	v_bfe_i32 v37, v38, 0, 16
	s_delay_alu instid0(VALU_DEP_3) | instskip(NEXT) | instid1(VALU_DEP_1)
	v_or_b32_e32 v39, 0x70000000, v39
	v_mul_f32_e32 v39, 0x7800000, v39
	s_delay_alu instid0(VALU_DEP_1) | instskip(NEXT) | instid1(VALU_DEP_1)
	v_cndmask_b32_e32 v39, v39, v40, vcc_lo
	v_and_or_b32 v37, 0x80000000, v37, v39
	s_delay_alu instid0(VALU_DEP_1) | instskip(NEXT) | instid1(VALU_DEP_1)
	v_and_b32_e32 v38, 0x7fffffff, v37
	v_cmpx_gt_u32_e32 0x47800000, v38
	s_cbranch_execz .LBB410_61
; %bb.56:                               ;   in Loop: Header=BB410_41 Depth=1
	v_cmp_lt_u32_e32 vcc_lo, 0x37ffffff, v38
	s_mov_b32 s8, 0
                                        ; implicit-def: $vgpr38
	s_and_saveexec_b32 s9, vcc_lo
	s_delay_alu instid0(SALU_CYCLE_1)
	s_xor_b32 s9, exec_lo, s9
	s_cbranch_execnz .LBB410_83
; %bb.57:                               ;   in Loop: Header=BB410_41 Depth=1
	s_or_saveexec_b32 s9, s9
                                        ; implicit-def: $sgpr10
	s_delay_alu instid0(SALU_CYCLE_1)
	s_xor_b32 exec_lo, exec_lo, s9
	s_cbranch_execnz .LBB410_84
.LBB410_58:                             ;   in Loop: Header=BB410_41 Depth=1
	s_or_b32 exec_lo, exec_lo, s9
	v_mov_b32_e32 v35, s10
	s_and_saveexec_b32 s9, s8
.LBB410_59:                             ;   in Loop: Header=BB410_41 Depth=1
	v_lshrrev_b32_e32 v35, 24, v37
	s_delay_alu instid0(VALU_DEP_1)
	v_and_or_b32 v35, 0x80, v35, v38
.LBB410_60:                             ;   in Loop: Header=BB410_41 Depth=1
	s_or_b32 exec_lo, exec_lo, s9
.LBB410_61:                             ;   in Loop: Header=BB410_41 Depth=1
	s_delay_alu instid0(SALU_CYCLE_1) | instskip(SKIP_3) | instid1(VALU_DEP_2)
	s_or_b32 exec_lo, exec_lo, s0
	v_lshlrev_b32_e32 v37, 25, v32
	v_lshlrev_b16 v38, 8, v32
	s_mov_b32 s0, exec_lo
	v_lshrrev_b32_e32 v39, 4, v37
	s_delay_alu instid0(VALU_DEP_2) | instskip(SKIP_4) | instid1(VALU_DEP_1)
	v_and_or_b32 v40, 0x7f00, v38, 0.5
	v_cmp_gt_u32_e32 vcc_lo, 0x8000000, v37
	v_bfe_i32 v38, v38, 0, 16
	v_mov_b32_e32 v37, 0x80
	v_or_b32_e32 v39, 0x70000000, v39
	v_dual_add_f32 v40, -0.5, v40 :: v_dual_mul_f32 v39, 0x7800000, v39
	s_delay_alu instid0(VALU_DEP_1) | instskip(NEXT) | instid1(VALU_DEP_1)
	v_cndmask_b32_e32 v41, v39, v40, vcc_lo
	v_and_or_b32 v39, 0x80000000, v38, v41
	v_mov_b32_e32 v38, 0x80
	s_delay_alu instid0(VALU_DEP_2) | instskip(NEXT) | instid1(VALU_DEP_1)
	v_and_b32_e32 v40, 0x7fffffff, v39
	v_cmpx_gt_u32_e32 0x47800000, v40
	s_cbranch_execz .LBB410_67
; %bb.62:                               ;   in Loop: Header=BB410_41 Depth=1
	v_cmp_lt_u32_e32 vcc_lo, 0x37ffffff, v40
	s_mov_b32 s8, 0
                                        ; implicit-def: $vgpr40
	s_and_saveexec_b32 s9, vcc_lo
	s_delay_alu instid0(SALU_CYCLE_1)
	s_xor_b32 s9, exec_lo, s9
	s_cbranch_execnz .LBB410_85
; %bb.63:                               ;   in Loop: Header=BB410_41 Depth=1
	s_or_saveexec_b32 s9, s9
                                        ; implicit-def: $sgpr10
	s_delay_alu instid0(SALU_CYCLE_1)
	s_xor_b32 exec_lo, exec_lo, s9
	s_cbranch_execnz .LBB410_86
.LBB410_64:                             ;   in Loop: Header=BB410_41 Depth=1
	s_or_b32 exec_lo, exec_lo, s9
	v_mov_b32_e32 v38, s10
	s_and_saveexec_b32 s9, s8
.LBB410_65:                             ;   in Loop: Header=BB410_41 Depth=1
	v_lshrrev_b32_e32 v38, 24, v39
	s_delay_alu instid0(VALU_DEP_1)
	v_and_or_b32 v38, 0x80, v38, v40
.LBB410_66:                             ;   in Loop: Header=BB410_41 Depth=1
	s_or_b32 exec_lo, exec_lo, s9
.LBB410_67:                             ;   in Loop: Header=BB410_41 Depth=1
	s_delay_alu instid0(SALU_CYCLE_1) | instskip(SKIP_2) | instid1(VALU_DEP_1)
	s_or_b32 exec_lo, exec_lo, s0
	v_lshlrev_b16 v40, 8, v31
	s_mov_b32 s0, exec_lo
	v_and_or_b32 v42, 0x7f00, v40, 0.5
	s_delay_alu instid0(VALU_DEP_1) | instskip(NEXT) | instid1(VALU_DEP_1)
	v_dual_add_f32 v42, -0.5, v42 :: v_dual_lshlrev_b32 v39, 25, v31
	v_lshrrev_b32_e32 v41, 4, v39
	v_cmp_gt_u32_e32 vcc_lo, 0x8000000, v39
	v_bfe_i32 v39, v40, 0, 16
	s_delay_alu instid0(VALU_DEP_3) | instskip(NEXT) | instid1(VALU_DEP_1)
	v_or_b32_e32 v41, 0x70000000, v41
	v_mul_f32_e32 v41, 0x7800000, v41
	s_delay_alu instid0(VALU_DEP_1) | instskip(NEXT) | instid1(VALU_DEP_1)
	v_cndmask_b32_e32 v41, v41, v42, vcc_lo
	v_and_or_b32 v39, 0x80000000, v39, v41
	s_delay_alu instid0(VALU_DEP_1) | instskip(NEXT) | instid1(VALU_DEP_1)
	v_and_b32_e32 v40, 0x7fffffff, v39
	v_cmpx_gt_u32_e32 0x47800000, v40
	s_cbranch_execz .LBB410_73
; %bb.68:                               ;   in Loop: Header=BB410_41 Depth=1
	v_cmp_lt_u32_e32 vcc_lo, 0x37ffffff, v40
	s_mov_b32 s8, 0
                                        ; implicit-def: $vgpr40
	s_and_saveexec_b32 s9, vcc_lo
	s_delay_alu instid0(SALU_CYCLE_1)
	s_xor_b32 s9, exec_lo, s9
	s_cbranch_execnz .LBB410_87
; %bb.69:                               ;   in Loop: Header=BB410_41 Depth=1
	s_or_saveexec_b32 s9, s9
                                        ; implicit-def: $sgpr10
	s_delay_alu instid0(SALU_CYCLE_1)
	s_xor_b32 exec_lo, exec_lo, s9
	s_cbranch_execnz .LBB410_88
.LBB410_70:                             ;   in Loop: Header=BB410_41 Depth=1
	s_or_b32 exec_lo, exec_lo, s9
	v_mov_b32_e32 v37, s10
	s_and_saveexec_b32 s9, s8
.LBB410_71:                             ;   in Loop: Header=BB410_41 Depth=1
	v_lshrrev_b32_e32 v37, 24, v39
	s_delay_alu instid0(VALU_DEP_1)
	v_and_or_b32 v37, 0x80, v37, v40
.LBB410_72:                             ;   in Loop: Header=BB410_41 Depth=1
	s_or_b32 exec_lo, exec_lo, s9
.LBB410_73:                             ;   in Loop: Header=BB410_41 Depth=1
	s_delay_alu instid0(SALU_CYCLE_1) | instskip(NEXT) | instid1(SALU_CYCLE_1)
	s_or_b32 exec_lo, exec_lo, s0
	s_mov_b32 s0, exec_lo
	v_cmpx_gt_u64_e64 s[2:3], v[1:2]
	s_xor_b32 s0, exec_lo, s0
	s_cbranch_execnz .LBB410_77
; %bb.74:                               ;   in Loop: Header=BB410_41 Depth=1
	s_or_b32 exec_lo, exec_lo, s0
	s_delay_alu instid0(SALU_CYCLE_1)
	s_mov_b32 s0, exec_lo
	v_cmpx_gt_u64_e64 s[2:3], v[3:4]
	s_cbranch_execnz .LBB410_78
.LBB410_75:                             ;   in Loop: Header=BB410_41 Depth=1
	s_or_b32 exec_lo, exec_lo, s0
	s_delay_alu instid0(SALU_CYCLE_1)
	s_mov_b32 s0, exec_lo
	v_cmpx_gt_u64_e64 s[2:3], v[5:6]
	s_cbranch_execnz .LBB410_79
.LBB410_76:                             ;   in Loop: Header=BB410_41 Depth=1
	s_or_b32 exec_lo, exec_lo, s0
	s_delay_alu instid0(SALU_CYCLE_1)
	s_mov_b32 s0, exec_lo
	v_cmpx_gt_u64_e64 s[2:3], v[7:8]
	s_cbranch_execz .LBB410_40
	s_branch .LBB410_80
.LBB410_77:                             ;   in Loop: Header=BB410_41 Depth=1
	v_add_co_u32 v1, vcc_lo, v11, s6
	v_add_co_ci_u32_e32 v2, vcc_lo, s7, v12, vcc_lo
	global_store_b8 v[1:2], v36, off
	s_or_b32 exec_lo, exec_lo, s0
	s_delay_alu instid0(SALU_CYCLE_1)
	s_mov_b32 s0, exec_lo
	v_cmpx_gt_u64_e64 s[2:3], v[3:4]
	s_cbranch_execz .LBB410_75
.LBB410_78:                             ;   in Loop: Header=BB410_41 Depth=1
	v_add_co_u32 v1, vcc_lo, v27, s6
	v_add_co_ci_u32_e32 v2, vcc_lo, s7, v28, vcc_lo
	global_store_b8 v[1:2], v35, off
	s_or_b32 exec_lo, exec_lo, s0
	s_delay_alu instid0(SALU_CYCLE_1)
	s_mov_b32 s0, exec_lo
	v_cmpx_gt_u64_e64 s[2:3], v[5:6]
	s_cbranch_execz .LBB410_76
.LBB410_79:                             ;   in Loop: Header=BB410_41 Depth=1
	v_add_co_u32 v1, vcc_lo, v21, s6
	v_add_co_ci_u32_e32 v2, vcc_lo, s7, v22, vcc_lo
	global_store_b8 v[1:2], v38, off
	s_or_b32 exec_lo, exec_lo, s0
	s_delay_alu instid0(SALU_CYCLE_1)
	s_mov_b32 s0, exec_lo
	v_cmpx_gt_u64_e64 s[2:3], v[7:8]
	s_cbranch_execz .LBB410_40
.LBB410_80:                             ;   in Loop: Header=BB410_41 Depth=1
	v_add_co_u32 v1, vcc_lo, v15, s6
	v_add_co_ci_u32_e32 v2, vcc_lo, s7, v16, vcc_lo
	global_store_b8 v[1:2], v37, off
	s_branch .LBB410_40
.LBB410_81:                             ;   in Loop: Header=BB410_41 Depth=1
	v_bfe_u32 v36, v39, 21, 1
	s_mov_b32 s8, exec_lo
	s_delay_alu instid0(VALU_DEP_1) | instskip(NEXT) | instid1(VALU_DEP_1)
	v_add3_u32 v36, v37, v36, 0x88fffff
	v_lshrrev_b32_e32 v38, 21, v36
	s_or_saveexec_b32 s9, s9
                                        ; implicit-def: $sgpr10
	s_delay_alu instid0(SALU_CYCLE_1)
	s_xor_b32 exec_lo, exec_lo, s9
	s_cbranch_execz .LBB410_52
.LBB410_82:                             ;   in Loop: Header=BB410_41 Depth=1
	v_add_f32_e64 v36, 0x42800000, |v37|
	s_and_not1_b32 s8, s8, exec_lo
	s_mov_b32 s10, 0
	s_delay_alu instid0(VALU_DEP_1) | instskip(NEXT) | instid1(VALU_DEP_1)
	v_and_b32_e32 v38, 0xff, v36
	v_cmp_ne_u32_e32 vcc_lo, 0, v38
	s_and_b32 s11, vcc_lo, exec_lo
	s_delay_alu instid0(SALU_CYCLE_1)
	s_or_b32 s8, s8, s11
	s_or_b32 exec_lo, exec_lo, s9
	v_mov_b32_e32 v36, s10
	s_and_saveexec_b32 s9, s8
	s_cbranch_execnz .LBB410_53
	s_branch .LBB410_54
.LBB410_83:                             ;   in Loop: Header=BB410_41 Depth=1
	v_bfe_u32 v35, v39, 21, 1
	s_mov_b32 s8, exec_lo
	s_delay_alu instid0(VALU_DEP_1) | instskip(NEXT) | instid1(VALU_DEP_1)
	v_add3_u32 v35, v37, v35, 0x88fffff
	v_lshrrev_b32_e32 v38, 21, v35
	s_or_saveexec_b32 s9, s9
                                        ; implicit-def: $sgpr10
	s_delay_alu instid0(SALU_CYCLE_1)
	s_xor_b32 exec_lo, exec_lo, s9
	s_cbranch_execz .LBB410_58
.LBB410_84:                             ;   in Loop: Header=BB410_41 Depth=1
	v_add_f32_e64 v35, 0x42800000, |v37|
	s_and_not1_b32 s8, s8, exec_lo
	s_mov_b32 s10, 0
	s_delay_alu instid0(VALU_DEP_1) | instskip(NEXT) | instid1(VALU_DEP_1)
	v_and_b32_e32 v38, 0xff, v35
	v_cmp_ne_u32_e32 vcc_lo, 0, v38
	s_and_b32 s11, vcc_lo, exec_lo
	s_delay_alu instid0(SALU_CYCLE_1)
	s_or_b32 s8, s8, s11
	s_or_b32 exec_lo, exec_lo, s9
	v_mov_b32_e32 v35, s10
	s_and_saveexec_b32 s9, s8
	s_cbranch_execnz .LBB410_59
	s_branch .LBB410_60
.LBB410_85:                             ;   in Loop: Header=BB410_41 Depth=1
	v_bfe_u32 v38, v41, 21, 1
	s_mov_b32 s8, exec_lo
	s_delay_alu instid0(VALU_DEP_1) | instskip(NEXT) | instid1(VALU_DEP_1)
	v_add3_u32 v38, v39, v38, 0x88fffff
	v_lshrrev_b32_e32 v40, 21, v38
	s_or_saveexec_b32 s9, s9
                                        ; implicit-def: $sgpr10
	s_delay_alu instid0(SALU_CYCLE_1)
	s_xor_b32 exec_lo, exec_lo, s9
	s_cbranch_execz .LBB410_64
.LBB410_86:                             ;   in Loop: Header=BB410_41 Depth=1
	v_add_f32_e64 v38, 0x42800000, |v39|
	s_and_not1_b32 s8, s8, exec_lo
	s_mov_b32 s10, 0
	s_delay_alu instid0(VALU_DEP_1) | instskip(NEXT) | instid1(VALU_DEP_1)
	v_and_b32_e32 v40, 0xff, v38
	v_cmp_ne_u32_e32 vcc_lo, 0, v40
	s_and_b32 s11, vcc_lo, exec_lo
	s_delay_alu instid0(SALU_CYCLE_1)
	s_or_b32 s8, s8, s11
	s_or_b32 exec_lo, exec_lo, s9
	v_mov_b32_e32 v38, s10
	s_and_saveexec_b32 s9, s8
	s_cbranch_execnz .LBB410_65
	s_branch .LBB410_66
.LBB410_87:                             ;   in Loop: Header=BB410_41 Depth=1
	v_bfe_u32 v37, v41, 21, 1
	s_mov_b32 s8, exec_lo
	s_delay_alu instid0(VALU_DEP_1) | instskip(NEXT) | instid1(VALU_DEP_1)
	v_add3_u32 v37, v39, v37, 0x88fffff
	v_lshrrev_b32_e32 v40, 21, v37
	s_or_saveexec_b32 s9, s9
                                        ; implicit-def: $sgpr10
	s_delay_alu instid0(SALU_CYCLE_1)
	s_xor_b32 exec_lo, exec_lo, s9
	s_cbranch_execz .LBB410_70
.LBB410_88:                             ;   in Loop: Header=BB410_41 Depth=1
	v_add_f32_e64 v37, 0x42800000, |v39|
	s_and_not1_b32 s8, s8, exec_lo
	s_mov_b32 s10, 0
	s_delay_alu instid0(VALU_DEP_1) | instskip(NEXT) | instid1(VALU_DEP_1)
	v_and_b32_e32 v40, 0xff, v37
	v_cmp_ne_u32_e32 vcc_lo, 0, v40
	s_and_b32 s11, vcc_lo, exec_lo
	s_delay_alu instid0(SALU_CYCLE_1)
	s_or_b32 s8, s8, s11
	s_or_b32 exec_lo, exec_lo, s9
	v_mov_b32_e32 v37, s10
	s_and_saveexec_b32 s9, s8
	s_cbranch_execnz .LBB410_71
	s_branch .LBB410_72
.LBB410_89:
	s_nop 0
	s_sendmsg sendmsg(MSG_DEALLOC_VGPRS)
	s_endpgm
	.section	.rodata,"a",@progbits
	.p2align	6, 0x0
	.amdhsa_kernel _ZN2at6native12_GLOBAL__N_125multi_tensor_apply_kernelINS1_18TensorListMetadataILi2EEENS1_11CopyFunctorIN3c1015Float8_e5m2fnuzENS6_11Float8_e5m2ELi2ELi1ELi1EEEJNS0_4CopyIS7_S8_EEEEEvT_T0_DpT1_
		.amdhsa_group_segment_fixed_size 0
		.amdhsa_private_segment_fixed_size 0
		.amdhsa_kernarg_size 3408
		.amdhsa_user_sgpr_count 15
		.amdhsa_user_sgpr_dispatch_ptr 0
		.amdhsa_user_sgpr_queue_ptr 0
		.amdhsa_user_sgpr_kernarg_segment_ptr 1
		.amdhsa_user_sgpr_dispatch_id 0
		.amdhsa_user_sgpr_private_segment_size 0
		.amdhsa_wavefront_size32 1
		.amdhsa_uses_dynamic_stack 0
		.amdhsa_enable_private_segment 0
		.amdhsa_system_sgpr_workgroup_id_x 1
		.amdhsa_system_sgpr_workgroup_id_y 0
		.amdhsa_system_sgpr_workgroup_id_z 0
		.amdhsa_system_sgpr_workgroup_info 0
		.amdhsa_system_vgpr_workitem_id 0
		.amdhsa_next_free_vgpr 43
		.amdhsa_next_free_sgpr 23
		.amdhsa_reserve_vcc 1
		.amdhsa_float_round_mode_32 0
		.amdhsa_float_round_mode_16_64 0
		.amdhsa_float_denorm_mode_32 3
		.amdhsa_float_denorm_mode_16_64 3
		.amdhsa_dx10_clamp 1
		.amdhsa_ieee_mode 1
		.amdhsa_fp16_overflow 0
		.amdhsa_workgroup_processor_mode 1
		.amdhsa_memory_ordered 1
		.amdhsa_forward_progress 0
		.amdhsa_shared_vgpr_count 0
		.amdhsa_exception_fp_ieee_invalid_op 0
		.amdhsa_exception_fp_denorm_src 0
		.amdhsa_exception_fp_ieee_div_zero 0
		.amdhsa_exception_fp_ieee_overflow 0
		.amdhsa_exception_fp_ieee_underflow 0
		.amdhsa_exception_fp_ieee_inexact 0
		.amdhsa_exception_int_div_zero 0
	.end_amdhsa_kernel
	.section	.text._ZN2at6native12_GLOBAL__N_125multi_tensor_apply_kernelINS1_18TensorListMetadataILi2EEENS1_11CopyFunctorIN3c1015Float8_e5m2fnuzENS6_11Float8_e5m2ELi2ELi1ELi1EEEJNS0_4CopyIS7_S8_EEEEEvT_T0_DpT1_,"axG",@progbits,_ZN2at6native12_GLOBAL__N_125multi_tensor_apply_kernelINS1_18TensorListMetadataILi2EEENS1_11CopyFunctorIN3c1015Float8_e5m2fnuzENS6_11Float8_e5m2ELi2ELi1ELi1EEEJNS0_4CopyIS7_S8_EEEEEvT_T0_DpT1_,comdat
.Lfunc_end410:
	.size	_ZN2at6native12_GLOBAL__N_125multi_tensor_apply_kernelINS1_18TensorListMetadataILi2EEENS1_11CopyFunctorIN3c1015Float8_e5m2fnuzENS6_11Float8_e5m2ELi2ELi1ELi1EEEJNS0_4CopyIS7_S8_EEEEEvT_T0_DpT1_, .Lfunc_end410-_ZN2at6native12_GLOBAL__N_125multi_tensor_apply_kernelINS1_18TensorListMetadataILi2EEENS1_11CopyFunctorIN3c1015Float8_e5m2fnuzENS6_11Float8_e5m2ELi2ELi1ELi1EEEJNS0_4CopyIS7_S8_EEEEEvT_T0_DpT1_
                                        ; -- End function
	.section	.AMDGPU.csdata,"",@progbits
; Kernel info:
; codeLenInByte = 3980
; NumSgprs: 25
; NumVgprs: 43
; ScratchSize: 0
; MemoryBound: 0
; FloatMode: 240
; IeeeMode: 1
; LDSByteSize: 0 bytes/workgroup (compile time only)
; SGPRBlocks: 3
; VGPRBlocks: 5
; NumSGPRsForWavesPerEU: 25
; NumVGPRsForWavesPerEU: 43
; Occupancy: 16
; WaveLimiterHint : 0
; COMPUTE_PGM_RSRC2:SCRATCH_EN: 0
; COMPUTE_PGM_RSRC2:USER_SGPR: 15
; COMPUTE_PGM_RSRC2:TRAP_HANDLER: 0
; COMPUTE_PGM_RSRC2:TGID_X_EN: 1
; COMPUTE_PGM_RSRC2:TGID_Y_EN: 0
; COMPUTE_PGM_RSRC2:TGID_Z_EN: 0
; COMPUTE_PGM_RSRC2:TIDIG_COMP_CNT: 0
	.section	.text._ZN2at6native12_GLOBAL__N_125multi_tensor_apply_kernelINS1_18TensorListMetadataILi2EEENS1_14UnaryOpFunctorIN3c1015Float8_e5m2fnuzELi2ELi1ELi1EEEJNS0_4CopyIS7_S7_EEEEEvT_T0_DpT1_,"axG",@progbits,_ZN2at6native12_GLOBAL__N_125multi_tensor_apply_kernelINS1_18TensorListMetadataILi2EEENS1_14UnaryOpFunctorIN3c1015Float8_e5m2fnuzELi2ELi1ELi1EEEJNS0_4CopyIS7_S7_EEEEEvT_T0_DpT1_,comdat
	.globl	_ZN2at6native12_GLOBAL__N_125multi_tensor_apply_kernelINS1_18TensorListMetadataILi2EEENS1_14UnaryOpFunctorIN3c1015Float8_e5m2fnuzELi2ELi1ELi1EEEJNS0_4CopyIS7_S7_EEEEEvT_T0_DpT1_ ; -- Begin function _ZN2at6native12_GLOBAL__N_125multi_tensor_apply_kernelINS1_18TensorListMetadataILi2EEENS1_14UnaryOpFunctorIN3c1015Float8_e5m2fnuzELi2ELi1ELi1EEEJNS0_4CopyIS7_S7_EEEEEvT_T0_DpT1_
	.p2align	8
	.type	_ZN2at6native12_GLOBAL__N_125multi_tensor_apply_kernelINS1_18TensorListMetadataILi2EEENS1_14UnaryOpFunctorIN3c1015Float8_e5m2fnuzELi2ELi1ELi1EEEJNS0_4CopyIS7_S7_EEEEEvT_T0_DpT1_,@function
_ZN2at6native12_GLOBAL__N_125multi_tensor_apply_kernelINS1_18TensorListMetadataILi2EEENS1_14UnaryOpFunctorIN3c1015Float8_e5m2fnuzELi2ELi1ELi1EEEJNS0_4CopyIS7_S7_EEEEEvT_T0_DpT1_: ; @_ZN2at6native12_GLOBAL__N_125multi_tensor_apply_kernelINS1_18TensorListMetadataILi2EEENS1_14UnaryOpFunctorIN3c1015Float8_e5m2fnuzELi2ELi1ELi1EEEJNS0_4CopyIS7_S7_EEEEEvT_T0_DpT1_
; %bb.0:
	v_mov_b32_e32 v1, s15
	s_add_u32 s2, s0, s15
	s_mul_hi_u32 s3, s15, 3
	s_mul_i32 s15, s15, 3
	s_addc_u32 s4, s1, 0
	global_load_u8 v1, v1, s[0:1] offset:1536
	s_add_u32 s2, s2, s15
	s_addc_u32 s3, s4, s3
	s_load_b32 s2, s[2:3], 0x740
	s_waitcnt vmcnt(0)
	v_readfirstlane_b32 s5, v1
	s_delay_alu instid0(VALU_DEP_1)
	s_lshl_b32 s3, s5, 3
	s_clause 0x2
	s_load_b64 s[8:9], s[0:1], s3 offset:0x0
	s_load_b64 s[10:11], s[0:1], s3 offset:0x200
	;; [unrolled: 1-line block ×3, first 2 shown]
	s_waitcnt lgkmcnt(0)
	s_ashr_i32 s3, s2, 31
	s_delay_alu instid0(SALU_CYCLE_1) | instskip(NEXT) | instid1(SALU_CYCLE_1)
	s_lshl_b64 s[12:13], s[2:3], 16
	s_add_u32 s6, s8, s12
	s_addc_u32 s7, s9, s13
	s_add_u32 s3, s10, s12
	s_addc_u32 s14, s11, s13
	s_or_b64 s[16:17], s[4:5], s[6:7]
	s_delay_alu instid0(SALU_CYCLE_1) | instskip(NEXT) | instid1(SALU_CYCLE_1)
	s_or_b32 s2, s3, s16
	s_and_b32 s2, s2, 3
	s_sub_u32 s4, s4, s12
	s_subb_u32 s5, s5, s13
	s_cmp_eq_u32 s2, 0
	s_mov_b32 s2, -1
	s_cbranch_scc0 .LBB411_69
; %bb.1:
	v_dual_mov_b32 v2, 0 :: v_dual_lshlrev_b32 v1, 2, v0
	s_mov_b32 s15, exec_lo
	s_delay_alu instid0(VALU_DEP_1)
	v_cmpx_gt_i64_e64 s[4:5], v[1:2]
	s_cbranch_execz .LBB411_68
; %bb.2:
	s_load_b32 s2, s[0:1], 0xc5c
	s_mov_b32 s17, 0
	s_waitcnt lgkmcnt(0)
	s_and_b32 s2, s2, 0xffff
	s_delay_alu instid0(SALU_CYCLE_1)
	s_lshl_b32 s16, s2, 2
	s_branch .LBB411_5
.LBB411_3:                              ;   in Loop: Header=BB411_5 Depth=1
	s_or_b32 exec_lo, exec_lo, s19
.LBB411_4:                              ;   in Loop: Header=BB411_5 Depth=1
	s_delay_alu instid0(SALU_CYCLE_1)
	s_or_b32 exec_lo, exec_lo, s2
	v_add_co_u32 v9, vcc_lo, s3, v1
	v_add_co_ci_u32_e32 v10, vcc_lo, s14, v2, vcc_lo
	v_add_co_u32 v1, vcc_lo, s16, v1
	v_add_co_ci_u32_e32 v2, vcc_lo, 0, v2, vcc_lo
	v_lshlrev_b32_e32 v3, 16, v6
	v_lshlrev_b32_e32 v5, 8, v5
	v_and_b32_e32 v4, 0xff, v4
	s_delay_alu instid0(VALU_DEP_4) | instskip(SKIP_3) | instid1(VALU_DEP_3)
	v_cmp_le_i64_e32 vcc_lo, s[4:5], v[1:2]
	v_cmp_lt_u64_e64 s2, 0xffff, v[1:2]
	v_perm_b32 v3, v8, v3, 0x4020c0c
	v_and_b32_e32 v5, 0xff00, v5
	s_or_b32 s2, vcc_lo, s2
	s_delay_alu instid0(VALU_DEP_1) | instskip(SKIP_1) | instid1(SALU_CYCLE_1)
	v_or3_b32 v3, v3, v5, v4
	s_and_b32 s2, exec_lo, s2
	s_or_b32 s17, s2, s17
	global_store_b32 v[9:10], v3, off
	s_and_not1_b32 exec_lo, exec_lo, s17
	s_cbranch_execz .LBB411_68
.LBB411_5:                              ; =>This Inner Loop Header: Depth=1
	v_add_co_u32 v3, vcc_lo, s6, v1
	v_add_co_ci_u32_e32 v4, vcc_lo, s7, v2, vcc_lo
	s_mov_b32 s2, 0
	s_mov_b32 s19, exec_lo
                                        ; implicit-def: $sgpr18
	global_load_b32 v3, v[3:4], off
	s_waitcnt vmcnt(0)
	v_and_b32_e32 v4, 0xff, v3
	s_delay_alu instid0(VALU_DEP_1)
	v_cmpx_lt_i16_e32 0x7f, v4
	s_xor_b32 s19, exec_lo, s19
	s_cbranch_execnz .LBB411_43
; %bb.6:                                ;   in Loop: Header=BB411_5 Depth=1
	s_or_saveexec_b32 s19, s19
	v_mov_b32_e32 v5, s18
	s_xor_b32 exec_lo, exec_lo, s19
	s_cbranch_execnz .LBB411_46
.LBB411_7:                              ;   in Loop: Header=BB411_5 Depth=1
	s_or_b32 exec_lo, exec_lo, s19
	s_and_saveexec_b32 s18, s2
	s_cbranch_execz .LBB411_9
.LBB411_8:                              ;   in Loop: Header=BB411_5 Depth=1
	v_bfe_u32 v7, v3, 2, 5
	v_lshlrev_b32_e32 v8, 24, v3
	s_delay_alu instid0(VALU_DEP_2) | instskip(SKIP_1) | instid1(VALU_DEP_1)
	v_cmp_eq_u32_e32 vcc_lo, 0, v7
	v_and_b32_e32 v4, 3, v3
	v_clz_i32_u32_e32 v5, v4
	s_delay_alu instid0(VALU_DEP_1) | instskip(NEXT) | instid1(VALU_DEP_1)
	v_min_u32_e32 v5, 32, v5
	v_subrev_nc_u32_e32 v6, 29, v5
	v_sub_nc_u32_e32 v5, 30, v5
	s_delay_alu instid0(VALU_DEP_1) | instskip(NEXT) | instid1(VALU_DEP_1)
	v_dual_cndmask_b32 v5, v7, v5 :: v_dual_lshlrev_b32 v6, v6, v3
	v_and_b32_e32 v6, 3, v6
	s_delay_alu instid0(VALU_DEP_2) | instskip(NEXT) | instid1(VALU_DEP_2)
	v_lshl_add_u32 v5, v5, 23, 0x37800000
	v_cndmask_b32_e32 v4, v4, v6, vcc_lo
	v_and_b32_e32 v6, 0x80000000, v8
	s_delay_alu instid0(VALU_DEP_2) | instskip(NEXT) | instid1(VALU_DEP_1)
	v_lshlrev_b32_e32 v4, 21, v4
	v_or3_b32 v5, v6, v5, v4
.LBB411_9:                              ;   in Loop: Header=BB411_5 Depth=1
	s_or_b32 exec_lo, exec_lo, s18
	s_delay_alu instid0(VALU_DEP_1) | instskip(SKIP_2) | instid1(VALU_DEP_2)
	v_and_b32_e32 v6, 0x7fffffff, v5
	v_mov_b32_e32 v4, 0x80
	s_mov_b32 s2, exec_lo
	v_cmpx_gt_u32_e32 0x47800000, v6
	s_cbranch_execz .LBB411_15
; %bb.10:                               ;   in Loop: Header=BB411_5 Depth=1
	v_cmp_lt_u32_e32 vcc_lo, 0x37ffffff, v6
	s_mov_b32 s18, 0
                                        ; implicit-def: $vgpr6
	s_and_saveexec_b32 s19, vcc_lo
	s_delay_alu instid0(SALU_CYCLE_1)
	s_xor_b32 s19, exec_lo, s19
	s_cbranch_execnz .LBB411_59
; %bb.11:                               ;   in Loop: Header=BB411_5 Depth=1
	s_or_saveexec_b32 s19, s19
                                        ; implicit-def: $sgpr20
	s_delay_alu instid0(SALU_CYCLE_1)
	s_xor_b32 exec_lo, exec_lo, s19
	s_cbranch_execnz .LBB411_60
.LBB411_12:                             ;   in Loop: Header=BB411_5 Depth=1
	s_or_b32 exec_lo, exec_lo, s19
	v_mov_b32_e32 v4, s20
	s_and_saveexec_b32 s19, s18
.LBB411_13:                             ;   in Loop: Header=BB411_5 Depth=1
	v_lshrrev_b32_e32 v4, 24, v5
	s_delay_alu instid0(VALU_DEP_1)
	v_and_or_b32 v4, 0x80, v4, v6
.LBB411_14:                             ;   in Loop: Header=BB411_5 Depth=1
	s_or_b32 exec_lo, exec_lo, s19
.LBB411_15:                             ;   in Loop: Header=BB411_5 Depth=1
	s_delay_alu instid0(SALU_CYCLE_1) | instskip(SKIP_3) | instid1(VALU_DEP_1)
	s_or_b32 exec_lo, exec_lo, s2
	v_lshrrev_b32_e32 v5, 8, v3
	s_mov_b32 s2, 0
	s_mov_b32 s19, exec_lo
                                        ; implicit-def: $sgpr18
	v_and_b32_e32 v7, 0xff, v5
	s_delay_alu instid0(VALU_DEP_1)
	v_cmpx_lt_i16_e32 0x7f, v7
	s_xor_b32 s19, exec_lo, s19
	s_cbranch_execnz .LBB411_47
; %bb.16:                               ;   in Loop: Header=BB411_5 Depth=1
	s_or_saveexec_b32 s19, s19
	v_mov_b32_e32 v6, s18
	s_xor_b32 exec_lo, exec_lo, s19
	s_cbranch_execnz .LBB411_50
.LBB411_17:                             ;   in Loop: Header=BB411_5 Depth=1
	s_or_b32 exec_lo, exec_lo, s19
	s_and_saveexec_b32 s18, s2
	s_cbranch_execz .LBB411_19
.LBB411_18:                             ;   in Loop: Header=BB411_5 Depth=1
	v_bfe_u32 v6, v3, 8, 2
	v_bfe_u32 v9, v3, 10, 5
	s_delay_alu instid0(VALU_DEP_2) | instskip(NEXT) | instid1(VALU_DEP_2)
	v_clz_i32_u32_e32 v7, v6
	v_cmp_eq_u32_e32 vcc_lo, 0, v9
	s_delay_alu instid0(VALU_DEP_2) | instskip(NEXT) | instid1(VALU_DEP_1)
	v_min_u32_e32 v7, 32, v7
	v_subrev_nc_u32_e32 v8, 29, v7
	v_sub_nc_u32_e32 v7, 30, v7
	s_delay_alu instid0(VALU_DEP_1) | instskip(NEXT) | instid1(VALU_DEP_1)
	v_dual_cndmask_b32 v7, v9, v7 :: v_dual_lshlrev_b32 v8, v8, v5
	v_and_b32_e32 v8, 3, v8
	v_lshlrev_b32_e32 v5, 24, v5
	s_delay_alu instid0(VALU_DEP_3) | instskip(NEXT) | instid1(VALU_DEP_2)
	v_lshl_add_u32 v7, v7, 23, 0x37800000
	v_dual_cndmask_b32 v6, v6, v8 :: v_dual_and_b32 v5, 0x80000000, v5
	s_delay_alu instid0(VALU_DEP_1) | instskip(NEXT) | instid1(VALU_DEP_1)
	v_lshlrev_b32_e32 v6, 21, v6
	v_or3_b32 v6, v5, v7, v6
.LBB411_19:                             ;   in Loop: Header=BB411_5 Depth=1
	s_or_b32 exec_lo, exec_lo, s18
	s_delay_alu instid0(VALU_DEP_1) | instskip(SKIP_2) | instid1(VALU_DEP_2)
	v_and_b32_e32 v7, 0x7fffffff, v6
	v_mov_b32_e32 v5, 0x80
	s_mov_b32 s2, exec_lo
	v_cmpx_gt_u32_e32 0x47800000, v7
	s_cbranch_execz .LBB411_25
; %bb.20:                               ;   in Loop: Header=BB411_5 Depth=1
	v_cmp_lt_u32_e32 vcc_lo, 0x37ffffff, v7
	s_mov_b32 s18, 0
                                        ; implicit-def: $vgpr7
	s_and_saveexec_b32 s19, vcc_lo
	s_delay_alu instid0(SALU_CYCLE_1)
	s_xor_b32 s19, exec_lo, s19
	s_cbranch_execnz .LBB411_61
; %bb.21:                               ;   in Loop: Header=BB411_5 Depth=1
	s_or_saveexec_b32 s19, s19
                                        ; implicit-def: $sgpr20
	s_delay_alu instid0(SALU_CYCLE_1)
	s_xor_b32 exec_lo, exec_lo, s19
	s_cbranch_execnz .LBB411_62
.LBB411_22:                             ;   in Loop: Header=BB411_5 Depth=1
	s_or_b32 exec_lo, exec_lo, s19
	v_mov_b32_e32 v5, s20
	s_and_saveexec_b32 s19, s18
.LBB411_23:                             ;   in Loop: Header=BB411_5 Depth=1
	v_lshrrev_b32_e32 v5, 24, v6
	s_delay_alu instid0(VALU_DEP_1)
	v_and_or_b32 v5, 0x80, v5, v7
.LBB411_24:                             ;   in Loop: Header=BB411_5 Depth=1
	s_or_b32 exec_lo, exec_lo, s19
.LBB411_25:                             ;   in Loop: Header=BB411_5 Depth=1
	s_delay_alu instid0(SALU_CYCLE_1) | instskip(SKIP_3) | instid1(VALU_DEP_1)
	s_or_b32 exec_lo, exec_lo, s2
	v_lshrrev_b32_e32 v6, 16, v3
	s_mov_b32 s2, 0
	s_mov_b32 s19, exec_lo
                                        ; implicit-def: $sgpr18
	v_and_b32_e32 v8, 0xff, v6
	s_delay_alu instid0(VALU_DEP_1)
	v_cmpx_lt_i16_e32 0x7f, v8
	s_xor_b32 s19, exec_lo, s19
	s_cbranch_execnz .LBB411_51
; %bb.26:                               ;   in Loop: Header=BB411_5 Depth=1
	s_or_saveexec_b32 s19, s19
	v_mov_b32_e32 v7, s18
	s_xor_b32 exec_lo, exec_lo, s19
	s_cbranch_execnz .LBB411_54
.LBB411_27:                             ;   in Loop: Header=BB411_5 Depth=1
	s_or_b32 exec_lo, exec_lo, s19
	s_and_saveexec_b32 s18, s2
	s_cbranch_execz .LBB411_29
.LBB411_28:                             ;   in Loop: Header=BB411_5 Depth=1
	v_bfe_u32 v7, v3, 16, 2
	v_bfe_u32 v10, v3, 18, 5
	s_delay_alu instid0(VALU_DEP_2) | instskip(NEXT) | instid1(VALU_DEP_2)
	v_clz_i32_u32_e32 v8, v7
	v_cmp_eq_u32_e32 vcc_lo, 0, v10
	s_delay_alu instid0(VALU_DEP_2) | instskip(NEXT) | instid1(VALU_DEP_1)
	v_min_u32_e32 v8, 32, v8
	v_subrev_nc_u32_e32 v9, 29, v8
	v_sub_nc_u32_e32 v8, 30, v8
	s_delay_alu instid0(VALU_DEP_1) | instskip(NEXT) | instid1(VALU_DEP_1)
	v_dual_cndmask_b32 v8, v10, v8 :: v_dual_lshlrev_b32 v9, v9, v6
	v_and_b32_e32 v9, 3, v9
	v_lshlrev_b32_e32 v6, 24, v6
	s_delay_alu instid0(VALU_DEP_3) | instskip(NEXT) | instid1(VALU_DEP_2)
	v_lshl_add_u32 v8, v8, 23, 0x37800000
	v_dual_cndmask_b32 v7, v7, v9 :: v_dual_and_b32 v6, 0x80000000, v6
	s_delay_alu instid0(VALU_DEP_1) | instskip(NEXT) | instid1(VALU_DEP_1)
	v_lshlrev_b32_e32 v7, 21, v7
	v_or3_b32 v7, v6, v8, v7
.LBB411_29:                             ;   in Loop: Header=BB411_5 Depth=1
	s_or_b32 exec_lo, exec_lo, s18
	s_delay_alu instid0(VALU_DEP_1) | instskip(SKIP_2) | instid1(VALU_DEP_2)
	v_and_b32_e32 v8, 0x7fffffff, v7
	v_mov_b32_e32 v6, 0x80
	s_mov_b32 s2, exec_lo
	v_cmpx_gt_u32_e32 0x47800000, v8
	s_cbranch_execz .LBB411_35
; %bb.30:                               ;   in Loop: Header=BB411_5 Depth=1
	v_cmp_lt_u32_e32 vcc_lo, 0x37ffffff, v8
	s_mov_b32 s18, 0
                                        ; implicit-def: $vgpr8
	s_and_saveexec_b32 s19, vcc_lo
	s_delay_alu instid0(SALU_CYCLE_1)
	s_xor_b32 s19, exec_lo, s19
	s_cbranch_execnz .LBB411_63
; %bb.31:                               ;   in Loop: Header=BB411_5 Depth=1
	s_or_saveexec_b32 s19, s19
                                        ; implicit-def: $sgpr20
	s_delay_alu instid0(SALU_CYCLE_1)
	s_xor_b32 exec_lo, exec_lo, s19
	s_cbranch_execnz .LBB411_64
.LBB411_32:                             ;   in Loop: Header=BB411_5 Depth=1
	s_or_b32 exec_lo, exec_lo, s19
	v_mov_b32_e32 v6, s20
	s_and_saveexec_b32 s19, s18
.LBB411_33:                             ;   in Loop: Header=BB411_5 Depth=1
	v_lshrrev_b32_e32 v6, 24, v7
	s_delay_alu instid0(VALU_DEP_1)
	v_and_or_b32 v6, 0x80, v6, v8
.LBB411_34:                             ;   in Loop: Header=BB411_5 Depth=1
	s_or_b32 exec_lo, exec_lo, s19
.LBB411_35:                             ;   in Loop: Header=BB411_5 Depth=1
	s_delay_alu instid0(SALU_CYCLE_1) | instskip(SKIP_3) | instid1(VALU_DEP_1)
	s_or_b32 exec_lo, exec_lo, s2
	v_lshrrev_b32_e32 v8, 24, v3
	s_mov_b32 s2, 0
	s_mov_b32 s19, exec_lo
                                        ; implicit-def: $sgpr18
	v_cmpx_lt_i16_e32 0x7f, v8
	s_xor_b32 s19, exec_lo, s19
	s_cbranch_execnz .LBB411_55
; %bb.36:                               ;   in Loop: Header=BB411_5 Depth=1
	s_or_saveexec_b32 s19, s19
	v_mov_b32_e32 v7, s18
	s_xor_b32 exec_lo, exec_lo, s19
	s_cbranch_execnz .LBB411_58
.LBB411_37:                             ;   in Loop: Header=BB411_5 Depth=1
	s_or_b32 exec_lo, exec_lo, s19
	s_and_saveexec_b32 s18, s2
	s_cbranch_execz .LBB411_39
.LBB411_38:                             ;   in Loop: Header=BB411_5 Depth=1
	v_bfe_u32 v7, v3, 24, 2
	s_delay_alu instid0(VALU_DEP_1) | instskip(NEXT) | instid1(VALU_DEP_1)
	v_clz_i32_u32_e32 v9, v7
	v_min_u32_e32 v9, 32, v9
	s_delay_alu instid0(VALU_DEP_1) | instskip(SKIP_1) | instid1(VALU_DEP_2)
	v_subrev_nc_u32_e32 v10, 29, v9
	v_sub_nc_u32_e32 v9, 30, v9
	v_lshlrev_b32_e32 v8, v10, v8
	v_bfe_u32 v10, v3, 26, 5
	v_and_b32_e32 v3, 0x80000000, v3
	s_delay_alu instid0(VALU_DEP_2) | instskip(NEXT) | instid1(VALU_DEP_4)
	v_cmp_eq_u32_e32 vcc_lo, 0, v10
	v_dual_cndmask_b32 v9, v10, v9 :: v_dual_and_b32 v8, 3, v8
	s_delay_alu instid0(VALU_DEP_1) | instskip(NEXT) | instid1(VALU_DEP_2)
	v_cndmask_b32_e32 v7, v7, v8, vcc_lo
	v_lshl_add_u32 v8, v9, 23, 0x37800000
	s_delay_alu instid0(VALU_DEP_2) | instskip(NEXT) | instid1(VALU_DEP_1)
	v_lshlrev_b32_e32 v7, 21, v7
	v_or3_b32 v7, v3, v8, v7
.LBB411_39:                             ;   in Loop: Header=BB411_5 Depth=1
	s_or_b32 exec_lo, exec_lo, s18
	s_delay_alu instid0(VALU_DEP_1) | instskip(SKIP_2) | instid1(VALU_DEP_2)
	v_and_b32_e32 v3, 0x7fffffff, v7
	v_mov_b32_e32 v8, 0x80
	s_mov_b32 s2, exec_lo
	v_cmpx_gt_u32_e32 0x47800000, v3
	s_cbranch_execz .LBB411_4
; %bb.40:                               ;   in Loop: Header=BB411_5 Depth=1
	v_cmp_lt_u32_e32 vcc_lo, 0x37ffffff, v3
	s_mov_b32 s18, 0
                                        ; implicit-def: $vgpr3
	s_and_saveexec_b32 s19, vcc_lo
	s_delay_alu instid0(SALU_CYCLE_1)
	s_xor_b32 s19, exec_lo, s19
	s_cbranch_execnz .LBB411_65
; %bb.41:                               ;   in Loop: Header=BB411_5 Depth=1
	s_or_saveexec_b32 s19, s19
                                        ; implicit-def: $sgpr20
	s_delay_alu instid0(SALU_CYCLE_1)
	s_xor_b32 exec_lo, exec_lo, s19
	s_cbranch_execnz .LBB411_66
.LBB411_42:                             ;   in Loop: Header=BB411_5 Depth=1
	s_or_b32 exec_lo, exec_lo, s19
	v_mov_b32_e32 v8, s20
	s_and_saveexec_b32 s19, s18
	s_cbranch_execz .LBB411_3
	s_branch .LBB411_67
.LBB411_43:                             ;   in Loop: Header=BB411_5 Depth=1
	s_mov_b32 s2, -1
	s_mov_b32 s20, exec_lo
                                        ; implicit-def: $sgpr18
	v_cmpx_eq_u16_e32 0x80, v4
; %bb.44:                               ;   in Loop: Header=BB411_5 Depth=1
	s_mov_b32 s18, 0x7f800001
	s_xor_b32 s2, exec_lo, -1
; %bb.45:                               ;   in Loop: Header=BB411_5 Depth=1
	s_or_b32 exec_lo, exec_lo, s20
	s_delay_alu instid0(SALU_CYCLE_1)
	s_and_b32 s2, s2, exec_lo
                                        ; implicit-def: $vgpr4
	s_or_saveexec_b32 s19, s19
	v_mov_b32_e32 v5, s18
	s_xor_b32 exec_lo, exec_lo, s19
	s_cbranch_execz .LBB411_7
.LBB411_46:                             ;   in Loop: Header=BB411_5 Depth=1
	v_cmp_ne_u16_e32 vcc_lo, 0, v4
	v_mov_b32_e32 v5, 0
	s_and_not1_b32 s2, s2, exec_lo
	s_and_b32 s18, vcc_lo, exec_lo
	s_delay_alu instid0(SALU_CYCLE_1)
	s_or_b32 s2, s2, s18
	s_or_b32 exec_lo, exec_lo, s19
	s_and_saveexec_b32 s18, s2
	s_cbranch_execnz .LBB411_8
	s_branch .LBB411_9
.LBB411_47:                             ;   in Loop: Header=BB411_5 Depth=1
	s_mov_b32 s2, -1
	s_mov_b32 s20, exec_lo
                                        ; implicit-def: $sgpr18
	v_cmpx_eq_u16_e32 0x80, v7
; %bb.48:                               ;   in Loop: Header=BB411_5 Depth=1
	s_mov_b32 s18, 0x7f800001
	s_xor_b32 s2, exec_lo, -1
; %bb.49:                               ;   in Loop: Header=BB411_5 Depth=1
	s_or_b32 exec_lo, exec_lo, s20
	s_delay_alu instid0(SALU_CYCLE_1)
	s_and_b32 s2, s2, exec_lo
                                        ; implicit-def: $vgpr7
	s_or_saveexec_b32 s19, s19
	v_mov_b32_e32 v6, s18
	s_xor_b32 exec_lo, exec_lo, s19
	s_cbranch_execz .LBB411_17
.LBB411_50:                             ;   in Loop: Header=BB411_5 Depth=1
	v_cmp_ne_u16_e32 vcc_lo, 0, v7
	v_mov_b32_e32 v6, 0
	s_and_not1_b32 s2, s2, exec_lo
	s_and_b32 s18, vcc_lo, exec_lo
	s_delay_alu instid0(SALU_CYCLE_1)
	s_or_b32 s2, s2, s18
	s_or_b32 exec_lo, exec_lo, s19
	s_and_saveexec_b32 s18, s2
	s_cbranch_execnz .LBB411_18
	s_branch .LBB411_19
.LBB411_51:                             ;   in Loop: Header=BB411_5 Depth=1
	s_mov_b32 s2, -1
	s_mov_b32 s20, exec_lo
                                        ; implicit-def: $sgpr18
	v_cmpx_eq_u16_e32 0x80, v8
; %bb.52:                               ;   in Loop: Header=BB411_5 Depth=1
	s_mov_b32 s18, 0x7f800001
	s_xor_b32 s2, exec_lo, -1
; %bb.53:                               ;   in Loop: Header=BB411_5 Depth=1
	s_or_b32 exec_lo, exec_lo, s20
	s_delay_alu instid0(SALU_CYCLE_1)
	s_and_b32 s2, s2, exec_lo
                                        ; implicit-def: $vgpr8
	s_or_saveexec_b32 s19, s19
	v_mov_b32_e32 v7, s18
	s_xor_b32 exec_lo, exec_lo, s19
	s_cbranch_execz .LBB411_27
.LBB411_54:                             ;   in Loop: Header=BB411_5 Depth=1
	v_cmp_ne_u16_e32 vcc_lo, 0, v8
	v_mov_b32_e32 v7, 0
	s_and_not1_b32 s2, s2, exec_lo
	s_and_b32 s18, vcc_lo, exec_lo
	s_delay_alu instid0(SALU_CYCLE_1)
	s_or_b32 s2, s2, s18
	s_or_b32 exec_lo, exec_lo, s19
	s_and_saveexec_b32 s18, s2
	s_cbranch_execnz .LBB411_28
	s_branch .LBB411_29
.LBB411_55:                             ;   in Loop: Header=BB411_5 Depth=1
	s_mov_b32 s2, -1
	s_mov_b32 s20, exec_lo
                                        ; implicit-def: $sgpr18
	v_cmpx_eq_u16_e32 0x80, v8
; %bb.56:                               ;   in Loop: Header=BB411_5 Depth=1
	s_mov_b32 s18, 0x7f800001
	s_xor_b32 s2, exec_lo, -1
; %bb.57:                               ;   in Loop: Header=BB411_5 Depth=1
	s_or_b32 exec_lo, exec_lo, s20
	s_delay_alu instid0(SALU_CYCLE_1)
	s_and_b32 s2, s2, exec_lo
	s_or_saveexec_b32 s19, s19
	v_mov_b32_e32 v7, s18
	s_xor_b32 exec_lo, exec_lo, s19
	s_cbranch_execz .LBB411_37
.LBB411_58:                             ;   in Loop: Header=BB411_5 Depth=1
	v_cmp_ne_u16_e32 vcc_lo, 0, v8
	v_mov_b32_e32 v7, 0
	s_and_not1_b32 s2, s2, exec_lo
	s_and_b32 s18, vcc_lo, exec_lo
	s_delay_alu instid0(SALU_CYCLE_1)
	s_or_b32 s2, s2, s18
	s_or_b32 exec_lo, exec_lo, s19
	s_and_saveexec_b32 s18, s2
	s_cbranch_execnz .LBB411_38
	s_branch .LBB411_39
.LBB411_59:                             ;   in Loop: Header=BB411_5 Depth=1
	v_bfe_u32 v4, v5, 21, 1
	s_mov_b32 s18, exec_lo
	s_delay_alu instid0(VALU_DEP_1) | instskip(NEXT) | instid1(VALU_DEP_1)
	v_add3_u32 v4, v5, v4, 0x88fffff
	v_lshrrev_b32_e32 v6, 21, v4
	s_or_saveexec_b32 s19, s19
                                        ; implicit-def: $sgpr20
	s_delay_alu instid0(SALU_CYCLE_1)
	s_xor_b32 exec_lo, exec_lo, s19
	s_cbranch_execz .LBB411_12
.LBB411_60:                             ;   in Loop: Header=BB411_5 Depth=1
	v_add_f32_e64 v4, 0x42800000, |v5|
	s_and_not1_b32 s18, s18, exec_lo
	s_mov_b32 s20, 0
	s_delay_alu instid0(VALU_DEP_1) | instskip(NEXT) | instid1(VALU_DEP_1)
	v_and_b32_e32 v6, 0xff, v4
	v_cmp_ne_u32_e32 vcc_lo, 0, v6
	s_and_b32 s21, vcc_lo, exec_lo
	s_delay_alu instid0(SALU_CYCLE_1)
	s_or_b32 s18, s18, s21
	s_or_b32 exec_lo, exec_lo, s19
	v_mov_b32_e32 v4, s20
	s_and_saveexec_b32 s19, s18
	s_cbranch_execnz .LBB411_13
	s_branch .LBB411_14
.LBB411_61:                             ;   in Loop: Header=BB411_5 Depth=1
	v_bfe_u32 v5, v6, 21, 1
	s_mov_b32 s18, exec_lo
	s_delay_alu instid0(VALU_DEP_1) | instskip(NEXT) | instid1(VALU_DEP_1)
	v_add3_u32 v5, v6, v5, 0x88fffff
	v_lshrrev_b32_e32 v7, 21, v5
	s_or_saveexec_b32 s19, s19
                                        ; implicit-def: $sgpr20
	s_delay_alu instid0(SALU_CYCLE_1)
	s_xor_b32 exec_lo, exec_lo, s19
	s_cbranch_execz .LBB411_22
.LBB411_62:                             ;   in Loop: Header=BB411_5 Depth=1
	v_add_f32_e64 v5, 0x42800000, |v6|
	s_and_not1_b32 s18, s18, exec_lo
	s_mov_b32 s20, 0
	s_delay_alu instid0(VALU_DEP_1) | instskip(NEXT) | instid1(VALU_DEP_1)
	v_and_b32_e32 v7, 0xff, v5
	v_cmp_ne_u32_e32 vcc_lo, 0, v7
	s_and_b32 s21, vcc_lo, exec_lo
	s_delay_alu instid0(SALU_CYCLE_1)
	s_or_b32 s18, s18, s21
	s_or_b32 exec_lo, exec_lo, s19
	v_mov_b32_e32 v5, s20
	s_and_saveexec_b32 s19, s18
	s_cbranch_execnz .LBB411_23
	s_branch .LBB411_24
.LBB411_63:                             ;   in Loop: Header=BB411_5 Depth=1
	v_bfe_u32 v6, v7, 21, 1
	s_mov_b32 s18, exec_lo
	s_delay_alu instid0(VALU_DEP_1) | instskip(NEXT) | instid1(VALU_DEP_1)
	v_add3_u32 v6, v7, v6, 0x88fffff
	v_lshrrev_b32_e32 v8, 21, v6
	s_or_saveexec_b32 s19, s19
                                        ; implicit-def: $sgpr20
	s_delay_alu instid0(SALU_CYCLE_1)
	s_xor_b32 exec_lo, exec_lo, s19
	s_cbranch_execz .LBB411_32
.LBB411_64:                             ;   in Loop: Header=BB411_5 Depth=1
	v_add_f32_e64 v6, 0x42800000, |v7|
	s_and_not1_b32 s18, s18, exec_lo
	s_mov_b32 s20, 0
	s_delay_alu instid0(VALU_DEP_1) | instskip(NEXT) | instid1(VALU_DEP_1)
	v_and_b32_e32 v8, 0xff, v6
	v_cmp_ne_u32_e32 vcc_lo, 0, v8
	s_and_b32 s21, vcc_lo, exec_lo
	s_delay_alu instid0(SALU_CYCLE_1)
	s_or_b32 s18, s18, s21
	s_or_b32 exec_lo, exec_lo, s19
	v_mov_b32_e32 v6, s20
	s_and_saveexec_b32 s19, s18
	s_cbranch_execnz .LBB411_33
	s_branch .LBB411_34
.LBB411_65:                             ;   in Loop: Header=BB411_5 Depth=1
	v_bfe_u32 v3, v7, 21, 1
	s_mov_b32 s18, exec_lo
	s_delay_alu instid0(VALU_DEP_1) | instskip(NEXT) | instid1(VALU_DEP_1)
	v_add3_u32 v3, v7, v3, 0x88fffff
	v_lshrrev_b32_e32 v3, 21, v3
	s_or_saveexec_b32 s19, s19
                                        ; implicit-def: $sgpr20
	s_delay_alu instid0(SALU_CYCLE_1)
	s_xor_b32 exec_lo, exec_lo, s19
	s_cbranch_execz .LBB411_42
.LBB411_66:                             ;   in Loop: Header=BB411_5 Depth=1
	v_add_f32_e64 v3, 0x42800000, |v7|
	s_and_not1_b32 s18, s18, exec_lo
	s_mov_b32 s20, 0
	s_delay_alu instid0(VALU_DEP_1) | instskip(NEXT) | instid1(VALU_DEP_1)
	v_and_b32_e32 v3, 0xff, v3
	v_cmp_ne_u32_e32 vcc_lo, 0, v3
	s_and_b32 s21, vcc_lo, exec_lo
	s_delay_alu instid0(SALU_CYCLE_1)
	s_or_b32 s18, s18, s21
	s_or_b32 exec_lo, exec_lo, s19
	v_mov_b32_e32 v8, s20
	s_and_saveexec_b32 s19, s18
	s_cbranch_execz .LBB411_3
.LBB411_67:                             ;   in Loop: Header=BB411_5 Depth=1
	v_lshrrev_b32_e32 v7, 24, v7
	s_delay_alu instid0(VALU_DEP_1)
	v_and_or_b32 v8, 0x80, v7, v3
	s_branch .LBB411_3
.LBB411_68:
	s_or_b32 exec_lo, exec_lo, s15
	s_mov_b32 s2, 0
.LBB411_69:
	s_delay_alu instid0(SALU_CYCLE_1)
	s_and_not1_b32 vcc_lo, exec_lo, s2
	s_cbranch_vccnz .LBB411_153
; %bb.70:
	v_cmp_lt_i64_e64 s2, s[4:5], 1
	s_delay_alu instid0(VALU_DEP_1)
	s_and_b32 vcc_lo, exec_lo, s2
	s_cbranch_vccnz .LBB411_153
; %bb.71:
	s_load_b32 s0, s[0:1], 0xc5c
	v_add_co_u32 v15, s1, s12, v0
	s_delay_alu instid0(VALU_DEP_1) | instskip(SKIP_1) | instid1(VALU_DEP_3)
	v_add_co_ci_u32_e64 v16, null, s13, 0, s1
	v_cmp_gt_u64_e64 s1, 0x10000, s[4:5]
	v_add_co_u32 v1, vcc_lo, s8, v15
	s_delay_alu instid0(VALU_DEP_3)
	v_add_co_ci_u32_e32 v2, vcc_lo, s9, v16, vcc_lo
	v_add_co_u32 v3, vcc_lo, s10, v15
	v_add_co_ci_u32_e32 v4, vcc_lo, s11, v16, vcc_lo
	s_waitcnt lgkmcnt(0)
	s_and_b32 s0, s0, 0xffff
	s_and_b32 s1, s1, exec_lo
	s_mul_i32 s2, s0, 3
	s_cselect_b32 s7, s5, 0
	s_cselect_b32 s6, s4, 0x10000
	s_lshl_b32 s1, s0, 1
	s_lshl_b32 s14, s0, 2
	s_add_u32 s3, s12, s2
	s_addc_u32 s15, s13, 0
	v_add_co_u32 v7, s3, s3, v0
	s_delay_alu instid0(VALU_DEP_1) | instskip(SKIP_1) | instid1(VALU_DEP_2)
	v_add_co_ci_u32_e64 v8, null, s15, 0, s3
	s_add_u32 s3, s12, s1
	v_add_co_u32 v5, vcc_lo, s8, v7
	s_addc_u32 s12, s13, 0
	v_add_co_u32 v13, s3, s3, v0
	v_add_co_ci_u32_e32 v6, vcc_lo, s9, v8, vcc_lo
	v_add_co_u32 v7, vcc_lo, s10, v7
	v_add_co_ci_u32_e64 v14, null, s12, 0, s3
	v_add_co_ci_u32_e32 v8, vcc_lo, s11, v8, vcc_lo
	v_add_co_u32 v11, vcc_lo, s8, v13
	s_delay_alu instid0(VALU_DEP_3)
	v_add_co_ci_u32_e32 v12, vcc_lo, s9, v14, vcc_lo
	v_add_co_u32 v13, vcc_lo, s10, v13
	v_add_co_ci_u32_e32 v14, vcc_lo, s11, v14, vcc_lo
	v_add_co_u32 v19, vcc_lo, v15, s0
	v_add_co_ci_u32_e32 v20, vcc_lo, 0, v16, vcc_lo
	v_add_co_u32 v9, s2, s2, v0
	s_delay_alu instid0(VALU_DEP_3) | instskip(NEXT) | instid1(VALU_DEP_3)
	v_add_co_u32 v17, vcc_lo, s8, v19
	v_add_co_ci_u32_e32 v18, vcc_lo, s9, v20, vcc_lo
	v_add_co_u32 v15, s1, s1, v0
	v_add_co_u32 v19, vcc_lo, s10, v19
	v_add_co_u32 v21, s0, v0, s0
	v_add_co_ci_u32_e64 v10, null, 0, 0, s2
	v_add_co_ci_u32_e64 v16, null, 0, 0, s1
	v_add_co_ci_u32_e32 v20, vcc_lo, s11, v20, vcc_lo
	v_add_co_ci_u32_e64 v22, null, 0, 0, s0
	s_mov_b64 s[8:9], 0
	s_branch .LBB411_73
.LBB411_72:                             ;   in Loop: Header=BB411_73 Depth=1
	s_or_b32 exec_lo, exec_lo, s0
	s_add_u32 s8, s8, s14
	s_addc_u32 s9, s9, 0
	s_delay_alu instid0(SALU_CYCLE_1) | instskip(SKIP_1) | instid1(VALU_DEP_1)
	v_cmp_ge_i64_e64 s0, s[8:9], s[4:5]
	v_cmp_lt_u64_e64 s1, 0xffff, s[8:9]
	s_or_b32 s0, s0, s1
	s_delay_alu instid0(SALU_CYCLE_1)
	s_and_b32 vcc_lo, exec_lo, s0
	s_cbranch_vccnz .LBB411_153
.LBB411_73:                             ; =>This Inner Loop Header: Depth=1
	v_add_co_u32 v23, s0, v0, s8
	s_delay_alu instid0(VALU_DEP_1) | instskip(NEXT) | instid1(VALU_DEP_1)
	v_add_co_ci_u32_e64 v24, null, 0, s9, s0
	v_cmp_gt_u64_e32 vcc_lo, s[6:7], v[23:24]
	v_mov_b32_e32 v24, 0
	s_and_saveexec_b32 s1, vcc_lo
	s_cbranch_execz .LBB411_75
; %bb.74:                               ;   in Loop: Header=BB411_73 Depth=1
	v_add_co_u32 v23, s0, v1, s8
	s_delay_alu instid0(VALU_DEP_1)
	v_add_co_ci_u32_e64 v24, s0, s9, v2, s0
	global_load_u8 v24, v[23:24], off
.LBB411_75:                             ;   in Loop: Header=BB411_73 Depth=1
	s_or_b32 exec_lo, exec_lo, s1
	v_add_co_u32 v25, s0, v21, s8
	s_delay_alu instid0(VALU_DEP_1) | instskip(NEXT) | instid1(VALU_DEP_1)
	v_add_co_ci_u32_e64 v26, s0, s9, v22, s0
	v_cmp_gt_u64_e64 s0, s[6:7], v[25:26]
	v_mov_b32_e32 v26, 0
	s_delay_alu instid0(VALU_DEP_2)
	s_and_saveexec_b32 s2, s0
	s_cbranch_execz .LBB411_77
; %bb.76:                               ;   in Loop: Header=BB411_73 Depth=1
	v_add_co_u32 v25, s1, v17, s8
	s_delay_alu instid0(VALU_DEP_1)
	v_add_co_ci_u32_e64 v26, s1, s9, v18, s1
	global_load_u8 v26, v[25:26], off
.LBB411_77:                             ;   in Loop: Header=BB411_73 Depth=1
	s_or_b32 exec_lo, exec_lo, s2
	v_add_co_u32 v27, s1, v15, s8
	s_delay_alu instid0(VALU_DEP_1) | instskip(SKIP_2) | instid1(VALU_DEP_3)
	v_add_co_ci_u32_e64 v28, s1, s9, v16, s1
	v_mov_b32_e32 v23, 0
	v_mov_b32_e32 v25, 0
	v_cmp_gt_u64_e64 s1, s[6:7], v[27:28]
	s_delay_alu instid0(VALU_DEP_1)
	s_and_saveexec_b32 s3, s1
	s_cbranch_execz .LBB411_79
; %bb.78:                               ;   in Loop: Header=BB411_73 Depth=1
	v_add_co_u32 v27, s2, v11, s8
	s_delay_alu instid0(VALU_DEP_1)
	v_add_co_ci_u32_e64 v28, s2, s9, v12, s2
	global_load_u8 v25, v[27:28], off
.LBB411_79:                             ;   in Loop: Header=BB411_73 Depth=1
	s_or_b32 exec_lo, exec_lo, s3
	v_add_co_u32 v27, s2, v9, s8
	s_delay_alu instid0(VALU_DEP_1) | instskip(NEXT) | instid1(VALU_DEP_1)
	v_add_co_ci_u32_e64 v28, s2, s9, v10, s2
	v_cmp_gt_u64_e64 s2, s[6:7], v[27:28]
	s_delay_alu instid0(VALU_DEP_1)
	s_and_saveexec_b32 s10, s2
	s_cbranch_execz .LBB411_81
; %bb.80:                               ;   in Loop: Header=BB411_73 Depth=1
	v_add_co_u32 v27, s3, v5, s8
	s_delay_alu instid0(VALU_DEP_1)
	v_add_co_ci_u32_e64 v28, s3, s9, v6, s3
	global_load_u8 v23, v[27:28], off
.LBB411_81:                             ;   in Loop: Header=BB411_73 Depth=1
	s_or_b32 exec_lo, exec_lo, s10
	s_waitcnt vmcnt(0)
	v_and_b32_e32 v28, 0xff, v24
	s_mov_b32 s10, 0
	s_mov_b32 s12, exec_lo
                                        ; implicit-def: $sgpr11
	s_delay_alu instid0(VALU_DEP_1)
	v_cmpx_lt_i16_e32 0x7f, v28
	s_xor_b32 s12, exec_lo, s12
	s_cbranch_execnz .LBB411_120
; %bb.82:                               ;   in Loop: Header=BB411_73 Depth=1
	s_or_saveexec_b32 s12, s12
	v_mov_b32_e32 v27, s11
	s_xor_b32 exec_lo, exec_lo, s12
	s_cbranch_execnz .LBB411_123
.LBB411_83:                             ;   in Loop: Header=BB411_73 Depth=1
	s_or_b32 exec_lo, exec_lo, s12
	s_and_saveexec_b32 s11, s10
	s_cbranch_execz .LBB411_85
.LBB411_84:                             ;   in Loop: Header=BB411_73 Depth=1
	v_and_b32_e32 v27, 3, v24
	v_lshrrev_b16 v30, 2, v24
	s_delay_alu instid0(VALU_DEP_2) | instskip(NEXT) | instid1(VALU_DEP_2)
	v_clz_i32_u32_e32 v28, v27
	v_and_b32_e32 v30, 31, v30
	s_delay_alu instid0(VALU_DEP_2) | instskip(NEXT) | instid1(VALU_DEP_2)
	v_min_u32_e32 v28, 32, v28
	v_cmp_eq_u32_e64 s3, 0, v30
	s_delay_alu instid0(VALU_DEP_2) | instskip(SKIP_1) | instid1(VALU_DEP_2)
	v_subrev_nc_u32_e32 v29, 29, v28
	v_sub_nc_u32_e32 v28, 30, v28
	v_lshlrev_b32_e32 v29, v29, v24
	v_lshlrev_b32_e32 v24, 24, v24
	s_delay_alu instid0(VALU_DEP_3) | instskip(NEXT) | instid1(VALU_DEP_3)
	v_cndmask_b32_e64 v28, v30, v28, s3
	v_and_b32_e32 v29, 3, v29
	s_delay_alu instid0(VALU_DEP_3) | instskip(NEXT) | instid1(VALU_DEP_3)
	v_and_b32_e32 v24, 0x80000000, v24
	v_lshl_add_u32 v28, v28, 23, 0x37800000
	s_delay_alu instid0(VALU_DEP_3) | instskip(NEXT) | instid1(VALU_DEP_1)
	v_cndmask_b32_e64 v27, v27, v29, s3
	v_lshlrev_b32_e32 v27, 21, v27
	s_delay_alu instid0(VALU_DEP_1)
	v_or3_b32 v27, v24, v28, v27
.LBB411_85:                             ;   in Loop: Header=BB411_73 Depth=1
	s_or_b32 exec_lo, exec_lo, s11
	s_delay_alu instid0(VALU_DEP_1) | instskip(SKIP_2) | instid1(VALU_DEP_2)
	v_and_b32_e32 v28, 0x7fffffff, v27
	v_mov_b32_e32 v24, 0x80
	s_mov_b32 s10, exec_lo
	v_cmpx_gt_u32_e32 0x47800000, v28
	s_cbranch_execz .LBB411_91
; %bb.86:                               ;   in Loop: Header=BB411_73 Depth=1
	v_cmp_lt_u32_e64 s3, 0x37ffffff, v28
	s_mov_b32 s11, 0
                                        ; implicit-def: $vgpr28
	s_delay_alu instid0(VALU_DEP_1) | instskip(NEXT) | instid1(SALU_CYCLE_1)
	s_and_saveexec_b32 s12, s3
	s_xor_b32 s3, exec_lo, s12
	s_cbranch_execnz .LBB411_145
; %bb.87:                               ;   in Loop: Header=BB411_73 Depth=1
	s_or_saveexec_b32 s12, s3
                                        ; implicit-def: $sgpr3
	s_delay_alu instid0(SALU_CYCLE_1)
	s_xor_b32 exec_lo, exec_lo, s12
	s_cbranch_execnz .LBB411_146
.LBB411_88:                             ;   in Loop: Header=BB411_73 Depth=1
	s_or_b32 exec_lo, exec_lo, s12
	v_mov_b32_e32 v24, s3
	s_and_saveexec_b32 s3, s11
.LBB411_89:                             ;   in Loop: Header=BB411_73 Depth=1
	v_lshrrev_b32_e32 v24, 24, v27
	s_delay_alu instid0(VALU_DEP_1)
	v_and_or_b32 v24, 0x80, v24, v28
.LBB411_90:                             ;   in Loop: Header=BB411_73 Depth=1
	s_or_b32 exec_lo, exec_lo, s3
.LBB411_91:                             ;   in Loop: Header=BB411_73 Depth=1
	s_delay_alu instid0(SALU_CYCLE_1) | instskip(SKIP_3) | instid1(VALU_DEP_1)
	s_or_b32 exec_lo, exec_lo, s10
	v_and_b32_e32 v28, 0xff, v26
	s_mov_b32 s10, 0
	s_mov_b32 s12, exec_lo
                                        ; implicit-def: $sgpr11
	v_cmpx_lt_i16_e32 0x7f, v28
	s_xor_b32 s12, exec_lo, s12
	s_cbranch_execnz .LBB411_124
; %bb.92:                               ;   in Loop: Header=BB411_73 Depth=1
	s_or_saveexec_b32 s12, s12
	v_mov_b32_e32 v27, s11
	s_xor_b32 exec_lo, exec_lo, s12
	s_cbranch_execnz .LBB411_127
.LBB411_93:                             ;   in Loop: Header=BB411_73 Depth=1
	s_or_b32 exec_lo, exec_lo, s12
	s_and_saveexec_b32 s11, s10
	s_cbranch_execz .LBB411_95
.LBB411_94:                             ;   in Loop: Header=BB411_73 Depth=1
	v_and_b32_e32 v27, 3, v26
	v_lshrrev_b16 v30, 2, v26
	s_delay_alu instid0(VALU_DEP_2) | instskip(NEXT) | instid1(VALU_DEP_2)
	v_clz_i32_u32_e32 v28, v27
	v_and_b32_e32 v30, 31, v30
	s_delay_alu instid0(VALU_DEP_2) | instskip(NEXT) | instid1(VALU_DEP_2)
	v_min_u32_e32 v28, 32, v28
	v_cmp_eq_u32_e64 s3, 0, v30
	s_delay_alu instid0(VALU_DEP_2) | instskip(SKIP_1) | instid1(VALU_DEP_2)
	v_subrev_nc_u32_e32 v29, 29, v28
	v_sub_nc_u32_e32 v28, 30, v28
	v_lshlrev_b32_e32 v29, v29, v26
	v_lshlrev_b32_e32 v26, 24, v26
	s_delay_alu instid0(VALU_DEP_3) | instskip(NEXT) | instid1(VALU_DEP_3)
	v_cndmask_b32_e64 v28, v30, v28, s3
	v_and_b32_e32 v29, 3, v29
	s_delay_alu instid0(VALU_DEP_3) | instskip(NEXT) | instid1(VALU_DEP_3)
	v_and_b32_e32 v26, 0x80000000, v26
	v_lshl_add_u32 v28, v28, 23, 0x37800000
	s_delay_alu instid0(VALU_DEP_3) | instskip(NEXT) | instid1(VALU_DEP_1)
	v_cndmask_b32_e64 v27, v27, v29, s3
	v_lshlrev_b32_e32 v27, 21, v27
	s_delay_alu instid0(VALU_DEP_1)
	v_or3_b32 v27, v26, v28, v27
.LBB411_95:                             ;   in Loop: Header=BB411_73 Depth=1
	s_or_b32 exec_lo, exec_lo, s11
	s_delay_alu instid0(VALU_DEP_1) | instskip(SKIP_2) | instid1(VALU_DEP_2)
	v_and_b32_e32 v28, 0x7fffffff, v27
	v_mov_b32_e32 v26, 0x80
	s_mov_b32 s10, exec_lo
	v_cmpx_gt_u32_e32 0x47800000, v28
	s_cbranch_execz .LBB411_101
; %bb.96:                               ;   in Loop: Header=BB411_73 Depth=1
	v_cmp_lt_u32_e64 s3, 0x37ffffff, v28
	s_mov_b32 s11, 0
                                        ; implicit-def: $vgpr28
	s_delay_alu instid0(VALU_DEP_1) | instskip(NEXT) | instid1(SALU_CYCLE_1)
	s_and_saveexec_b32 s12, s3
	s_xor_b32 s3, exec_lo, s12
	s_cbranch_execnz .LBB411_147
; %bb.97:                               ;   in Loop: Header=BB411_73 Depth=1
	s_or_saveexec_b32 s12, s3
                                        ; implicit-def: $sgpr3
	s_delay_alu instid0(SALU_CYCLE_1)
	s_xor_b32 exec_lo, exec_lo, s12
	s_cbranch_execnz .LBB411_148
.LBB411_98:                             ;   in Loop: Header=BB411_73 Depth=1
	s_or_b32 exec_lo, exec_lo, s12
	v_mov_b32_e32 v26, s3
	s_and_saveexec_b32 s3, s11
.LBB411_99:                             ;   in Loop: Header=BB411_73 Depth=1
	v_lshrrev_b32_e32 v26, 24, v27
	s_delay_alu instid0(VALU_DEP_1)
	v_and_or_b32 v26, 0x80, v26, v28
.LBB411_100:                            ;   in Loop: Header=BB411_73 Depth=1
	s_or_b32 exec_lo, exec_lo, s3
.LBB411_101:                            ;   in Loop: Header=BB411_73 Depth=1
	s_delay_alu instid0(SALU_CYCLE_1) | instskip(SKIP_3) | instid1(VALU_DEP_1)
	s_or_b32 exec_lo, exec_lo, s10
	v_and_b32_e32 v28, 0xff, v25
	s_mov_b32 s10, 0
	s_mov_b32 s12, exec_lo
                                        ; implicit-def: $sgpr11
	v_cmpx_lt_i16_e32 0x7f, v28
	s_xor_b32 s12, exec_lo, s12
	s_cbranch_execnz .LBB411_128
; %bb.102:                              ;   in Loop: Header=BB411_73 Depth=1
	s_or_saveexec_b32 s12, s12
	v_mov_b32_e32 v27, s11
	s_xor_b32 exec_lo, exec_lo, s12
	s_cbranch_execnz .LBB411_131
.LBB411_103:                            ;   in Loop: Header=BB411_73 Depth=1
	s_or_b32 exec_lo, exec_lo, s12
	s_and_saveexec_b32 s11, s10
	s_cbranch_execz .LBB411_105
.LBB411_104:                            ;   in Loop: Header=BB411_73 Depth=1
	v_and_b32_e32 v27, 3, v25
	v_lshrrev_b16 v30, 2, v25
	s_delay_alu instid0(VALU_DEP_2) | instskip(NEXT) | instid1(VALU_DEP_2)
	v_clz_i32_u32_e32 v28, v27
	v_and_b32_e32 v30, 31, v30
	s_delay_alu instid0(VALU_DEP_2) | instskip(NEXT) | instid1(VALU_DEP_2)
	v_min_u32_e32 v28, 32, v28
	v_cmp_eq_u32_e64 s3, 0, v30
	s_delay_alu instid0(VALU_DEP_2) | instskip(SKIP_1) | instid1(VALU_DEP_2)
	v_subrev_nc_u32_e32 v29, 29, v28
	v_sub_nc_u32_e32 v28, 30, v28
	v_lshlrev_b32_e32 v29, v29, v25
	v_lshlrev_b32_e32 v25, 24, v25
	s_delay_alu instid0(VALU_DEP_3) | instskip(NEXT) | instid1(VALU_DEP_3)
	v_cndmask_b32_e64 v28, v30, v28, s3
	v_and_b32_e32 v29, 3, v29
	s_delay_alu instid0(VALU_DEP_3) | instskip(NEXT) | instid1(VALU_DEP_3)
	v_and_b32_e32 v25, 0x80000000, v25
	v_lshl_add_u32 v28, v28, 23, 0x37800000
	s_delay_alu instid0(VALU_DEP_3) | instskip(NEXT) | instid1(VALU_DEP_1)
	v_cndmask_b32_e64 v27, v27, v29, s3
	v_lshlrev_b32_e32 v27, 21, v27
	s_delay_alu instid0(VALU_DEP_1)
	v_or3_b32 v27, v25, v28, v27
.LBB411_105:                            ;   in Loop: Header=BB411_73 Depth=1
	s_or_b32 exec_lo, exec_lo, s11
	s_delay_alu instid0(VALU_DEP_1) | instskip(SKIP_2) | instid1(VALU_DEP_2)
	v_and_b32_e32 v28, 0x7fffffff, v27
	v_mov_b32_e32 v25, 0x80
	s_mov_b32 s10, exec_lo
	v_cmpx_gt_u32_e32 0x47800000, v28
	s_cbranch_execz .LBB411_111
; %bb.106:                              ;   in Loop: Header=BB411_73 Depth=1
	v_cmp_lt_u32_e64 s3, 0x37ffffff, v28
	s_mov_b32 s11, 0
                                        ; implicit-def: $vgpr28
	s_delay_alu instid0(VALU_DEP_1) | instskip(NEXT) | instid1(SALU_CYCLE_1)
	s_and_saveexec_b32 s12, s3
	s_xor_b32 s3, exec_lo, s12
	s_cbranch_execnz .LBB411_149
; %bb.107:                              ;   in Loop: Header=BB411_73 Depth=1
	s_or_saveexec_b32 s12, s3
                                        ; implicit-def: $sgpr3
	s_delay_alu instid0(SALU_CYCLE_1)
	s_xor_b32 exec_lo, exec_lo, s12
	s_cbranch_execnz .LBB411_150
.LBB411_108:                            ;   in Loop: Header=BB411_73 Depth=1
	s_or_b32 exec_lo, exec_lo, s12
	v_mov_b32_e32 v25, s3
	s_and_saveexec_b32 s3, s11
.LBB411_109:                            ;   in Loop: Header=BB411_73 Depth=1
	v_lshrrev_b32_e32 v25, 24, v27
	s_delay_alu instid0(VALU_DEP_1)
	v_and_or_b32 v25, 0x80, v25, v28
.LBB411_110:                            ;   in Loop: Header=BB411_73 Depth=1
	s_or_b32 exec_lo, exec_lo, s3
.LBB411_111:                            ;   in Loop: Header=BB411_73 Depth=1
	s_delay_alu instid0(SALU_CYCLE_1) | instskip(SKIP_3) | instid1(VALU_DEP_1)
	s_or_b32 exec_lo, exec_lo, s10
	v_and_b32_e32 v28, 0xff, v23
	s_mov_b32 s10, 0
	s_mov_b32 s12, exec_lo
                                        ; implicit-def: $sgpr11
	v_cmpx_lt_i16_e32 0x7f, v28
	s_xor_b32 s12, exec_lo, s12
	s_cbranch_execnz .LBB411_132
; %bb.112:                              ;   in Loop: Header=BB411_73 Depth=1
	s_or_saveexec_b32 s12, s12
	v_mov_b32_e32 v27, s11
	s_xor_b32 exec_lo, exec_lo, s12
	s_cbranch_execnz .LBB411_135
.LBB411_113:                            ;   in Loop: Header=BB411_73 Depth=1
	s_or_b32 exec_lo, exec_lo, s12
	s_and_saveexec_b32 s11, s10
	s_cbranch_execz .LBB411_115
.LBB411_114:                            ;   in Loop: Header=BB411_73 Depth=1
	v_and_b32_e32 v27, 3, v23
	v_lshrrev_b16 v30, 2, v23
	s_delay_alu instid0(VALU_DEP_2) | instskip(NEXT) | instid1(VALU_DEP_2)
	v_clz_i32_u32_e32 v28, v27
	v_and_b32_e32 v30, 31, v30
	s_delay_alu instid0(VALU_DEP_2) | instskip(NEXT) | instid1(VALU_DEP_2)
	v_min_u32_e32 v28, 32, v28
	v_cmp_eq_u32_e64 s3, 0, v30
	s_delay_alu instid0(VALU_DEP_2) | instskip(SKIP_1) | instid1(VALU_DEP_2)
	v_subrev_nc_u32_e32 v29, 29, v28
	v_sub_nc_u32_e32 v28, 30, v28
	v_lshlrev_b32_e32 v29, v29, v23
	v_lshlrev_b32_e32 v23, 24, v23
	s_delay_alu instid0(VALU_DEP_3) | instskip(NEXT) | instid1(VALU_DEP_3)
	v_cndmask_b32_e64 v28, v30, v28, s3
	v_and_b32_e32 v29, 3, v29
	s_delay_alu instid0(VALU_DEP_3) | instskip(NEXT) | instid1(VALU_DEP_3)
	v_and_b32_e32 v23, 0x80000000, v23
	v_lshl_add_u32 v28, v28, 23, 0x37800000
	s_delay_alu instid0(VALU_DEP_3) | instskip(NEXT) | instid1(VALU_DEP_1)
	v_cndmask_b32_e64 v27, v27, v29, s3
	v_lshlrev_b32_e32 v27, 21, v27
	s_delay_alu instid0(VALU_DEP_1)
	v_or3_b32 v27, v23, v28, v27
.LBB411_115:                            ;   in Loop: Header=BB411_73 Depth=1
	s_or_b32 exec_lo, exec_lo, s11
	s_delay_alu instid0(VALU_DEP_1) | instskip(SKIP_2) | instid1(VALU_DEP_2)
	v_and_b32_e32 v28, 0x7fffffff, v27
	v_mov_b32_e32 v23, 0x80
	s_mov_b32 s10, exec_lo
	v_cmpx_gt_u32_e32 0x47800000, v28
	s_cbranch_execnz .LBB411_136
; %bb.116:                              ;   in Loop: Header=BB411_73 Depth=1
	s_or_b32 exec_lo, exec_lo, s10
	s_and_saveexec_b32 s3, vcc_lo
	s_delay_alu instid0(SALU_CYCLE_1)
	s_xor_b32 s3, exec_lo, s3
	s_cbranch_execnz .LBB411_141
.LBB411_117:                            ;   in Loop: Header=BB411_73 Depth=1
	s_or_b32 exec_lo, exec_lo, s3
	s_and_saveexec_b32 s3, s0
	s_cbranch_execnz .LBB411_142
.LBB411_118:                            ;   in Loop: Header=BB411_73 Depth=1
	s_or_b32 exec_lo, exec_lo, s3
	s_and_saveexec_b32 s0, s1
	s_cbranch_execnz .LBB411_143
.LBB411_119:                            ;   in Loop: Header=BB411_73 Depth=1
	s_or_b32 exec_lo, exec_lo, s0
	s_and_saveexec_b32 s0, s2
	s_cbranch_execz .LBB411_72
	s_branch .LBB411_144
.LBB411_120:                            ;   in Loop: Header=BB411_73 Depth=1
	s_mov_b32 s10, -1
	s_mov_b32 s13, exec_lo
                                        ; implicit-def: $sgpr11
	v_cmpx_eq_u16_e32 0x80, v28
; %bb.121:                              ;   in Loop: Header=BB411_73 Depth=1
	s_mov_b32 s11, 0x7f800001
	s_xor_b32 s10, exec_lo, -1
; %bb.122:                              ;   in Loop: Header=BB411_73 Depth=1
	s_or_b32 exec_lo, exec_lo, s13
	s_delay_alu instid0(SALU_CYCLE_1)
	s_and_b32 s10, s10, exec_lo
                                        ; implicit-def: $vgpr28
	s_or_saveexec_b32 s12, s12
	v_mov_b32_e32 v27, s11
	s_xor_b32 exec_lo, exec_lo, s12
	s_cbranch_execz .LBB411_83
.LBB411_123:                            ;   in Loop: Header=BB411_73 Depth=1
	v_cmp_ne_u16_e64 s3, 0, v28
	v_mov_b32_e32 v27, 0
	s_and_not1_b32 s10, s10, exec_lo
	s_delay_alu instid0(VALU_DEP_2) | instskip(NEXT) | instid1(SALU_CYCLE_1)
	s_and_b32 s3, s3, exec_lo
	s_or_b32 s10, s10, s3
	s_or_b32 exec_lo, exec_lo, s12
	s_and_saveexec_b32 s11, s10
	s_cbranch_execnz .LBB411_84
	s_branch .LBB411_85
.LBB411_124:                            ;   in Loop: Header=BB411_73 Depth=1
	s_mov_b32 s10, -1
	s_mov_b32 s13, exec_lo
                                        ; implicit-def: $sgpr11
	v_cmpx_eq_u16_e32 0x80, v28
; %bb.125:                              ;   in Loop: Header=BB411_73 Depth=1
	s_mov_b32 s11, 0x7f800001
	s_xor_b32 s10, exec_lo, -1
; %bb.126:                              ;   in Loop: Header=BB411_73 Depth=1
	s_or_b32 exec_lo, exec_lo, s13
	s_delay_alu instid0(SALU_CYCLE_1)
	s_and_b32 s10, s10, exec_lo
                                        ; implicit-def: $vgpr28
	s_or_saveexec_b32 s12, s12
	v_mov_b32_e32 v27, s11
	s_xor_b32 exec_lo, exec_lo, s12
	s_cbranch_execz .LBB411_93
.LBB411_127:                            ;   in Loop: Header=BB411_73 Depth=1
	v_cmp_ne_u16_e64 s3, 0, v28
	v_mov_b32_e32 v27, 0
	s_and_not1_b32 s10, s10, exec_lo
	s_delay_alu instid0(VALU_DEP_2) | instskip(NEXT) | instid1(SALU_CYCLE_1)
	s_and_b32 s3, s3, exec_lo
	s_or_b32 s10, s10, s3
	s_or_b32 exec_lo, exec_lo, s12
	s_and_saveexec_b32 s11, s10
	s_cbranch_execnz .LBB411_94
	s_branch .LBB411_95
.LBB411_128:                            ;   in Loop: Header=BB411_73 Depth=1
	s_mov_b32 s10, -1
	s_mov_b32 s13, exec_lo
                                        ; implicit-def: $sgpr11
	v_cmpx_eq_u16_e32 0x80, v28
; %bb.129:                              ;   in Loop: Header=BB411_73 Depth=1
	s_mov_b32 s11, 0x7f800001
	s_xor_b32 s10, exec_lo, -1
; %bb.130:                              ;   in Loop: Header=BB411_73 Depth=1
	s_or_b32 exec_lo, exec_lo, s13
	s_delay_alu instid0(SALU_CYCLE_1)
	s_and_b32 s10, s10, exec_lo
                                        ; implicit-def: $vgpr28
	s_or_saveexec_b32 s12, s12
	v_mov_b32_e32 v27, s11
	s_xor_b32 exec_lo, exec_lo, s12
	s_cbranch_execz .LBB411_103
.LBB411_131:                            ;   in Loop: Header=BB411_73 Depth=1
	v_cmp_ne_u16_e64 s3, 0, v28
	v_mov_b32_e32 v27, 0
	s_and_not1_b32 s10, s10, exec_lo
	s_delay_alu instid0(VALU_DEP_2) | instskip(NEXT) | instid1(SALU_CYCLE_1)
	s_and_b32 s3, s3, exec_lo
	s_or_b32 s10, s10, s3
	s_or_b32 exec_lo, exec_lo, s12
	s_and_saveexec_b32 s11, s10
	s_cbranch_execnz .LBB411_104
	s_branch .LBB411_105
.LBB411_132:                            ;   in Loop: Header=BB411_73 Depth=1
	s_mov_b32 s10, -1
	s_mov_b32 s13, exec_lo
                                        ; implicit-def: $sgpr11
	v_cmpx_eq_u16_e32 0x80, v28
; %bb.133:                              ;   in Loop: Header=BB411_73 Depth=1
	s_mov_b32 s11, 0x7f800001
	s_xor_b32 s10, exec_lo, -1
; %bb.134:                              ;   in Loop: Header=BB411_73 Depth=1
	s_or_b32 exec_lo, exec_lo, s13
	s_delay_alu instid0(SALU_CYCLE_1)
	s_and_b32 s10, s10, exec_lo
                                        ; implicit-def: $vgpr28
	s_or_saveexec_b32 s12, s12
	v_mov_b32_e32 v27, s11
	s_xor_b32 exec_lo, exec_lo, s12
	s_cbranch_execz .LBB411_113
.LBB411_135:                            ;   in Loop: Header=BB411_73 Depth=1
	v_cmp_ne_u16_e64 s3, 0, v28
	v_mov_b32_e32 v27, 0
	s_and_not1_b32 s10, s10, exec_lo
	s_delay_alu instid0(VALU_DEP_2) | instskip(NEXT) | instid1(SALU_CYCLE_1)
	s_and_b32 s3, s3, exec_lo
	s_or_b32 s10, s10, s3
	s_or_b32 exec_lo, exec_lo, s12
	s_and_saveexec_b32 s11, s10
	s_cbranch_execnz .LBB411_114
	s_branch .LBB411_115
.LBB411_136:                            ;   in Loop: Header=BB411_73 Depth=1
	v_cmp_lt_u32_e64 s3, 0x37ffffff, v28
	s_mov_b32 s11, 0
                                        ; implicit-def: $vgpr28
	s_delay_alu instid0(VALU_DEP_1) | instskip(NEXT) | instid1(SALU_CYCLE_1)
	s_and_saveexec_b32 s12, s3
	s_xor_b32 s3, exec_lo, s12
	s_cbranch_execnz .LBB411_151
; %bb.137:                              ;   in Loop: Header=BB411_73 Depth=1
	s_or_saveexec_b32 s12, s3
                                        ; implicit-def: $sgpr3
	s_delay_alu instid0(SALU_CYCLE_1)
	s_xor_b32 exec_lo, exec_lo, s12
	s_cbranch_execnz .LBB411_152
.LBB411_138:                            ;   in Loop: Header=BB411_73 Depth=1
	s_or_b32 exec_lo, exec_lo, s12
	v_mov_b32_e32 v23, s3
	s_and_saveexec_b32 s3, s11
.LBB411_139:                            ;   in Loop: Header=BB411_73 Depth=1
	v_lshrrev_b32_e32 v23, 24, v27
	s_delay_alu instid0(VALU_DEP_1)
	v_and_or_b32 v23, 0x80, v23, v28
.LBB411_140:                            ;   in Loop: Header=BB411_73 Depth=1
	s_or_b32 exec_lo, exec_lo, s3
	s_delay_alu instid0(SALU_CYCLE_1) | instskip(SKIP_1) | instid1(SALU_CYCLE_1)
	s_or_b32 exec_lo, exec_lo, s10
	s_and_saveexec_b32 s3, vcc_lo
	s_xor_b32 s3, exec_lo, s3
	s_cbranch_execz .LBB411_117
.LBB411_141:                            ;   in Loop: Header=BB411_73 Depth=1
	v_add_co_u32 v27, vcc_lo, v3, s8
	v_add_co_ci_u32_e32 v28, vcc_lo, s9, v4, vcc_lo
	global_store_b8 v[27:28], v24, off
	s_or_b32 exec_lo, exec_lo, s3
	s_and_saveexec_b32 s3, s0
	s_cbranch_execz .LBB411_118
.LBB411_142:                            ;   in Loop: Header=BB411_73 Depth=1
	v_add_co_u32 v27, vcc_lo, v19, s8
	v_add_co_ci_u32_e32 v28, vcc_lo, s9, v20, vcc_lo
	global_store_b8 v[27:28], v26, off
	s_or_b32 exec_lo, exec_lo, s3
	s_and_saveexec_b32 s0, s1
	s_cbranch_execz .LBB411_119
.LBB411_143:                            ;   in Loop: Header=BB411_73 Depth=1
	v_add_co_u32 v26, vcc_lo, v13, s8
	v_add_co_ci_u32_e32 v27, vcc_lo, s9, v14, vcc_lo
	global_store_b8 v[26:27], v25, off
	s_or_b32 exec_lo, exec_lo, s0
	s_and_saveexec_b32 s0, s2
	s_cbranch_execz .LBB411_72
.LBB411_144:                            ;   in Loop: Header=BB411_73 Depth=1
	v_add_co_u32 v24, vcc_lo, v7, s8
	v_add_co_ci_u32_e32 v25, vcc_lo, s9, v8, vcc_lo
	global_store_b8 v[24:25], v23, off
	s_branch .LBB411_72
.LBB411_145:                            ;   in Loop: Header=BB411_73 Depth=1
	v_bfe_u32 v24, v27, 21, 1
	s_mov_b32 s11, exec_lo
	s_delay_alu instid0(VALU_DEP_1) | instskip(NEXT) | instid1(VALU_DEP_1)
	v_add3_u32 v24, v27, v24, 0x88fffff
	v_lshrrev_b32_e32 v28, 21, v24
	s_or_saveexec_b32 s12, s3
                                        ; implicit-def: $sgpr3
	s_delay_alu instid0(SALU_CYCLE_1)
	s_xor_b32 exec_lo, exec_lo, s12
	s_cbranch_execz .LBB411_88
.LBB411_146:                            ;   in Loop: Header=BB411_73 Depth=1
	v_add_f32_e64 v24, 0x42800000, |v27|
	s_and_not1_b32 s11, s11, exec_lo
	s_delay_alu instid0(VALU_DEP_1) | instskip(NEXT) | instid1(VALU_DEP_1)
	v_and_b32_e32 v28, 0xff, v24
	v_cmp_ne_u32_e64 s3, 0, v28
	s_delay_alu instid0(VALU_DEP_1)
	s_and_b32 s13, s3, exec_lo
	s_mov_b32 s3, 0
	s_or_b32 s11, s11, s13
	s_or_b32 exec_lo, exec_lo, s12
	v_mov_b32_e32 v24, s3
	s_and_saveexec_b32 s3, s11
	s_cbranch_execnz .LBB411_89
	s_branch .LBB411_90
.LBB411_147:                            ;   in Loop: Header=BB411_73 Depth=1
	v_bfe_u32 v26, v27, 21, 1
	s_mov_b32 s11, exec_lo
	s_delay_alu instid0(VALU_DEP_1) | instskip(NEXT) | instid1(VALU_DEP_1)
	v_add3_u32 v26, v27, v26, 0x88fffff
	v_lshrrev_b32_e32 v28, 21, v26
	s_or_saveexec_b32 s12, s3
                                        ; implicit-def: $sgpr3
	s_delay_alu instid0(SALU_CYCLE_1)
	s_xor_b32 exec_lo, exec_lo, s12
	s_cbranch_execz .LBB411_98
.LBB411_148:                            ;   in Loop: Header=BB411_73 Depth=1
	v_add_f32_e64 v26, 0x42800000, |v27|
	s_and_not1_b32 s11, s11, exec_lo
	s_delay_alu instid0(VALU_DEP_1) | instskip(NEXT) | instid1(VALU_DEP_1)
	v_and_b32_e32 v28, 0xff, v26
	v_cmp_ne_u32_e64 s3, 0, v28
	s_delay_alu instid0(VALU_DEP_1)
	s_and_b32 s13, s3, exec_lo
	s_mov_b32 s3, 0
	s_or_b32 s11, s11, s13
	s_or_b32 exec_lo, exec_lo, s12
	v_mov_b32_e32 v26, s3
	s_and_saveexec_b32 s3, s11
	s_cbranch_execnz .LBB411_99
	s_branch .LBB411_100
.LBB411_149:                            ;   in Loop: Header=BB411_73 Depth=1
	v_bfe_u32 v25, v27, 21, 1
	s_mov_b32 s11, exec_lo
	s_delay_alu instid0(VALU_DEP_1) | instskip(NEXT) | instid1(VALU_DEP_1)
	v_add3_u32 v25, v27, v25, 0x88fffff
	v_lshrrev_b32_e32 v28, 21, v25
	s_or_saveexec_b32 s12, s3
                                        ; implicit-def: $sgpr3
	s_delay_alu instid0(SALU_CYCLE_1)
	s_xor_b32 exec_lo, exec_lo, s12
	s_cbranch_execz .LBB411_108
.LBB411_150:                            ;   in Loop: Header=BB411_73 Depth=1
	v_add_f32_e64 v25, 0x42800000, |v27|
	s_and_not1_b32 s11, s11, exec_lo
	s_delay_alu instid0(VALU_DEP_1) | instskip(NEXT) | instid1(VALU_DEP_1)
	v_and_b32_e32 v28, 0xff, v25
	v_cmp_ne_u32_e64 s3, 0, v28
	s_delay_alu instid0(VALU_DEP_1)
	s_and_b32 s13, s3, exec_lo
	s_mov_b32 s3, 0
	s_or_b32 s11, s11, s13
	s_or_b32 exec_lo, exec_lo, s12
	v_mov_b32_e32 v25, s3
	s_and_saveexec_b32 s3, s11
	s_cbranch_execnz .LBB411_109
	s_branch .LBB411_110
.LBB411_151:                            ;   in Loop: Header=BB411_73 Depth=1
	v_bfe_u32 v23, v27, 21, 1
	s_mov_b32 s11, exec_lo
	s_delay_alu instid0(VALU_DEP_1) | instskip(NEXT) | instid1(VALU_DEP_1)
	v_add3_u32 v23, v27, v23, 0x88fffff
	v_lshrrev_b32_e32 v28, 21, v23
	s_or_saveexec_b32 s12, s3
                                        ; implicit-def: $sgpr3
	s_delay_alu instid0(SALU_CYCLE_1)
	s_xor_b32 exec_lo, exec_lo, s12
	s_cbranch_execz .LBB411_138
.LBB411_152:                            ;   in Loop: Header=BB411_73 Depth=1
	v_add_f32_e64 v23, 0x42800000, |v27|
	s_and_not1_b32 s11, s11, exec_lo
	s_delay_alu instid0(VALU_DEP_1) | instskip(NEXT) | instid1(VALU_DEP_1)
	v_and_b32_e32 v28, 0xff, v23
	v_cmp_ne_u32_e64 s3, 0, v28
	s_delay_alu instid0(VALU_DEP_1)
	s_and_b32 s13, s3, exec_lo
	s_mov_b32 s3, 0
	s_or_b32 s11, s11, s13
	s_or_b32 exec_lo, exec_lo, s12
	v_mov_b32_e32 v23, s3
	s_and_saveexec_b32 s3, s11
	s_cbranch_execnz .LBB411_139
	s_branch .LBB411_140
.LBB411_153:
	s_nop 0
	s_sendmsg sendmsg(MSG_DEALLOC_VGPRS)
	s_endpgm
	.section	.rodata,"a",@progbits
	.p2align	6, 0x0
	.amdhsa_kernel _ZN2at6native12_GLOBAL__N_125multi_tensor_apply_kernelINS1_18TensorListMetadataILi2EEENS1_14UnaryOpFunctorIN3c1015Float8_e5m2fnuzELi2ELi1ELi1EEEJNS0_4CopyIS7_S7_EEEEEvT_T0_DpT1_
		.amdhsa_group_segment_fixed_size 0
		.amdhsa_private_segment_fixed_size 0
		.amdhsa_kernarg_size 3408
		.amdhsa_user_sgpr_count 15
		.amdhsa_user_sgpr_dispatch_ptr 0
		.amdhsa_user_sgpr_queue_ptr 0
		.amdhsa_user_sgpr_kernarg_segment_ptr 1
		.amdhsa_user_sgpr_dispatch_id 0
		.amdhsa_user_sgpr_private_segment_size 0
		.amdhsa_wavefront_size32 1
		.amdhsa_uses_dynamic_stack 0
		.amdhsa_enable_private_segment 0
		.amdhsa_system_sgpr_workgroup_id_x 1
		.amdhsa_system_sgpr_workgroup_id_y 0
		.amdhsa_system_sgpr_workgroup_id_z 0
		.amdhsa_system_sgpr_workgroup_info 0
		.amdhsa_system_vgpr_workitem_id 0
		.amdhsa_next_free_vgpr 31
		.amdhsa_next_free_sgpr 22
		.amdhsa_reserve_vcc 1
		.amdhsa_float_round_mode_32 0
		.amdhsa_float_round_mode_16_64 0
		.amdhsa_float_denorm_mode_32 3
		.amdhsa_float_denorm_mode_16_64 3
		.amdhsa_dx10_clamp 1
		.amdhsa_ieee_mode 1
		.amdhsa_fp16_overflow 0
		.amdhsa_workgroup_processor_mode 1
		.amdhsa_memory_ordered 1
		.amdhsa_forward_progress 0
		.amdhsa_shared_vgpr_count 0
		.amdhsa_exception_fp_ieee_invalid_op 0
		.amdhsa_exception_fp_denorm_src 0
		.amdhsa_exception_fp_ieee_div_zero 0
		.amdhsa_exception_fp_ieee_overflow 0
		.amdhsa_exception_fp_ieee_underflow 0
		.amdhsa_exception_fp_ieee_inexact 0
		.amdhsa_exception_int_div_zero 0
	.end_amdhsa_kernel
	.section	.text._ZN2at6native12_GLOBAL__N_125multi_tensor_apply_kernelINS1_18TensorListMetadataILi2EEENS1_14UnaryOpFunctorIN3c1015Float8_e5m2fnuzELi2ELi1ELi1EEEJNS0_4CopyIS7_S7_EEEEEvT_T0_DpT1_,"axG",@progbits,_ZN2at6native12_GLOBAL__N_125multi_tensor_apply_kernelINS1_18TensorListMetadataILi2EEENS1_14UnaryOpFunctorIN3c1015Float8_e5m2fnuzELi2ELi1ELi1EEEJNS0_4CopyIS7_S7_EEEEEvT_T0_DpT1_,comdat
.Lfunc_end411:
	.size	_ZN2at6native12_GLOBAL__N_125multi_tensor_apply_kernelINS1_18TensorListMetadataILi2EEENS1_14UnaryOpFunctorIN3c1015Float8_e5m2fnuzELi2ELi1ELi1EEEJNS0_4CopyIS7_S7_EEEEEvT_T0_DpT1_, .Lfunc_end411-_ZN2at6native12_GLOBAL__N_125multi_tensor_apply_kernelINS1_18TensorListMetadataILi2EEENS1_14UnaryOpFunctorIN3c1015Float8_e5m2fnuzELi2ELi1ELi1EEEJNS0_4CopyIS7_S7_EEEEEvT_T0_DpT1_
                                        ; -- End function
	.section	.AMDGPU.csdata,"",@progbits
; Kernel info:
; codeLenInByte = 5480
; NumSgprs: 24
; NumVgprs: 31
; ScratchSize: 0
; MemoryBound: 0
; FloatMode: 240
; IeeeMode: 1
; LDSByteSize: 0 bytes/workgroup (compile time only)
; SGPRBlocks: 2
; VGPRBlocks: 3
; NumSGPRsForWavesPerEU: 24
; NumVGPRsForWavesPerEU: 31
; Occupancy: 16
; WaveLimiterHint : 0
; COMPUTE_PGM_RSRC2:SCRATCH_EN: 0
; COMPUTE_PGM_RSRC2:USER_SGPR: 15
; COMPUTE_PGM_RSRC2:TRAP_HANDLER: 0
; COMPUTE_PGM_RSRC2:TGID_X_EN: 1
; COMPUTE_PGM_RSRC2:TGID_Y_EN: 0
; COMPUTE_PGM_RSRC2:TGID_Z_EN: 0
; COMPUTE_PGM_RSRC2:TIDIG_COMP_CNT: 0
	.text
	.p2alignl 7, 3214868480
	.fill 96, 4, 3214868480
	.type	__hip_cuid_f87496a5fb567956,@object ; @__hip_cuid_f87496a5fb567956
	.section	.bss,"aw",@nobits
	.globl	__hip_cuid_f87496a5fb567956
__hip_cuid_f87496a5fb567956:
	.byte	0                               ; 0x0
	.size	__hip_cuid_f87496a5fb567956, 1

	.ident	"AMD clang version 19.0.0git (https://github.com/RadeonOpenCompute/llvm-project roc-6.4.0 25133 c7fe45cf4b819c5991fe208aaa96edf142730f1d)"
	.section	".note.GNU-stack","",@progbits
	.addrsig
	.addrsig_sym __hip_cuid_f87496a5fb567956
	.amdgpu_metadata
---
amdhsa.kernels:
  - .args:
      - .offset:         0
        .size:           3144
        .value_kind:     by_value
      - .offset:         3144
        .size:           1
        .value_kind:     by_value
      - .offset:         3145
        .size:           1
        .value_kind:     by_value
      - .offset:         3146
        .size:           1
        .value_kind:     by_value
      - .offset:         3152
        .size:           4
        .value_kind:     hidden_block_count_x
      - .offset:         3156
        .size:           4
        .value_kind:     hidden_block_count_y
      - .offset:         3160
        .size:           4
        .value_kind:     hidden_block_count_z
      - .offset:         3164
        .size:           2
        .value_kind:     hidden_group_size_x
      - .offset:         3166
        .size:           2
        .value_kind:     hidden_group_size_y
      - .offset:         3168
        .size:           2
        .value_kind:     hidden_group_size_z
      - .offset:         3170
        .size:           2
        .value_kind:     hidden_remainder_x
      - .offset:         3172
        .size:           2
        .value_kind:     hidden_remainder_y
      - .offset:         3174
        .size:           2
        .value_kind:     hidden_remainder_z
      - .offset:         3192
        .size:           8
        .value_kind:     hidden_global_offset_x
      - .offset:         3200
        .size:           8
        .value_kind:     hidden_global_offset_y
      - .offset:         3208
        .size:           8
        .value_kind:     hidden_global_offset_z
      - .offset:         3216
        .size:           2
        .value_kind:     hidden_grid_dims
    .group_segment_fixed_size: 0
    .kernarg_segment_align: 8
    .kernarg_segment_size: 3408
    .language:       OpenCL C
    .language_version:
      - 2
      - 0
    .max_flat_workgroup_size: 512
    .name:           _ZN2at6native12_GLOBAL__N_125multi_tensor_apply_kernelINS1_18TensorListMetadataILi2EEENS1_24BinaryOpListAlphaFunctorIhLi2ELi2ELi0EEEJSt4plusIhEhEEEvT_T0_DpT1_
    .private_segment_fixed_size: 0
    .sgpr_count:     22
    .sgpr_spill_count: 0
    .symbol:         _ZN2at6native12_GLOBAL__N_125multi_tensor_apply_kernelINS1_18TensorListMetadataILi2EEENS1_24BinaryOpListAlphaFunctorIhLi2ELi2ELi0EEEJSt4plusIhEhEEEvT_T0_DpT1_.kd
    .uniform_work_group_size: 1
    .uses_dynamic_stack: false
    .vgpr_count:     31
    .vgpr_spill_count: 0
    .wavefront_size: 32
    .workgroup_processor_mode: 1
  - .args:
      - .offset:         0
        .size:           3144
        .value_kind:     by_value
      - .offset:         3144
        .size:           1
        .value_kind:     by_value
      - .offset:         3145
        .size:           1
        .value_kind:     by_value
      - .offset:         3146
        .size:           1
        .value_kind:     by_value
      - .offset:         3152
        .size:           4
        .value_kind:     hidden_block_count_x
      - .offset:         3156
        .size:           4
        .value_kind:     hidden_block_count_y
      - .offset:         3160
        .size:           4
        .value_kind:     hidden_block_count_z
      - .offset:         3164
        .size:           2
        .value_kind:     hidden_group_size_x
      - .offset:         3166
        .size:           2
        .value_kind:     hidden_group_size_y
      - .offset:         3168
        .size:           2
        .value_kind:     hidden_group_size_z
      - .offset:         3170
        .size:           2
        .value_kind:     hidden_remainder_x
      - .offset:         3172
        .size:           2
        .value_kind:     hidden_remainder_y
      - .offset:         3174
        .size:           2
        .value_kind:     hidden_remainder_z
      - .offset:         3192
        .size:           8
        .value_kind:     hidden_global_offset_x
      - .offset:         3200
        .size:           8
        .value_kind:     hidden_global_offset_y
      - .offset:         3208
        .size:           8
        .value_kind:     hidden_global_offset_z
      - .offset:         3216
        .size:           2
        .value_kind:     hidden_grid_dims
    .group_segment_fixed_size: 0
    .kernarg_segment_align: 8
    .kernarg_segment_size: 3408
    .language:       OpenCL C
    .language_version:
      - 2
      - 0
    .max_flat_workgroup_size: 512
    .name:           _ZN2at6native12_GLOBAL__N_125multi_tensor_apply_kernelINS1_18TensorListMetadataILi2EEENS1_24BinaryOpListAlphaFunctorIaLi2ELi2ELi0EEEJSt4plusIaEaEEEvT_T0_DpT1_
    .private_segment_fixed_size: 0
    .sgpr_count:     22
    .sgpr_spill_count: 0
    .symbol:         _ZN2at6native12_GLOBAL__N_125multi_tensor_apply_kernelINS1_18TensorListMetadataILi2EEENS1_24BinaryOpListAlphaFunctorIaLi2ELi2ELi0EEEJSt4plusIaEaEEEvT_T0_DpT1_.kd
    .uniform_work_group_size: 1
    .uses_dynamic_stack: false
    .vgpr_count:     31
    .vgpr_spill_count: 0
    .wavefront_size: 32
    .workgroup_processor_mode: 1
  - .args:
      - .offset:         0
        .size:           3144
        .value_kind:     by_value
      - .offset:         3144
        .size:           1
        .value_kind:     by_value
      - .offset:         3145
        .size:           1
        .value_kind:     by_value
      - .offset:         3148
        .size:           4
        .value_kind:     by_value
      - .offset:         3152
        .size:           4
        .value_kind:     hidden_block_count_x
      - .offset:         3156
        .size:           4
        .value_kind:     hidden_block_count_y
      - .offset:         3160
        .size:           4
        .value_kind:     hidden_block_count_z
      - .offset:         3164
        .size:           2
        .value_kind:     hidden_group_size_x
      - .offset:         3166
        .size:           2
        .value_kind:     hidden_group_size_y
      - .offset:         3168
        .size:           2
        .value_kind:     hidden_group_size_z
      - .offset:         3170
        .size:           2
        .value_kind:     hidden_remainder_x
      - .offset:         3172
        .size:           2
        .value_kind:     hidden_remainder_y
      - .offset:         3174
        .size:           2
        .value_kind:     hidden_remainder_z
      - .offset:         3192
        .size:           8
        .value_kind:     hidden_global_offset_x
      - .offset:         3200
        .size:           8
        .value_kind:     hidden_global_offset_y
      - .offset:         3208
        .size:           8
        .value_kind:     hidden_global_offset_z
      - .offset:         3216
        .size:           2
        .value_kind:     hidden_grid_dims
    .group_segment_fixed_size: 0
    .kernarg_segment_align: 8
    .kernarg_segment_size: 3408
    .language:       OpenCL C
    .language_version:
      - 2
      - 0
    .max_flat_workgroup_size: 512
    .name:           _ZN2at6native12_GLOBAL__N_125multi_tensor_apply_kernelINS1_18TensorListMetadataILi2EEENS1_24BinaryOpListAlphaFunctorIiLi2ELi2ELi0EEEJSt4plusIiEiEEEvT_T0_DpT1_
    .private_segment_fixed_size: 0
    .sgpr_count:     26
    .sgpr_spill_count: 0
    .symbol:         _ZN2at6native12_GLOBAL__N_125multi_tensor_apply_kernelINS1_18TensorListMetadataILi2EEENS1_24BinaryOpListAlphaFunctorIiLi2ELi2ELi0EEEJSt4plusIiEiEEEvT_T0_DpT1_.kd
    .uniform_work_group_size: 1
    .uses_dynamic_stack: false
    .vgpr_count:     34
    .vgpr_spill_count: 0
    .wavefront_size: 32
    .workgroup_processor_mode: 1
  - .args:
      - .offset:         0
        .size:           3144
        .value_kind:     by_value
      - .offset:         3144
        .size:           1
        .value_kind:     by_value
      - .offset:         3145
        .size:           1
        .value_kind:     by_value
      - .offset:         3152
        .size:           8
        .value_kind:     by_value
      - .offset:         3160
        .size:           4
        .value_kind:     hidden_block_count_x
      - .offset:         3164
        .size:           4
        .value_kind:     hidden_block_count_y
      - .offset:         3168
        .size:           4
        .value_kind:     hidden_block_count_z
      - .offset:         3172
        .size:           2
        .value_kind:     hidden_group_size_x
      - .offset:         3174
        .size:           2
        .value_kind:     hidden_group_size_y
      - .offset:         3176
        .size:           2
        .value_kind:     hidden_group_size_z
      - .offset:         3178
        .size:           2
        .value_kind:     hidden_remainder_x
      - .offset:         3180
        .size:           2
        .value_kind:     hidden_remainder_y
      - .offset:         3182
        .size:           2
        .value_kind:     hidden_remainder_z
      - .offset:         3200
        .size:           8
        .value_kind:     hidden_global_offset_x
      - .offset:         3208
        .size:           8
        .value_kind:     hidden_global_offset_y
      - .offset:         3216
        .size:           8
        .value_kind:     hidden_global_offset_z
      - .offset:         3224
        .size:           2
        .value_kind:     hidden_grid_dims
    .group_segment_fixed_size: 0
    .kernarg_segment_align: 8
    .kernarg_segment_size: 3416
    .language:       OpenCL C
    .language_version:
      - 2
      - 0
    .max_flat_workgroup_size: 512
    .name:           _ZN2at6native12_GLOBAL__N_125multi_tensor_apply_kernelINS1_18TensorListMetadataILi2EEENS1_24BinaryOpListAlphaFunctorIlLi2ELi2ELi0EEEJSt4plusIlElEEEvT_T0_DpT1_
    .private_segment_fixed_size: 0
    .sgpr_count:     26
    .sgpr_spill_count: 0
    .symbol:         _ZN2at6native12_GLOBAL__N_125multi_tensor_apply_kernelINS1_18TensorListMetadataILi2EEENS1_24BinaryOpListAlphaFunctorIlLi2ELi2ELi0EEEJSt4plusIlElEEEvT_T0_DpT1_.kd
    .uniform_work_group_size: 1
    .uses_dynamic_stack: false
    .vgpr_count:     41
    .vgpr_spill_count: 0
    .wavefront_size: 32
    .workgroup_processor_mode: 1
  - .args:
      - .offset:         0
        .size:           3144
        .value_kind:     by_value
      - .offset:         3144
        .size:           1
        .value_kind:     by_value
      - .offset:         3145
        .size:           1
        .value_kind:     by_value
      - .offset:         3146
        .size:           2
        .value_kind:     by_value
      - .offset:         3152
        .size:           4
        .value_kind:     hidden_block_count_x
      - .offset:         3156
        .size:           4
        .value_kind:     hidden_block_count_y
      - .offset:         3160
        .size:           4
        .value_kind:     hidden_block_count_z
      - .offset:         3164
        .size:           2
        .value_kind:     hidden_group_size_x
      - .offset:         3166
        .size:           2
        .value_kind:     hidden_group_size_y
      - .offset:         3168
        .size:           2
        .value_kind:     hidden_group_size_z
      - .offset:         3170
        .size:           2
        .value_kind:     hidden_remainder_x
      - .offset:         3172
        .size:           2
        .value_kind:     hidden_remainder_y
      - .offset:         3174
        .size:           2
        .value_kind:     hidden_remainder_z
      - .offset:         3192
        .size:           8
        .value_kind:     hidden_global_offset_x
      - .offset:         3200
        .size:           8
        .value_kind:     hidden_global_offset_y
      - .offset:         3208
        .size:           8
        .value_kind:     hidden_global_offset_z
      - .offset:         3216
        .size:           2
        .value_kind:     hidden_grid_dims
    .group_segment_fixed_size: 0
    .kernarg_segment_align: 8
    .kernarg_segment_size: 3408
    .language:       OpenCL C
    .language_version:
      - 2
      - 0
    .max_flat_workgroup_size: 512
    .name:           _ZN2at6native12_GLOBAL__N_125multi_tensor_apply_kernelINS1_18TensorListMetadataILi2EEENS1_24BinaryOpListAlphaFunctorIsLi2ELi2ELi0EEEJSt4plusIsEsEEEvT_T0_DpT1_
    .private_segment_fixed_size: 0
    .sgpr_count:     22
    .sgpr_spill_count: 0
    .symbol:         _ZN2at6native12_GLOBAL__N_125multi_tensor_apply_kernelINS1_18TensorListMetadataILi2EEENS1_24BinaryOpListAlphaFunctorIsLi2ELi2ELi0EEEJSt4plusIsEsEEEvT_T0_DpT1_.kd
    .uniform_work_group_size: 1
    .uses_dynamic_stack: false
    .vgpr_count:     31
    .vgpr_spill_count: 0
    .wavefront_size: 32
    .workgroup_processor_mode: 1
  - .args:
      - .offset:         0
        .size:           3144
        .value_kind:     by_value
      - .offset:         3144
        .size:           1
        .value_kind:     by_value
      - .offset:         3145
        .size:           1
        .value_kind:     by_value
      - .offset:         3152
        .size:           8
        .value_kind:     by_value
      - .offset:         3160
        .size:           4
        .value_kind:     hidden_block_count_x
      - .offset:         3164
        .size:           4
        .value_kind:     hidden_block_count_y
      - .offset:         3168
        .size:           4
        .value_kind:     hidden_block_count_z
      - .offset:         3172
        .size:           2
        .value_kind:     hidden_group_size_x
      - .offset:         3174
        .size:           2
        .value_kind:     hidden_group_size_y
      - .offset:         3176
        .size:           2
        .value_kind:     hidden_group_size_z
      - .offset:         3178
        .size:           2
        .value_kind:     hidden_remainder_x
      - .offset:         3180
        .size:           2
        .value_kind:     hidden_remainder_y
      - .offset:         3182
        .size:           2
        .value_kind:     hidden_remainder_z
      - .offset:         3200
        .size:           8
        .value_kind:     hidden_global_offset_x
      - .offset:         3208
        .size:           8
        .value_kind:     hidden_global_offset_y
      - .offset:         3216
        .size:           8
        .value_kind:     hidden_global_offset_z
      - .offset:         3224
        .size:           2
        .value_kind:     hidden_grid_dims
    .group_segment_fixed_size: 0
    .kernarg_segment_align: 8
    .kernarg_segment_size: 3416
    .language:       OpenCL C
    .language_version:
      - 2
      - 0
    .max_flat_workgroup_size: 512
    .name:           _ZN2at6native12_GLOBAL__N_125multi_tensor_apply_kernelINS1_18TensorListMetadataILi2EEENS1_24BinaryOpListAlphaFunctorIdLi2ELi2ELi0EEEJSt4plusIdEdEEEvT_T0_DpT1_
    .private_segment_fixed_size: 0
    .sgpr_count:     26
    .sgpr_spill_count: 0
    .symbol:         _ZN2at6native12_GLOBAL__N_125multi_tensor_apply_kernelINS1_18TensorListMetadataILi2EEENS1_24BinaryOpListAlphaFunctorIdLi2ELi2ELi0EEEJSt4plusIdEdEEEvT_T0_DpT1_.kd
    .uniform_work_group_size: 1
    .uses_dynamic_stack: false
    .vgpr_count:     39
    .vgpr_spill_count: 0
    .wavefront_size: 32
    .workgroup_processor_mode: 1
  - .args:
      - .offset:         0
        .size:           3144
        .value_kind:     by_value
      - .offset:         3144
        .size:           1
        .value_kind:     by_value
      - .offset:         3145
        .size:           1
        .value_kind:     by_value
      - .offset:         3148
        .size:           4
        .value_kind:     by_value
      - .offset:         3152
        .size:           4
        .value_kind:     hidden_block_count_x
      - .offset:         3156
        .size:           4
        .value_kind:     hidden_block_count_y
      - .offset:         3160
        .size:           4
        .value_kind:     hidden_block_count_z
      - .offset:         3164
        .size:           2
        .value_kind:     hidden_group_size_x
      - .offset:         3166
        .size:           2
        .value_kind:     hidden_group_size_y
      - .offset:         3168
        .size:           2
        .value_kind:     hidden_group_size_z
      - .offset:         3170
        .size:           2
        .value_kind:     hidden_remainder_x
      - .offset:         3172
        .size:           2
        .value_kind:     hidden_remainder_y
      - .offset:         3174
        .size:           2
        .value_kind:     hidden_remainder_z
      - .offset:         3192
        .size:           8
        .value_kind:     hidden_global_offset_x
      - .offset:         3200
        .size:           8
        .value_kind:     hidden_global_offset_y
      - .offset:         3208
        .size:           8
        .value_kind:     hidden_global_offset_z
      - .offset:         3216
        .size:           2
        .value_kind:     hidden_grid_dims
    .group_segment_fixed_size: 0
    .kernarg_segment_align: 8
    .kernarg_segment_size: 3408
    .language:       OpenCL C
    .language_version:
      - 2
      - 0
    .max_flat_workgroup_size: 512
    .name:           _ZN2at6native12_GLOBAL__N_125multi_tensor_apply_kernelINS1_18TensorListMetadataILi2EEENS1_24BinaryOpListAlphaFunctorIfLi2ELi2ELi0EEEJSt4plusIfEfEEEvT_T0_DpT1_
    .private_segment_fixed_size: 0
    .sgpr_count:     26
    .sgpr_spill_count: 0
    .symbol:         _ZN2at6native12_GLOBAL__N_125multi_tensor_apply_kernelINS1_18TensorListMetadataILi2EEENS1_24BinaryOpListAlphaFunctorIfLi2ELi2ELi0EEEJSt4plusIfEfEEEvT_T0_DpT1_.kd
    .uniform_work_group_size: 1
    .uses_dynamic_stack: false
    .vgpr_count:     33
    .vgpr_spill_count: 0
    .wavefront_size: 32
    .workgroup_processor_mode: 1
  - .args:
      - .offset:         0
        .size:           3144
        .value_kind:     by_value
      - .offset:         3144
        .size:           1
        .value_kind:     by_value
      - .offset:         3145
        .size:           1
        .value_kind:     by_value
      - .offset:         3152
        .size:           16
        .value_kind:     by_value
      - .offset:         3168
        .size:           4
        .value_kind:     hidden_block_count_x
      - .offset:         3172
        .size:           4
        .value_kind:     hidden_block_count_y
      - .offset:         3176
        .size:           4
        .value_kind:     hidden_block_count_z
      - .offset:         3180
        .size:           2
        .value_kind:     hidden_group_size_x
      - .offset:         3182
        .size:           2
        .value_kind:     hidden_group_size_y
      - .offset:         3184
        .size:           2
        .value_kind:     hidden_group_size_z
      - .offset:         3186
        .size:           2
        .value_kind:     hidden_remainder_x
      - .offset:         3188
        .size:           2
        .value_kind:     hidden_remainder_y
      - .offset:         3190
        .size:           2
        .value_kind:     hidden_remainder_z
      - .offset:         3208
        .size:           8
        .value_kind:     hidden_global_offset_x
      - .offset:         3216
        .size:           8
        .value_kind:     hidden_global_offset_y
      - .offset:         3224
        .size:           8
        .value_kind:     hidden_global_offset_z
      - .offset:         3232
        .size:           2
        .value_kind:     hidden_grid_dims
    .group_segment_fixed_size: 0
    .kernarg_segment_align: 16
    .kernarg_segment_size: 3424
    .language:       OpenCL C
    .language_version:
      - 2
      - 0
    .max_flat_workgroup_size: 512
    .name:           _ZN2at6native12_GLOBAL__N_125multi_tensor_apply_kernelINS1_18TensorListMetadataILi2EEENS1_24BinaryOpListAlphaFunctorIN3c107complexIdEELi2ELi2ELi0EEEJSt4plusIS8_ES8_EEEvT_T0_DpT1_
    .private_segment_fixed_size: 0
    .sgpr_count:     28
    .sgpr_spill_count: 0
    .symbol:         _ZN2at6native12_GLOBAL__N_125multi_tensor_apply_kernelINS1_18TensorListMetadataILi2EEENS1_24BinaryOpListAlphaFunctorIN3c107complexIdEELi2ELi2ELi0EEEJSt4plusIS8_ES8_EEEvT_T0_DpT1_.kd
    .uniform_work_group_size: 1
    .uses_dynamic_stack: false
    .vgpr_count:     54
    .vgpr_spill_count: 0
    .wavefront_size: 32
    .workgroup_processor_mode: 1
  - .args:
      - .offset:         0
        .size:           3144
        .value_kind:     by_value
      - .offset:         3144
        .size:           1
        .value_kind:     by_value
      - .offset:         3145
        .size:           1
        .value_kind:     by_value
      - .offset:         3152
        .size:           8
        .value_kind:     by_value
      - .offset:         3160
        .size:           4
        .value_kind:     hidden_block_count_x
      - .offset:         3164
        .size:           4
        .value_kind:     hidden_block_count_y
      - .offset:         3168
        .size:           4
        .value_kind:     hidden_block_count_z
      - .offset:         3172
        .size:           2
        .value_kind:     hidden_group_size_x
      - .offset:         3174
        .size:           2
        .value_kind:     hidden_group_size_y
      - .offset:         3176
        .size:           2
        .value_kind:     hidden_group_size_z
      - .offset:         3178
        .size:           2
        .value_kind:     hidden_remainder_x
      - .offset:         3180
        .size:           2
        .value_kind:     hidden_remainder_y
      - .offset:         3182
        .size:           2
        .value_kind:     hidden_remainder_z
      - .offset:         3200
        .size:           8
        .value_kind:     hidden_global_offset_x
      - .offset:         3208
        .size:           8
        .value_kind:     hidden_global_offset_y
      - .offset:         3216
        .size:           8
        .value_kind:     hidden_global_offset_z
      - .offset:         3224
        .size:           2
        .value_kind:     hidden_grid_dims
    .group_segment_fixed_size: 0
    .kernarg_segment_align: 8
    .kernarg_segment_size: 3416
    .language:       OpenCL C
    .language_version:
      - 2
      - 0
    .max_flat_workgroup_size: 512
    .name:           _ZN2at6native12_GLOBAL__N_125multi_tensor_apply_kernelINS1_18TensorListMetadataILi2EEENS1_24BinaryOpListAlphaFunctorIN3c107complexIfEELi2ELi2ELi0EEEJSt4plusIS8_ES8_EEEvT_T0_DpT1_
    .private_segment_fixed_size: 0
    .sgpr_count:     26
    .sgpr_spill_count: 0
    .symbol:         _ZN2at6native12_GLOBAL__N_125multi_tensor_apply_kernelINS1_18TensorListMetadataILi2EEENS1_24BinaryOpListAlphaFunctorIN3c107complexIfEELi2ELi2ELi0EEEJSt4plusIS8_ES8_EEEvT_T0_DpT1_.kd
    .uniform_work_group_size: 1
    .uses_dynamic_stack: false
    .vgpr_count:     36
    .vgpr_spill_count: 0
    .wavefront_size: 32
    .workgroup_processor_mode: 1
  - .args:
      - .offset:         0
        .size:           3144
        .value_kind:     by_value
      - .offset:         3144
        .size:           1
        .value_kind:     by_value
      - .offset:         3145
        .size:           1
        .value_kind:     by_value
      - .offset:         3146
        .size:           1
        .value_kind:     by_value
      - .offset:         3152
        .size:           4
        .value_kind:     hidden_block_count_x
      - .offset:         3156
        .size:           4
        .value_kind:     hidden_block_count_y
      - .offset:         3160
        .size:           4
        .value_kind:     hidden_block_count_z
      - .offset:         3164
        .size:           2
        .value_kind:     hidden_group_size_x
      - .offset:         3166
        .size:           2
        .value_kind:     hidden_group_size_y
      - .offset:         3168
        .size:           2
        .value_kind:     hidden_group_size_z
      - .offset:         3170
        .size:           2
        .value_kind:     hidden_remainder_x
      - .offset:         3172
        .size:           2
        .value_kind:     hidden_remainder_y
      - .offset:         3174
        .size:           2
        .value_kind:     hidden_remainder_z
      - .offset:         3192
        .size:           8
        .value_kind:     hidden_global_offset_x
      - .offset:         3200
        .size:           8
        .value_kind:     hidden_global_offset_y
      - .offset:         3208
        .size:           8
        .value_kind:     hidden_global_offset_z
      - .offset:         3216
        .size:           2
        .value_kind:     hidden_grid_dims
    .group_segment_fixed_size: 0
    .kernarg_segment_align: 8
    .kernarg_segment_size: 3408
    .language:       OpenCL C
    .language_version:
      - 2
      - 0
    .max_flat_workgroup_size: 512
    .name:           _ZN2at6native12_GLOBAL__N_125multi_tensor_apply_kernelINS1_18TensorListMetadataILi2EEENS1_24BinaryOpListAlphaFunctorIbLi2ELi2ELi0EEEJSt4plusIbEbEEEvT_T0_DpT1_
    .private_segment_fixed_size: 0
    .sgpr_count:     25
    .sgpr_spill_count: 0
    .symbol:         _ZN2at6native12_GLOBAL__N_125multi_tensor_apply_kernelINS1_18TensorListMetadataILi2EEENS1_24BinaryOpListAlphaFunctorIbLi2ELi2ELi0EEEJSt4plusIbEbEEEvT_T0_DpT1_.kd
    .uniform_work_group_size: 1
    .uses_dynamic_stack: false
    .vgpr_count:     31
    .vgpr_spill_count: 0
    .wavefront_size: 32
    .workgroup_processor_mode: 1
  - .args:
      - .offset:         0
        .size:           3144
        .value_kind:     by_value
      - .offset:         3144
        .size:           1
        .value_kind:     by_value
      - .offset:         3145
        .size:           1
        .value_kind:     by_value
      - .offset:         3148
        .size:           4
        .value_kind:     by_value
      - .offset:         3152
        .size:           4
        .value_kind:     hidden_block_count_x
      - .offset:         3156
        .size:           4
        .value_kind:     hidden_block_count_y
      - .offset:         3160
        .size:           4
        .value_kind:     hidden_block_count_z
      - .offset:         3164
        .size:           2
        .value_kind:     hidden_group_size_x
      - .offset:         3166
        .size:           2
        .value_kind:     hidden_group_size_y
      - .offset:         3168
        .size:           2
        .value_kind:     hidden_group_size_z
      - .offset:         3170
        .size:           2
        .value_kind:     hidden_remainder_x
      - .offset:         3172
        .size:           2
        .value_kind:     hidden_remainder_y
      - .offset:         3174
        .size:           2
        .value_kind:     hidden_remainder_z
      - .offset:         3192
        .size:           8
        .value_kind:     hidden_global_offset_x
      - .offset:         3200
        .size:           8
        .value_kind:     hidden_global_offset_y
      - .offset:         3208
        .size:           8
        .value_kind:     hidden_global_offset_z
      - .offset:         3216
        .size:           2
        .value_kind:     hidden_grid_dims
    .group_segment_fixed_size: 0
    .kernarg_segment_align: 8
    .kernarg_segment_size: 3408
    .language:       OpenCL C
    .language_version:
      - 2
      - 0
    .max_flat_workgroup_size: 512
    .name:           _ZN2at6native12_GLOBAL__N_125multi_tensor_apply_kernelINS1_18TensorListMetadataILi2EEENS1_24BinaryOpListAlphaFunctorIN3c108BFloat16ELi2ELi2ELi0EEEJSt4plusIfEfEEEvT_T0_DpT1_
    .private_segment_fixed_size: 0
    .sgpr_count:     22
    .sgpr_spill_count: 0
    .symbol:         _ZN2at6native12_GLOBAL__N_125multi_tensor_apply_kernelINS1_18TensorListMetadataILi2EEENS1_24BinaryOpListAlphaFunctorIN3c108BFloat16ELi2ELi2ELi0EEEJSt4plusIfEfEEEvT_T0_DpT1_.kd
    .uniform_work_group_size: 1
    .uses_dynamic_stack: false
    .vgpr_count:     32
    .vgpr_spill_count: 0
    .wavefront_size: 32
    .workgroup_processor_mode: 1
  - .args:
      - .offset:         0
        .size:           3144
        .value_kind:     by_value
      - .offset:         3144
        .size:           1
        .value_kind:     by_value
      - .offset:         3145
        .size:           1
        .value_kind:     by_value
      - .offset:         3148
        .size:           4
        .value_kind:     by_value
      - .offset:         3152
        .size:           4
        .value_kind:     hidden_block_count_x
      - .offset:         3156
        .size:           4
        .value_kind:     hidden_block_count_y
      - .offset:         3160
        .size:           4
        .value_kind:     hidden_block_count_z
      - .offset:         3164
        .size:           2
        .value_kind:     hidden_group_size_x
      - .offset:         3166
        .size:           2
        .value_kind:     hidden_group_size_y
      - .offset:         3168
        .size:           2
        .value_kind:     hidden_group_size_z
      - .offset:         3170
        .size:           2
        .value_kind:     hidden_remainder_x
      - .offset:         3172
        .size:           2
        .value_kind:     hidden_remainder_y
      - .offset:         3174
        .size:           2
        .value_kind:     hidden_remainder_z
      - .offset:         3192
        .size:           8
        .value_kind:     hidden_global_offset_x
      - .offset:         3200
        .size:           8
        .value_kind:     hidden_global_offset_y
      - .offset:         3208
        .size:           8
        .value_kind:     hidden_global_offset_z
      - .offset:         3216
        .size:           2
        .value_kind:     hidden_grid_dims
    .group_segment_fixed_size: 0
    .kernarg_segment_align: 8
    .kernarg_segment_size: 3408
    .language:       OpenCL C
    .language_version:
      - 2
      - 0
    .max_flat_workgroup_size: 512
    .name:           _ZN2at6native12_GLOBAL__N_125multi_tensor_apply_kernelINS1_18TensorListMetadataILi2EEENS1_24BinaryOpListAlphaFunctorIN3c104HalfELi2ELi2ELi0EEEJSt4plusIfEfEEEvT_T0_DpT1_
    .private_segment_fixed_size: 0
    .sgpr_count:     26
    .sgpr_spill_count: 0
    .symbol:         _ZN2at6native12_GLOBAL__N_125multi_tensor_apply_kernelINS1_18TensorListMetadataILi2EEENS1_24BinaryOpListAlphaFunctorIN3c104HalfELi2ELi2ELi0EEEJSt4plusIfEfEEEvT_T0_DpT1_.kd
    .uniform_work_group_size: 1
    .uses_dynamic_stack: false
    .vgpr_count:     33
    .vgpr_spill_count: 0
    .wavefront_size: 32
    .workgroup_processor_mode: 1
  - .args:
      - .offset:         0
        .size:           3144
        .value_kind:     by_value
      - .offset:         3144
        .size:           1
        .value_kind:     by_value
      - .offset:         3145
        .size:           1
        .value_kind:     by_value
      - .offset:         3146
        .size:           1
        .value_kind:     by_value
      - .offset:         3152
        .size:           4
        .value_kind:     hidden_block_count_x
      - .offset:         3156
        .size:           4
        .value_kind:     hidden_block_count_y
      - .offset:         3160
        .size:           4
        .value_kind:     hidden_block_count_z
      - .offset:         3164
        .size:           2
        .value_kind:     hidden_group_size_x
      - .offset:         3166
        .size:           2
        .value_kind:     hidden_group_size_y
      - .offset:         3168
        .size:           2
        .value_kind:     hidden_group_size_z
      - .offset:         3170
        .size:           2
        .value_kind:     hidden_remainder_x
      - .offset:         3172
        .size:           2
        .value_kind:     hidden_remainder_y
      - .offset:         3174
        .size:           2
        .value_kind:     hidden_remainder_z
      - .offset:         3192
        .size:           8
        .value_kind:     hidden_global_offset_x
      - .offset:         3200
        .size:           8
        .value_kind:     hidden_global_offset_y
      - .offset:         3208
        .size:           8
        .value_kind:     hidden_global_offset_z
      - .offset:         3216
        .size:           2
        .value_kind:     hidden_grid_dims
    .group_segment_fixed_size: 0
    .kernarg_segment_align: 8
    .kernarg_segment_size: 3408
    .language:       OpenCL C
    .language_version:
      - 2
      - 0
    .max_flat_workgroup_size: 512
    .name:           _ZN2at6native12_GLOBAL__N_125multi_tensor_apply_kernelINS1_18TensorListMetadataILi3EEENS1_24BinaryOpListAlphaFunctorIhLi3ELi2ELi2EEEJSt4plusIhEhEEEvT_T0_DpT1_
    .private_segment_fixed_size: 0
    .sgpr_count:     26
    .sgpr_spill_count: 0
    .symbol:         _ZN2at6native12_GLOBAL__N_125multi_tensor_apply_kernelINS1_18TensorListMetadataILi3EEENS1_24BinaryOpListAlphaFunctorIhLi3ELi2ELi2EEEJSt4plusIhEhEEEvT_T0_DpT1_.kd
    .uniform_work_group_size: 1
    .uses_dynamic_stack: false
    .vgpr_count:     39
    .vgpr_spill_count: 0
    .wavefront_size: 32
    .workgroup_processor_mode: 1
  - .args:
      - .offset:         0
        .size:           3144
        .value_kind:     by_value
      - .offset:         3144
        .size:           1
        .value_kind:     by_value
      - .offset:         3145
        .size:           1
        .value_kind:     by_value
      - .offset:         3146
        .size:           1
        .value_kind:     by_value
      - .offset:         3152
        .size:           4
        .value_kind:     hidden_block_count_x
      - .offset:         3156
        .size:           4
        .value_kind:     hidden_block_count_y
      - .offset:         3160
        .size:           4
        .value_kind:     hidden_block_count_z
      - .offset:         3164
        .size:           2
        .value_kind:     hidden_group_size_x
      - .offset:         3166
        .size:           2
        .value_kind:     hidden_group_size_y
      - .offset:         3168
        .size:           2
        .value_kind:     hidden_group_size_z
      - .offset:         3170
        .size:           2
        .value_kind:     hidden_remainder_x
      - .offset:         3172
        .size:           2
        .value_kind:     hidden_remainder_y
      - .offset:         3174
        .size:           2
        .value_kind:     hidden_remainder_z
      - .offset:         3192
        .size:           8
        .value_kind:     hidden_global_offset_x
      - .offset:         3200
        .size:           8
        .value_kind:     hidden_global_offset_y
      - .offset:         3208
        .size:           8
        .value_kind:     hidden_global_offset_z
      - .offset:         3216
        .size:           2
        .value_kind:     hidden_grid_dims
    .group_segment_fixed_size: 0
    .kernarg_segment_align: 8
    .kernarg_segment_size: 3408
    .language:       OpenCL C
    .language_version:
      - 2
      - 0
    .max_flat_workgroup_size: 512
    .name:           _ZN2at6native12_GLOBAL__N_125multi_tensor_apply_kernelINS1_18TensorListMetadataILi3EEENS1_24BinaryOpListAlphaFunctorIaLi3ELi2ELi2EEEJSt4plusIaEaEEEvT_T0_DpT1_
    .private_segment_fixed_size: 0
    .sgpr_count:     26
    .sgpr_spill_count: 0
    .symbol:         _ZN2at6native12_GLOBAL__N_125multi_tensor_apply_kernelINS1_18TensorListMetadataILi3EEENS1_24BinaryOpListAlphaFunctorIaLi3ELi2ELi2EEEJSt4plusIaEaEEEvT_T0_DpT1_.kd
    .uniform_work_group_size: 1
    .uses_dynamic_stack: false
    .vgpr_count:     39
    .vgpr_spill_count: 0
    .wavefront_size: 32
    .workgroup_processor_mode: 1
  - .args:
      - .offset:         0
        .size:           3144
        .value_kind:     by_value
      - .offset:         3144
        .size:           1
        .value_kind:     by_value
      - .offset:         3145
        .size:           1
        .value_kind:     by_value
      - .offset:         3148
        .size:           4
        .value_kind:     by_value
      - .offset:         3152
        .size:           4
        .value_kind:     hidden_block_count_x
      - .offset:         3156
        .size:           4
        .value_kind:     hidden_block_count_y
      - .offset:         3160
        .size:           4
        .value_kind:     hidden_block_count_z
      - .offset:         3164
        .size:           2
        .value_kind:     hidden_group_size_x
      - .offset:         3166
        .size:           2
        .value_kind:     hidden_group_size_y
      - .offset:         3168
        .size:           2
        .value_kind:     hidden_group_size_z
      - .offset:         3170
        .size:           2
        .value_kind:     hidden_remainder_x
      - .offset:         3172
        .size:           2
        .value_kind:     hidden_remainder_y
      - .offset:         3174
        .size:           2
        .value_kind:     hidden_remainder_z
      - .offset:         3192
        .size:           8
        .value_kind:     hidden_global_offset_x
      - .offset:         3200
        .size:           8
        .value_kind:     hidden_global_offset_y
      - .offset:         3208
        .size:           8
        .value_kind:     hidden_global_offset_z
      - .offset:         3216
        .size:           2
        .value_kind:     hidden_grid_dims
    .group_segment_fixed_size: 0
    .kernarg_segment_align: 8
    .kernarg_segment_size: 3408
    .language:       OpenCL C
    .language_version:
      - 2
      - 0
    .max_flat_workgroup_size: 512
    .name:           _ZN2at6native12_GLOBAL__N_125multi_tensor_apply_kernelINS1_18TensorListMetadataILi3EEENS1_24BinaryOpListAlphaFunctorIiLi3ELi2ELi2EEEJSt4plusIiEiEEEvT_T0_DpT1_
    .private_segment_fixed_size: 0
    .sgpr_count:     30
    .sgpr_spill_count: 0
    .symbol:         _ZN2at6native12_GLOBAL__N_125multi_tensor_apply_kernelINS1_18TensorListMetadataILi3EEENS1_24BinaryOpListAlphaFunctorIiLi3ELi2ELi2EEEJSt4plusIiEiEEEvT_T0_DpT1_.kd
    .uniform_work_group_size: 1
    .uses_dynamic_stack: false
    .vgpr_count:     42
    .vgpr_spill_count: 0
    .wavefront_size: 32
    .workgroup_processor_mode: 1
  - .args:
      - .offset:         0
        .size:           3144
        .value_kind:     by_value
      - .offset:         3144
        .size:           1
        .value_kind:     by_value
      - .offset:         3145
        .size:           1
        .value_kind:     by_value
      - .offset:         3152
        .size:           8
        .value_kind:     by_value
      - .offset:         3160
        .size:           4
        .value_kind:     hidden_block_count_x
      - .offset:         3164
        .size:           4
        .value_kind:     hidden_block_count_y
      - .offset:         3168
        .size:           4
        .value_kind:     hidden_block_count_z
      - .offset:         3172
        .size:           2
        .value_kind:     hidden_group_size_x
      - .offset:         3174
        .size:           2
        .value_kind:     hidden_group_size_y
      - .offset:         3176
        .size:           2
        .value_kind:     hidden_group_size_z
      - .offset:         3178
        .size:           2
        .value_kind:     hidden_remainder_x
      - .offset:         3180
        .size:           2
        .value_kind:     hidden_remainder_y
      - .offset:         3182
        .size:           2
        .value_kind:     hidden_remainder_z
      - .offset:         3200
        .size:           8
        .value_kind:     hidden_global_offset_x
      - .offset:         3208
        .size:           8
        .value_kind:     hidden_global_offset_y
      - .offset:         3216
        .size:           8
        .value_kind:     hidden_global_offset_z
      - .offset:         3224
        .size:           2
        .value_kind:     hidden_grid_dims
    .group_segment_fixed_size: 0
    .kernarg_segment_align: 8
    .kernarg_segment_size: 3416
    .language:       OpenCL C
    .language_version:
      - 2
      - 0
    .max_flat_workgroup_size: 512
    .name:           _ZN2at6native12_GLOBAL__N_125multi_tensor_apply_kernelINS1_18TensorListMetadataILi3EEENS1_24BinaryOpListAlphaFunctorIlLi3ELi2ELi2EEEJSt4plusIlElEEEvT_T0_DpT1_
    .private_segment_fixed_size: 0
    .sgpr_count:     29
    .sgpr_spill_count: 0
    .symbol:         _ZN2at6native12_GLOBAL__N_125multi_tensor_apply_kernelINS1_18TensorListMetadataILi3EEENS1_24BinaryOpListAlphaFunctorIlLi3ELi2ELi2EEEJSt4plusIlElEEEvT_T0_DpT1_.kd
    .uniform_work_group_size: 1
    .uses_dynamic_stack: false
    .vgpr_count:     49
    .vgpr_spill_count: 0
    .wavefront_size: 32
    .workgroup_processor_mode: 1
  - .args:
      - .offset:         0
        .size:           3144
        .value_kind:     by_value
      - .offset:         3144
        .size:           1
        .value_kind:     by_value
      - .offset:         3145
        .size:           1
        .value_kind:     by_value
      - .offset:         3146
        .size:           2
        .value_kind:     by_value
      - .offset:         3152
        .size:           4
        .value_kind:     hidden_block_count_x
      - .offset:         3156
        .size:           4
        .value_kind:     hidden_block_count_y
      - .offset:         3160
        .size:           4
        .value_kind:     hidden_block_count_z
      - .offset:         3164
        .size:           2
        .value_kind:     hidden_group_size_x
      - .offset:         3166
        .size:           2
        .value_kind:     hidden_group_size_y
      - .offset:         3168
        .size:           2
        .value_kind:     hidden_group_size_z
      - .offset:         3170
        .size:           2
        .value_kind:     hidden_remainder_x
      - .offset:         3172
        .size:           2
        .value_kind:     hidden_remainder_y
      - .offset:         3174
        .size:           2
        .value_kind:     hidden_remainder_z
      - .offset:         3192
        .size:           8
        .value_kind:     hidden_global_offset_x
      - .offset:         3200
        .size:           8
        .value_kind:     hidden_global_offset_y
      - .offset:         3208
        .size:           8
        .value_kind:     hidden_global_offset_z
      - .offset:         3216
        .size:           2
        .value_kind:     hidden_grid_dims
    .group_segment_fixed_size: 0
    .kernarg_segment_align: 8
    .kernarg_segment_size: 3408
    .language:       OpenCL C
    .language_version:
      - 2
      - 0
    .max_flat_workgroup_size: 512
    .name:           _ZN2at6native12_GLOBAL__N_125multi_tensor_apply_kernelINS1_18TensorListMetadataILi3EEENS1_24BinaryOpListAlphaFunctorIsLi3ELi2ELi2EEEJSt4plusIsEsEEEvT_T0_DpT1_
    .private_segment_fixed_size: 0
    .sgpr_count:     24
    .sgpr_spill_count: 0
    .symbol:         _ZN2at6native12_GLOBAL__N_125multi_tensor_apply_kernelINS1_18TensorListMetadataILi3EEENS1_24BinaryOpListAlphaFunctorIsLi3ELi2ELi2EEEJSt4plusIsEsEEEvT_T0_DpT1_.kd
    .uniform_work_group_size: 1
    .uses_dynamic_stack: false
    .vgpr_count:     39
    .vgpr_spill_count: 0
    .wavefront_size: 32
    .workgroup_processor_mode: 1
  - .args:
      - .offset:         0
        .size:           3144
        .value_kind:     by_value
      - .offset:         3144
        .size:           1
        .value_kind:     by_value
      - .offset:         3145
        .size:           1
        .value_kind:     by_value
      - .offset:         3152
        .size:           8
        .value_kind:     by_value
      - .offset:         3160
        .size:           4
        .value_kind:     hidden_block_count_x
      - .offset:         3164
        .size:           4
        .value_kind:     hidden_block_count_y
      - .offset:         3168
        .size:           4
        .value_kind:     hidden_block_count_z
      - .offset:         3172
        .size:           2
        .value_kind:     hidden_group_size_x
      - .offset:         3174
        .size:           2
        .value_kind:     hidden_group_size_y
      - .offset:         3176
        .size:           2
        .value_kind:     hidden_group_size_z
      - .offset:         3178
        .size:           2
        .value_kind:     hidden_remainder_x
      - .offset:         3180
        .size:           2
        .value_kind:     hidden_remainder_y
      - .offset:         3182
        .size:           2
        .value_kind:     hidden_remainder_z
      - .offset:         3200
        .size:           8
        .value_kind:     hidden_global_offset_x
      - .offset:         3208
        .size:           8
        .value_kind:     hidden_global_offset_y
      - .offset:         3216
        .size:           8
        .value_kind:     hidden_global_offset_z
      - .offset:         3224
        .size:           2
        .value_kind:     hidden_grid_dims
    .group_segment_fixed_size: 0
    .kernarg_segment_align: 8
    .kernarg_segment_size: 3416
    .language:       OpenCL C
    .language_version:
      - 2
      - 0
    .max_flat_workgroup_size: 512
    .name:           _ZN2at6native12_GLOBAL__N_125multi_tensor_apply_kernelINS1_18TensorListMetadataILi3EEENS1_24BinaryOpListAlphaFunctorIdLi3ELi2ELi2EEEJSt4plusIdEdEEEvT_T0_DpT1_
    .private_segment_fixed_size: 0
    .sgpr_count:     29
    .sgpr_spill_count: 0
    .symbol:         _ZN2at6native12_GLOBAL__N_125multi_tensor_apply_kernelINS1_18TensorListMetadataILi3EEENS1_24BinaryOpListAlphaFunctorIdLi3ELi2ELi2EEEJSt4plusIdEdEEEvT_T0_DpT1_.kd
    .uniform_work_group_size: 1
    .uses_dynamic_stack: false
    .vgpr_count:     47
    .vgpr_spill_count: 0
    .wavefront_size: 32
    .workgroup_processor_mode: 1
  - .args:
      - .offset:         0
        .size:           3144
        .value_kind:     by_value
      - .offset:         3144
        .size:           1
        .value_kind:     by_value
      - .offset:         3145
        .size:           1
        .value_kind:     by_value
      - .offset:         3148
        .size:           4
        .value_kind:     by_value
      - .offset:         3152
        .size:           4
        .value_kind:     hidden_block_count_x
      - .offset:         3156
        .size:           4
        .value_kind:     hidden_block_count_y
      - .offset:         3160
        .size:           4
        .value_kind:     hidden_block_count_z
      - .offset:         3164
        .size:           2
        .value_kind:     hidden_group_size_x
      - .offset:         3166
        .size:           2
        .value_kind:     hidden_group_size_y
      - .offset:         3168
        .size:           2
        .value_kind:     hidden_group_size_z
      - .offset:         3170
        .size:           2
        .value_kind:     hidden_remainder_x
      - .offset:         3172
        .size:           2
        .value_kind:     hidden_remainder_y
      - .offset:         3174
        .size:           2
        .value_kind:     hidden_remainder_z
      - .offset:         3192
        .size:           8
        .value_kind:     hidden_global_offset_x
      - .offset:         3200
        .size:           8
        .value_kind:     hidden_global_offset_y
      - .offset:         3208
        .size:           8
        .value_kind:     hidden_global_offset_z
      - .offset:         3216
        .size:           2
        .value_kind:     hidden_grid_dims
    .group_segment_fixed_size: 0
    .kernarg_segment_align: 8
    .kernarg_segment_size: 3408
    .language:       OpenCL C
    .language_version:
      - 2
      - 0
    .max_flat_workgroup_size: 512
    .name:           _ZN2at6native12_GLOBAL__N_125multi_tensor_apply_kernelINS1_18TensorListMetadataILi3EEENS1_24BinaryOpListAlphaFunctorIfLi3ELi2ELi2EEEJSt4plusIfEfEEEvT_T0_DpT1_
    .private_segment_fixed_size: 0
    .sgpr_count:     30
    .sgpr_spill_count: 0
    .symbol:         _ZN2at6native12_GLOBAL__N_125multi_tensor_apply_kernelINS1_18TensorListMetadataILi3EEENS1_24BinaryOpListAlphaFunctorIfLi3ELi2ELi2EEEJSt4plusIfEfEEEvT_T0_DpT1_.kd
    .uniform_work_group_size: 1
    .uses_dynamic_stack: false
    .vgpr_count:     41
    .vgpr_spill_count: 0
    .wavefront_size: 32
    .workgroup_processor_mode: 1
  - .args:
      - .offset:         0
        .size:           3144
        .value_kind:     by_value
      - .offset:         3144
        .size:           1
        .value_kind:     by_value
      - .offset:         3145
        .size:           1
        .value_kind:     by_value
      - .offset:         3152
        .size:           16
        .value_kind:     by_value
      - .offset:         3168
        .size:           4
        .value_kind:     hidden_block_count_x
      - .offset:         3172
        .size:           4
        .value_kind:     hidden_block_count_y
      - .offset:         3176
        .size:           4
        .value_kind:     hidden_block_count_z
      - .offset:         3180
        .size:           2
        .value_kind:     hidden_group_size_x
      - .offset:         3182
        .size:           2
        .value_kind:     hidden_group_size_y
      - .offset:         3184
        .size:           2
        .value_kind:     hidden_group_size_z
      - .offset:         3186
        .size:           2
        .value_kind:     hidden_remainder_x
      - .offset:         3188
        .size:           2
        .value_kind:     hidden_remainder_y
      - .offset:         3190
        .size:           2
        .value_kind:     hidden_remainder_z
      - .offset:         3208
        .size:           8
        .value_kind:     hidden_global_offset_x
      - .offset:         3216
        .size:           8
        .value_kind:     hidden_global_offset_y
      - .offset:         3224
        .size:           8
        .value_kind:     hidden_global_offset_z
      - .offset:         3232
        .size:           2
        .value_kind:     hidden_grid_dims
    .group_segment_fixed_size: 0
    .kernarg_segment_align: 16
    .kernarg_segment_size: 3424
    .language:       OpenCL C
    .language_version:
      - 2
      - 0
    .max_flat_workgroup_size: 512
    .name:           _ZN2at6native12_GLOBAL__N_125multi_tensor_apply_kernelINS1_18TensorListMetadataILi3EEENS1_24BinaryOpListAlphaFunctorIN3c107complexIdEELi3ELi2ELi2EEEJSt4plusIS8_ES8_EEEvT_T0_DpT1_
    .private_segment_fixed_size: 0
    .sgpr_count:     31
    .sgpr_spill_count: 0
    .symbol:         _ZN2at6native12_GLOBAL__N_125multi_tensor_apply_kernelINS1_18TensorListMetadataILi3EEENS1_24BinaryOpListAlphaFunctorIN3c107complexIdEELi3ELi2ELi2EEEJSt4plusIS8_ES8_EEEvT_T0_DpT1_.kd
    .uniform_work_group_size: 1
    .uses_dynamic_stack: false
    .vgpr_count:     62
    .vgpr_spill_count: 0
    .wavefront_size: 32
    .workgroup_processor_mode: 1
  - .args:
      - .offset:         0
        .size:           3144
        .value_kind:     by_value
      - .offset:         3144
        .size:           1
        .value_kind:     by_value
      - .offset:         3145
        .size:           1
        .value_kind:     by_value
      - .offset:         3152
        .size:           8
        .value_kind:     by_value
      - .offset:         3160
        .size:           4
        .value_kind:     hidden_block_count_x
      - .offset:         3164
        .size:           4
        .value_kind:     hidden_block_count_y
      - .offset:         3168
        .size:           4
        .value_kind:     hidden_block_count_z
      - .offset:         3172
        .size:           2
        .value_kind:     hidden_group_size_x
      - .offset:         3174
        .size:           2
        .value_kind:     hidden_group_size_y
      - .offset:         3176
        .size:           2
        .value_kind:     hidden_group_size_z
      - .offset:         3178
        .size:           2
        .value_kind:     hidden_remainder_x
      - .offset:         3180
        .size:           2
        .value_kind:     hidden_remainder_y
      - .offset:         3182
        .size:           2
        .value_kind:     hidden_remainder_z
      - .offset:         3200
        .size:           8
        .value_kind:     hidden_global_offset_x
      - .offset:         3208
        .size:           8
        .value_kind:     hidden_global_offset_y
      - .offset:         3216
        .size:           8
        .value_kind:     hidden_global_offset_z
      - .offset:         3224
        .size:           2
        .value_kind:     hidden_grid_dims
    .group_segment_fixed_size: 0
    .kernarg_segment_align: 8
    .kernarg_segment_size: 3416
    .language:       OpenCL C
    .language_version:
      - 2
      - 0
    .max_flat_workgroup_size: 512
    .name:           _ZN2at6native12_GLOBAL__N_125multi_tensor_apply_kernelINS1_18TensorListMetadataILi3EEENS1_24BinaryOpListAlphaFunctorIN3c107complexIfEELi3ELi2ELi2EEEJSt4plusIS8_ES8_EEEvT_T0_DpT1_
    .private_segment_fixed_size: 0
    .sgpr_count:     29
    .sgpr_spill_count: 0
    .symbol:         _ZN2at6native12_GLOBAL__N_125multi_tensor_apply_kernelINS1_18TensorListMetadataILi3EEENS1_24BinaryOpListAlphaFunctorIN3c107complexIfEELi3ELi2ELi2EEEJSt4plusIS8_ES8_EEEvT_T0_DpT1_.kd
    .uniform_work_group_size: 1
    .uses_dynamic_stack: false
    .vgpr_count:     44
    .vgpr_spill_count: 0
    .wavefront_size: 32
    .workgroup_processor_mode: 1
  - .args:
      - .offset:         0
        .size:           3144
        .value_kind:     by_value
      - .offset:         3144
        .size:           1
        .value_kind:     by_value
      - .offset:         3145
        .size:           1
        .value_kind:     by_value
      - .offset:         3146
        .size:           1
        .value_kind:     by_value
      - .offset:         3152
        .size:           4
        .value_kind:     hidden_block_count_x
      - .offset:         3156
        .size:           4
        .value_kind:     hidden_block_count_y
      - .offset:         3160
        .size:           4
        .value_kind:     hidden_block_count_z
      - .offset:         3164
        .size:           2
        .value_kind:     hidden_group_size_x
      - .offset:         3166
        .size:           2
        .value_kind:     hidden_group_size_y
      - .offset:         3168
        .size:           2
        .value_kind:     hidden_group_size_z
      - .offset:         3170
        .size:           2
        .value_kind:     hidden_remainder_x
      - .offset:         3172
        .size:           2
        .value_kind:     hidden_remainder_y
      - .offset:         3174
        .size:           2
        .value_kind:     hidden_remainder_z
      - .offset:         3192
        .size:           8
        .value_kind:     hidden_global_offset_x
      - .offset:         3200
        .size:           8
        .value_kind:     hidden_global_offset_y
      - .offset:         3208
        .size:           8
        .value_kind:     hidden_global_offset_z
      - .offset:         3216
        .size:           2
        .value_kind:     hidden_grid_dims
    .group_segment_fixed_size: 0
    .kernarg_segment_align: 8
    .kernarg_segment_size: 3408
    .language:       OpenCL C
    .language_version:
      - 2
      - 0
    .max_flat_workgroup_size: 512
    .name:           _ZN2at6native12_GLOBAL__N_125multi_tensor_apply_kernelINS1_18TensorListMetadataILi3EEENS1_24BinaryOpListAlphaFunctorIbLi3ELi2ELi2EEEJSt4plusIbEbEEEvT_T0_DpT1_
    .private_segment_fixed_size: 0
    .sgpr_count:     29
    .sgpr_spill_count: 0
    .symbol:         _ZN2at6native12_GLOBAL__N_125multi_tensor_apply_kernelINS1_18TensorListMetadataILi3EEENS1_24BinaryOpListAlphaFunctorIbLi3ELi2ELi2EEEJSt4plusIbEbEEEvT_T0_DpT1_.kd
    .uniform_work_group_size: 1
    .uses_dynamic_stack: false
    .vgpr_count:     39
    .vgpr_spill_count: 0
    .wavefront_size: 32
    .workgroup_processor_mode: 1
  - .args:
      - .offset:         0
        .size:           3144
        .value_kind:     by_value
      - .offset:         3144
        .size:           1
        .value_kind:     by_value
      - .offset:         3145
        .size:           1
        .value_kind:     by_value
      - .offset:         3148
        .size:           4
        .value_kind:     by_value
      - .offset:         3152
        .size:           4
        .value_kind:     hidden_block_count_x
      - .offset:         3156
        .size:           4
        .value_kind:     hidden_block_count_y
      - .offset:         3160
        .size:           4
        .value_kind:     hidden_block_count_z
      - .offset:         3164
        .size:           2
        .value_kind:     hidden_group_size_x
      - .offset:         3166
        .size:           2
        .value_kind:     hidden_group_size_y
      - .offset:         3168
        .size:           2
        .value_kind:     hidden_group_size_z
      - .offset:         3170
        .size:           2
        .value_kind:     hidden_remainder_x
      - .offset:         3172
        .size:           2
        .value_kind:     hidden_remainder_y
      - .offset:         3174
        .size:           2
        .value_kind:     hidden_remainder_z
      - .offset:         3192
        .size:           8
        .value_kind:     hidden_global_offset_x
      - .offset:         3200
        .size:           8
        .value_kind:     hidden_global_offset_y
      - .offset:         3208
        .size:           8
        .value_kind:     hidden_global_offset_z
      - .offset:         3216
        .size:           2
        .value_kind:     hidden_grid_dims
    .group_segment_fixed_size: 0
    .kernarg_segment_align: 8
    .kernarg_segment_size: 3408
    .language:       OpenCL C
    .language_version:
      - 2
      - 0
    .max_flat_workgroup_size: 512
    .name:           _ZN2at6native12_GLOBAL__N_125multi_tensor_apply_kernelINS1_18TensorListMetadataILi3EEENS1_24BinaryOpListAlphaFunctorIN3c108BFloat16ELi3ELi2ELi2EEEJSt4plusIfEfEEEvT_T0_DpT1_
    .private_segment_fixed_size: 0
    .sgpr_count:     24
    .sgpr_spill_count: 0
    .symbol:         _ZN2at6native12_GLOBAL__N_125multi_tensor_apply_kernelINS1_18TensorListMetadataILi3EEENS1_24BinaryOpListAlphaFunctorIN3c108BFloat16ELi3ELi2ELi2EEEJSt4plusIfEfEEEvT_T0_DpT1_.kd
    .uniform_work_group_size: 1
    .uses_dynamic_stack: false
    .vgpr_count:     40
    .vgpr_spill_count: 0
    .wavefront_size: 32
    .workgroup_processor_mode: 1
  - .args:
      - .offset:         0
        .size:           3144
        .value_kind:     by_value
      - .offset:         3144
        .size:           1
        .value_kind:     by_value
      - .offset:         3145
        .size:           1
        .value_kind:     by_value
      - .offset:         3148
        .size:           4
        .value_kind:     by_value
      - .offset:         3152
        .size:           4
        .value_kind:     hidden_block_count_x
      - .offset:         3156
        .size:           4
        .value_kind:     hidden_block_count_y
      - .offset:         3160
        .size:           4
        .value_kind:     hidden_block_count_z
      - .offset:         3164
        .size:           2
        .value_kind:     hidden_group_size_x
      - .offset:         3166
        .size:           2
        .value_kind:     hidden_group_size_y
      - .offset:         3168
        .size:           2
        .value_kind:     hidden_group_size_z
      - .offset:         3170
        .size:           2
        .value_kind:     hidden_remainder_x
      - .offset:         3172
        .size:           2
        .value_kind:     hidden_remainder_y
      - .offset:         3174
        .size:           2
        .value_kind:     hidden_remainder_z
      - .offset:         3192
        .size:           8
        .value_kind:     hidden_global_offset_x
      - .offset:         3200
        .size:           8
        .value_kind:     hidden_global_offset_y
      - .offset:         3208
        .size:           8
        .value_kind:     hidden_global_offset_z
      - .offset:         3216
        .size:           2
        .value_kind:     hidden_grid_dims
    .group_segment_fixed_size: 0
    .kernarg_segment_align: 8
    .kernarg_segment_size: 3408
    .language:       OpenCL C
    .language_version:
      - 2
      - 0
    .max_flat_workgroup_size: 512
    .name:           _ZN2at6native12_GLOBAL__N_125multi_tensor_apply_kernelINS1_18TensorListMetadataILi3EEENS1_24BinaryOpListAlphaFunctorIN3c104HalfELi3ELi2ELi2EEEJSt4plusIfEfEEEvT_T0_DpT1_
    .private_segment_fixed_size: 0
    .sgpr_count:     30
    .sgpr_spill_count: 0
    .symbol:         _ZN2at6native12_GLOBAL__N_125multi_tensor_apply_kernelINS1_18TensorListMetadataILi3EEENS1_24BinaryOpListAlphaFunctorIN3c104HalfELi3ELi2ELi2EEEJSt4plusIfEfEEEvT_T0_DpT1_.kd
    .uniform_work_group_size: 1
    .uses_dynamic_stack: false
    .vgpr_count:     41
    .vgpr_spill_count: 0
    .wavefront_size: 32
    .workgroup_processor_mode: 1
  - .args:
      - .offset:         0
        .size:           3144
        .value_kind:     by_value
      - .offset:         3144
        .size:           1
        .value_kind:     by_value
      - .offset:         3145
        .size:           1
        .value_kind:     by_value
      - .offset:         3146
        .size:           1
        .value_kind:     by_value
      - .offset:         3152
        .size:           4
        .value_kind:     hidden_block_count_x
      - .offset:         3156
        .size:           4
        .value_kind:     hidden_block_count_y
      - .offset:         3160
        .size:           4
        .value_kind:     hidden_block_count_z
      - .offset:         3164
        .size:           2
        .value_kind:     hidden_group_size_x
      - .offset:         3166
        .size:           2
        .value_kind:     hidden_group_size_y
      - .offset:         3168
        .size:           2
        .value_kind:     hidden_group_size_z
      - .offset:         3170
        .size:           2
        .value_kind:     hidden_remainder_x
      - .offset:         3172
        .size:           2
        .value_kind:     hidden_remainder_y
      - .offset:         3174
        .size:           2
        .value_kind:     hidden_remainder_z
      - .offset:         3192
        .size:           8
        .value_kind:     hidden_global_offset_x
      - .offset:         3200
        .size:           8
        .value_kind:     hidden_global_offset_y
      - .offset:         3208
        .size:           8
        .value_kind:     hidden_global_offset_z
      - .offset:         3216
        .size:           2
        .value_kind:     hidden_grid_dims
    .group_segment_fixed_size: 0
    .kernarg_segment_align: 8
    .kernarg_segment_size: 3408
    .language:       OpenCL C
    .language_version:
      - 2
      - 0
    .max_flat_workgroup_size: 512
    .name:           _ZN2at6native12_GLOBAL__N_125multi_tensor_apply_kernelINS1_18TensorListMetadataILi2EEENS1_24BinaryOpListAlphaFunctorIhLi2ELi2ELi0EEEJSt5minusIhEhEEEvT_T0_DpT1_
    .private_segment_fixed_size: 0
    .sgpr_count:     22
    .sgpr_spill_count: 0
    .symbol:         _ZN2at6native12_GLOBAL__N_125multi_tensor_apply_kernelINS1_18TensorListMetadataILi2EEENS1_24BinaryOpListAlphaFunctorIhLi2ELi2ELi0EEEJSt5minusIhEhEEEvT_T0_DpT1_.kd
    .uniform_work_group_size: 1
    .uses_dynamic_stack: false
    .vgpr_count:     31
    .vgpr_spill_count: 0
    .wavefront_size: 32
    .workgroup_processor_mode: 1
  - .args:
      - .offset:         0
        .size:           3144
        .value_kind:     by_value
      - .offset:         3144
        .size:           1
        .value_kind:     by_value
      - .offset:         3145
        .size:           1
        .value_kind:     by_value
      - .offset:         3146
        .size:           1
        .value_kind:     by_value
      - .offset:         3152
        .size:           4
        .value_kind:     hidden_block_count_x
      - .offset:         3156
        .size:           4
        .value_kind:     hidden_block_count_y
      - .offset:         3160
        .size:           4
        .value_kind:     hidden_block_count_z
      - .offset:         3164
        .size:           2
        .value_kind:     hidden_group_size_x
      - .offset:         3166
        .size:           2
        .value_kind:     hidden_group_size_y
      - .offset:         3168
        .size:           2
        .value_kind:     hidden_group_size_z
      - .offset:         3170
        .size:           2
        .value_kind:     hidden_remainder_x
      - .offset:         3172
        .size:           2
        .value_kind:     hidden_remainder_y
      - .offset:         3174
        .size:           2
        .value_kind:     hidden_remainder_z
      - .offset:         3192
        .size:           8
        .value_kind:     hidden_global_offset_x
      - .offset:         3200
        .size:           8
        .value_kind:     hidden_global_offset_y
      - .offset:         3208
        .size:           8
        .value_kind:     hidden_global_offset_z
      - .offset:         3216
        .size:           2
        .value_kind:     hidden_grid_dims
    .group_segment_fixed_size: 0
    .kernarg_segment_align: 8
    .kernarg_segment_size: 3408
    .language:       OpenCL C
    .language_version:
      - 2
      - 0
    .max_flat_workgroup_size: 512
    .name:           _ZN2at6native12_GLOBAL__N_125multi_tensor_apply_kernelINS1_18TensorListMetadataILi2EEENS1_24BinaryOpListAlphaFunctorIaLi2ELi2ELi0EEEJSt5minusIaEaEEEvT_T0_DpT1_
    .private_segment_fixed_size: 0
    .sgpr_count:     22
    .sgpr_spill_count: 0
    .symbol:         _ZN2at6native12_GLOBAL__N_125multi_tensor_apply_kernelINS1_18TensorListMetadataILi2EEENS1_24BinaryOpListAlphaFunctorIaLi2ELi2ELi0EEEJSt5minusIaEaEEEvT_T0_DpT1_.kd
    .uniform_work_group_size: 1
    .uses_dynamic_stack: false
    .vgpr_count:     31
    .vgpr_spill_count: 0
    .wavefront_size: 32
    .workgroup_processor_mode: 1
  - .args:
      - .offset:         0
        .size:           3144
        .value_kind:     by_value
      - .offset:         3144
        .size:           1
        .value_kind:     by_value
      - .offset:         3145
        .size:           1
        .value_kind:     by_value
      - .offset:         3148
        .size:           4
        .value_kind:     by_value
      - .offset:         3152
        .size:           4
        .value_kind:     hidden_block_count_x
      - .offset:         3156
        .size:           4
        .value_kind:     hidden_block_count_y
      - .offset:         3160
        .size:           4
        .value_kind:     hidden_block_count_z
      - .offset:         3164
        .size:           2
        .value_kind:     hidden_group_size_x
      - .offset:         3166
        .size:           2
        .value_kind:     hidden_group_size_y
      - .offset:         3168
        .size:           2
        .value_kind:     hidden_group_size_z
      - .offset:         3170
        .size:           2
        .value_kind:     hidden_remainder_x
      - .offset:         3172
        .size:           2
        .value_kind:     hidden_remainder_y
      - .offset:         3174
        .size:           2
        .value_kind:     hidden_remainder_z
      - .offset:         3192
        .size:           8
        .value_kind:     hidden_global_offset_x
      - .offset:         3200
        .size:           8
        .value_kind:     hidden_global_offset_y
      - .offset:         3208
        .size:           8
        .value_kind:     hidden_global_offset_z
      - .offset:         3216
        .size:           2
        .value_kind:     hidden_grid_dims
    .group_segment_fixed_size: 0
    .kernarg_segment_align: 8
    .kernarg_segment_size: 3408
    .language:       OpenCL C
    .language_version:
      - 2
      - 0
    .max_flat_workgroup_size: 512
    .name:           _ZN2at6native12_GLOBAL__N_125multi_tensor_apply_kernelINS1_18TensorListMetadataILi2EEENS1_24BinaryOpListAlphaFunctorIiLi2ELi2ELi0EEEJSt5minusIiEiEEEvT_T0_DpT1_
    .private_segment_fixed_size: 0
    .sgpr_count:     26
    .sgpr_spill_count: 0
    .symbol:         _ZN2at6native12_GLOBAL__N_125multi_tensor_apply_kernelINS1_18TensorListMetadataILi2EEENS1_24BinaryOpListAlphaFunctorIiLi2ELi2ELi0EEEJSt5minusIiEiEEEvT_T0_DpT1_.kd
    .uniform_work_group_size: 1
    .uses_dynamic_stack: false
    .vgpr_count:     33
    .vgpr_spill_count: 0
    .wavefront_size: 32
    .workgroup_processor_mode: 1
  - .args:
      - .offset:         0
        .size:           3144
        .value_kind:     by_value
      - .offset:         3144
        .size:           1
        .value_kind:     by_value
      - .offset:         3145
        .size:           1
        .value_kind:     by_value
      - .offset:         3152
        .size:           8
        .value_kind:     by_value
      - .offset:         3160
        .size:           4
        .value_kind:     hidden_block_count_x
      - .offset:         3164
        .size:           4
        .value_kind:     hidden_block_count_y
      - .offset:         3168
        .size:           4
        .value_kind:     hidden_block_count_z
      - .offset:         3172
        .size:           2
        .value_kind:     hidden_group_size_x
      - .offset:         3174
        .size:           2
        .value_kind:     hidden_group_size_y
      - .offset:         3176
        .size:           2
        .value_kind:     hidden_group_size_z
      - .offset:         3178
        .size:           2
        .value_kind:     hidden_remainder_x
      - .offset:         3180
        .size:           2
        .value_kind:     hidden_remainder_y
      - .offset:         3182
        .size:           2
        .value_kind:     hidden_remainder_z
      - .offset:         3200
        .size:           8
        .value_kind:     hidden_global_offset_x
      - .offset:         3208
        .size:           8
        .value_kind:     hidden_global_offset_y
      - .offset:         3216
        .size:           8
        .value_kind:     hidden_global_offset_z
      - .offset:         3224
        .size:           2
        .value_kind:     hidden_grid_dims
    .group_segment_fixed_size: 0
    .kernarg_segment_align: 8
    .kernarg_segment_size: 3416
    .language:       OpenCL C
    .language_version:
      - 2
      - 0
    .max_flat_workgroup_size: 512
    .name:           _ZN2at6native12_GLOBAL__N_125multi_tensor_apply_kernelINS1_18TensorListMetadataILi2EEENS1_24BinaryOpListAlphaFunctorIlLi2ELi2ELi0EEEJSt5minusIlElEEEvT_T0_DpT1_
    .private_segment_fixed_size: 0
    .sgpr_count:     28
    .sgpr_spill_count: 0
    .symbol:         _ZN2at6native12_GLOBAL__N_125multi_tensor_apply_kernelINS1_18TensorListMetadataILi2EEENS1_24BinaryOpListAlphaFunctorIlLi2ELi2ELi0EEEJSt5minusIlElEEEvT_T0_DpT1_.kd
    .uniform_work_group_size: 1
    .uses_dynamic_stack: false
    .vgpr_count:     42
    .vgpr_spill_count: 0
    .wavefront_size: 32
    .workgroup_processor_mode: 1
  - .args:
      - .offset:         0
        .size:           3144
        .value_kind:     by_value
      - .offset:         3144
        .size:           1
        .value_kind:     by_value
      - .offset:         3145
        .size:           1
        .value_kind:     by_value
      - .offset:         3146
        .size:           2
        .value_kind:     by_value
      - .offset:         3152
        .size:           4
        .value_kind:     hidden_block_count_x
      - .offset:         3156
        .size:           4
        .value_kind:     hidden_block_count_y
      - .offset:         3160
        .size:           4
        .value_kind:     hidden_block_count_z
      - .offset:         3164
        .size:           2
        .value_kind:     hidden_group_size_x
      - .offset:         3166
        .size:           2
        .value_kind:     hidden_group_size_y
      - .offset:         3168
        .size:           2
        .value_kind:     hidden_group_size_z
      - .offset:         3170
        .size:           2
        .value_kind:     hidden_remainder_x
      - .offset:         3172
        .size:           2
        .value_kind:     hidden_remainder_y
      - .offset:         3174
        .size:           2
        .value_kind:     hidden_remainder_z
      - .offset:         3192
        .size:           8
        .value_kind:     hidden_global_offset_x
      - .offset:         3200
        .size:           8
        .value_kind:     hidden_global_offset_y
      - .offset:         3208
        .size:           8
        .value_kind:     hidden_global_offset_z
      - .offset:         3216
        .size:           2
        .value_kind:     hidden_grid_dims
    .group_segment_fixed_size: 0
    .kernarg_segment_align: 8
    .kernarg_segment_size: 3408
    .language:       OpenCL C
    .language_version:
      - 2
      - 0
    .max_flat_workgroup_size: 512
    .name:           _ZN2at6native12_GLOBAL__N_125multi_tensor_apply_kernelINS1_18TensorListMetadataILi2EEENS1_24BinaryOpListAlphaFunctorIsLi2ELi2ELi0EEEJSt5minusIsEsEEEvT_T0_DpT1_
    .private_segment_fixed_size: 0
    .sgpr_count:     22
    .sgpr_spill_count: 0
    .symbol:         _ZN2at6native12_GLOBAL__N_125multi_tensor_apply_kernelINS1_18TensorListMetadataILi2EEENS1_24BinaryOpListAlphaFunctorIsLi2ELi2ELi0EEEJSt5minusIsEsEEEvT_T0_DpT1_.kd
    .uniform_work_group_size: 1
    .uses_dynamic_stack: false
    .vgpr_count:     31
    .vgpr_spill_count: 0
    .wavefront_size: 32
    .workgroup_processor_mode: 1
  - .args:
      - .offset:         0
        .size:           3144
        .value_kind:     by_value
      - .offset:         3144
        .size:           1
        .value_kind:     by_value
      - .offset:         3145
        .size:           1
        .value_kind:     by_value
      - .offset:         3152
        .size:           8
        .value_kind:     by_value
      - .offset:         3160
        .size:           4
        .value_kind:     hidden_block_count_x
      - .offset:         3164
        .size:           4
        .value_kind:     hidden_block_count_y
      - .offset:         3168
        .size:           4
        .value_kind:     hidden_block_count_z
      - .offset:         3172
        .size:           2
        .value_kind:     hidden_group_size_x
      - .offset:         3174
        .size:           2
        .value_kind:     hidden_group_size_y
      - .offset:         3176
        .size:           2
        .value_kind:     hidden_group_size_z
      - .offset:         3178
        .size:           2
        .value_kind:     hidden_remainder_x
      - .offset:         3180
        .size:           2
        .value_kind:     hidden_remainder_y
      - .offset:         3182
        .size:           2
        .value_kind:     hidden_remainder_z
      - .offset:         3200
        .size:           8
        .value_kind:     hidden_global_offset_x
      - .offset:         3208
        .size:           8
        .value_kind:     hidden_global_offset_y
      - .offset:         3216
        .size:           8
        .value_kind:     hidden_global_offset_z
      - .offset:         3224
        .size:           2
        .value_kind:     hidden_grid_dims
    .group_segment_fixed_size: 0
    .kernarg_segment_align: 8
    .kernarg_segment_size: 3416
    .language:       OpenCL C
    .language_version:
      - 2
      - 0
    .max_flat_workgroup_size: 512
    .name:           _ZN2at6native12_GLOBAL__N_125multi_tensor_apply_kernelINS1_18TensorListMetadataILi2EEENS1_24BinaryOpListAlphaFunctorIdLi2ELi2ELi0EEEJSt5minusIdEdEEEvT_T0_DpT1_
    .private_segment_fixed_size: 0
    .sgpr_count:     26
    .sgpr_spill_count: 0
    .symbol:         _ZN2at6native12_GLOBAL__N_125multi_tensor_apply_kernelINS1_18TensorListMetadataILi2EEENS1_24BinaryOpListAlphaFunctorIdLi2ELi2ELi0EEEJSt5minusIdEdEEEvT_T0_DpT1_.kd
    .uniform_work_group_size: 1
    .uses_dynamic_stack: false
    .vgpr_count:     39
    .vgpr_spill_count: 0
    .wavefront_size: 32
    .workgroup_processor_mode: 1
  - .args:
      - .offset:         0
        .size:           3144
        .value_kind:     by_value
      - .offset:         3144
        .size:           1
        .value_kind:     by_value
      - .offset:         3145
        .size:           1
        .value_kind:     by_value
      - .offset:         3148
        .size:           4
        .value_kind:     by_value
      - .offset:         3152
        .size:           4
        .value_kind:     hidden_block_count_x
      - .offset:         3156
        .size:           4
        .value_kind:     hidden_block_count_y
      - .offset:         3160
        .size:           4
        .value_kind:     hidden_block_count_z
      - .offset:         3164
        .size:           2
        .value_kind:     hidden_group_size_x
      - .offset:         3166
        .size:           2
        .value_kind:     hidden_group_size_y
      - .offset:         3168
        .size:           2
        .value_kind:     hidden_group_size_z
      - .offset:         3170
        .size:           2
        .value_kind:     hidden_remainder_x
      - .offset:         3172
        .size:           2
        .value_kind:     hidden_remainder_y
      - .offset:         3174
        .size:           2
        .value_kind:     hidden_remainder_z
      - .offset:         3192
        .size:           8
        .value_kind:     hidden_global_offset_x
      - .offset:         3200
        .size:           8
        .value_kind:     hidden_global_offset_y
      - .offset:         3208
        .size:           8
        .value_kind:     hidden_global_offset_z
      - .offset:         3216
        .size:           2
        .value_kind:     hidden_grid_dims
    .group_segment_fixed_size: 0
    .kernarg_segment_align: 8
    .kernarg_segment_size: 3408
    .language:       OpenCL C
    .language_version:
      - 2
      - 0
    .max_flat_workgroup_size: 512
    .name:           _ZN2at6native12_GLOBAL__N_125multi_tensor_apply_kernelINS1_18TensorListMetadataILi2EEENS1_24BinaryOpListAlphaFunctorIfLi2ELi2ELi0EEEJSt5minusIfEfEEEvT_T0_DpT1_
    .private_segment_fixed_size: 0
    .sgpr_count:     26
    .sgpr_spill_count: 0
    .symbol:         _ZN2at6native12_GLOBAL__N_125multi_tensor_apply_kernelINS1_18TensorListMetadataILi2EEENS1_24BinaryOpListAlphaFunctorIfLi2ELi2ELi0EEEJSt5minusIfEfEEEvT_T0_DpT1_.kd
    .uniform_work_group_size: 1
    .uses_dynamic_stack: false
    .vgpr_count:     33
    .vgpr_spill_count: 0
    .wavefront_size: 32
    .workgroup_processor_mode: 1
  - .args:
      - .offset:         0
        .size:           3144
        .value_kind:     by_value
      - .offset:         3144
        .size:           1
        .value_kind:     by_value
      - .offset:         3145
        .size:           1
        .value_kind:     by_value
      - .offset:         3152
        .size:           16
        .value_kind:     by_value
      - .offset:         3168
        .size:           4
        .value_kind:     hidden_block_count_x
      - .offset:         3172
        .size:           4
        .value_kind:     hidden_block_count_y
      - .offset:         3176
        .size:           4
        .value_kind:     hidden_block_count_z
      - .offset:         3180
        .size:           2
        .value_kind:     hidden_group_size_x
      - .offset:         3182
        .size:           2
        .value_kind:     hidden_group_size_y
      - .offset:         3184
        .size:           2
        .value_kind:     hidden_group_size_z
      - .offset:         3186
        .size:           2
        .value_kind:     hidden_remainder_x
      - .offset:         3188
        .size:           2
        .value_kind:     hidden_remainder_y
      - .offset:         3190
        .size:           2
        .value_kind:     hidden_remainder_z
      - .offset:         3208
        .size:           8
        .value_kind:     hidden_global_offset_x
      - .offset:         3216
        .size:           8
        .value_kind:     hidden_global_offset_y
      - .offset:         3224
        .size:           8
        .value_kind:     hidden_global_offset_z
      - .offset:         3232
        .size:           2
        .value_kind:     hidden_grid_dims
    .group_segment_fixed_size: 0
    .kernarg_segment_align: 16
    .kernarg_segment_size: 3424
    .language:       OpenCL C
    .language_version:
      - 2
      - 0
    .max_flat_workgroup_size: 512
    .name:           _ZN2at6native12_GLOBAL__N_125multi_tensor_apply_kernelINS1_18TensorListMetadataILi2EEENS1_24BinaryOpListAlphaFunctorIN3c107complexIdEELi2ELi2ELi0EEEJSt5minusIS8_ES8_EEEvT_T0_DpT1_
    .private_segment_fixed_size: 0
    .sgpr_count:     28
    .sgpr_spill_count: 0
    .symbol:         _ZN2at6native12_GLOBAL__N_125multi_tensor_apply_kernelINS1_18TensorListMetadataILi2EEENS1_24BinaryOpListAlphaFunctorIN3c107complexIdEELi2ELi2ELi0EEEJSt5minusIS8_ES8_EEEvT_T0_DpT1_.kd
    .uniform_work_group_size: 1
    .uses_dynamic_stack: false
    .vgpr_count:     54
    .vgpr_spill_count: 0
    .wavefront_size: 32
    .workgroup_processor_mode: 1
  - .args:
      - .offset:         0
        .size:           3144
        .value_kind:     by_value
      - .offset:         3144
        .size:           1
        .value_kind:     by_value
      - .offset:         3145
        .size:           1
        .value_kind:     by_value
      - .offset:         3152
        .size:           8
        .value_kind:     by_value
      - .offset:         3160
        .size:           4
        .value_kind:     hidden_block_count_x
      - .offset:         3164
        .size:           4
        .value_kind:     hidden_block_count_y
      - .offset:         3168
        .size:           4
        .value_kind:     hidden_block_count_z
      - .offset:         3172
        .size:           2
        .value_kind:     hidden_group_size_x
      - .offset:         3174
        .size:           2
        .value_kind:     hidden_group_size_y
      - .offset:         3176
        .size:           2
        .value_kind:     hidden_group_size_z
      - .offset:         3178
        .size:           2
        .value_kind:     hidden_remainder_x
      - .offset:         3180
        .size:           2
        .value_kind:     hidden_remainder_y
      - .offset:         3182
        .size:           2
        .value_kind:     hidden_remainder_z
      - .offset:         3200
        .size:           8
        .value_kind:     hidden_global_offset_x
      - .offset:         3208
        .size:           8
        .value_kind:     hidden_global_offset_y
      - .offset:         3216
        .size:           8
        .value_kind:     hidden_global_offset_z
      - .offset:         3224
        .size:           2
        .value_kind:     hidden_grid_dims
    .group_segment_fixed_size: 0
    .kernarg_segment_align: 8
    .kernarg_segment_size: 3416
    .language:       OpenCL C
    .language_version:
      - 2
      - 0
    .max_flat_workgroup_size: 512
    .name:           _ZN2at6native12_GLOBAL__N_125multi_tensor_apply_kernelINS1_18TensorListMetadataILi2EEENS1_24BinaryOpListAlphaFunctorIN3c107complexIfEELi2ELi2ELi0EEEJSt5minusIS8_ES8_EEEvT_T0_DpT1_
    .private_segment_fixed_size: 0
    .sgpr_count:     26
    .sgpr_spill_count: 0
    .symbol:         _ZN2at6native12_GLOBAL__N_125multi_tensor_apply_kernelINS1_18TensorListMetadataILi2EEENS1_24BinaryOpListAlphaFunctorIN3c107complexIfEELi2ELi2ELi0EEEJSt5minusIS8_ES8_EEEvT_T0_DpT1_.kd
    .uniform_work_group_size: 1
    .uses_dynamic_stack: false
    .vgpr_count:     36
    .vgpr_spill_count: 0
    .wavefront_size: 32
    .workgroup_processor_mode: 1
  - .args:
      - .offset:         0
        .size:           3144
        .value_kind:     by_value
      - .offset:         3144
        .size:           1
        .value_kind:     by_value
      - .offset:         3145
        .size:           1
        .value_kind:     by_value
      - .offset:         3146
        .size:           1
        .value_kind:     by_value
      - .offset:         3152
        .size:           4
        .value_kind:     hidden_block_count_x
      - .offset:         3156
        .size:           4
        .value_kind:     hidden_block_count_y
      - .offset:         3160
        .size:           4
        .value_kind:     hidden_block_count_z
      - .offset:         3164
        .size:           2
        .value_kind:     hidden_group_size_x
      - .offset:         3166
        .size:           2
        .value_kind:     hidden_group_size_y
      - .offset:         3168
        .size:           2
        .value_kind:     hidden_group_size_z
      - .offset:         3170
        .size:           2
        .value_kind:     hidden_remainder_x
      - .offset:         3172
        .size:           2
        .value_kind:     hidden_remainder_y
      - .offset:         3174
        .size:           2
        .value_kind:     hidden_remainder_z
      - .offset:         3192
        .size:           8
        .value_kind:     hidden_global_offset_x
      - .offset:         3200
        .size:           8
        .value_kind:     hidden_global_offset_y
      - .offset:         3208
        .size:           8
        .value_kind:     hidden_global_offset_z
      - .offset:         3216
        .size:           2
        .value_kind:     hidden_grid_dims
    .group_segment_fixed_size: 0
    .kernarg_segment_align: 8
    .kernarg_segment_size: 3408
    .language:       OpenCL C
    .language_version:
      - 2
      - 0
    .max_flat_workgroup_size: 512
    .name:           _ZN2at6native12_GLOBAL__N_125multi_tensor_apply_kernelINS1_18TensorListMetadataILi2EEENS1_24BinaryOpListAlphaFunctorIbLi2ELi2ELi0EEEJSt5minusIbEbEEEvT_T0_DpT1_
    .private_segment_fixed_size: 0
    .sgpr_count:     24
    .sgpr_spill_count: 0
    .symbol:         _ZN2at6native12_GLOBAL__N_125multi_tensor_apply_kernelINS1_18TensorListMetadataILi2EEENS1_24BinaryOpListAlphaFunctorIbLi2ELi2ELi0EEEJSt5minusIbEbEEEvT_T0_DpT1_.kd
    .uniform_work_group_size: 1
    .uses_dynamic_stack: false
    .vgpr_count:     31
    .vgpr_spill_count: 0
    .wavefront_size: 32
    .workgroup_processor_mode: 1
  - .args:
      - .offset:         0
        .size:           3144
        .value_kind:     by_value
      - .offset:         3144
        .size:           1
        .value_kind:     by_value
      - .offset:         3145
        .size:           1
        .value_kind:     by_value
      - .offset:         3148
        .size:           4
        .value_kind:     by_value
      - .offset:         3152
        .size:           4
        .value_kind:     hidden_block_count_x
      - .offset:         3156
        .size:           4
        .value_kind:     hidden_block_count_y
      - .offset:         3160
        .size:           4
        .value_kind:     hidden_block_count_z
      - .offset:         3164
        .size:           2
        .value_kind:     hidden_group_size_x
      - .offset:         3166
        .size:           2
        .value_kind:     hidden_group_size_y
      - .offset:         3168
        .size:           2
        .value_kind:     hidden_group_size_z
      - .offset:         3170
        .size:           2
        .value_kind:     hidden_remainder_x
      - .offset:         3172
        .size:           2
        .value_kind:     hidden_remainder_y
      - .offset:         3174
        .size:           2
        .value_kind:     hidden_remainder_z
      - .offset:         3192
        .size:           8
        .value_kind:     hidden_global_offset_x
      - .offset:         3200
        .size:           8
        .value_kind:     hidden_global_offset_y
      - .offset:         3208
        .size:           8
        .value_kind:     hidden_global_offset_z
      - .offset:         3216
        .size:           2
        .value_kind:     hidden_grid_dims
    .group_segment_fixed_size: 0
    .kernarg_segment_align: 8
    .kernarg_segment_size: 3408
    .language:       OpenCL C
    .language_version:
      - 2
      - 0
    .max_flat_workgroup_size: 512
    .name:           _ZN2at6native12_GLOBAL__N_125multi_tensor_apply_kernelINS1_18TensorListMetadataILi2EEENS1_24BinaryOpListAlphaFunctorIN3c108BFloat16ELi2ELi2ELi0EEEJSt5minusIfEfEEEvT_T0_DpT1_
    .private_segment_fixed_size: 0
    .sgpr_count:     22
    .sgpr_spill_count: 0
    .symbol:         _ZN2at6native12_GLOBAL__N_125multi_tensor_apply_kernelINS1_18TensorListMetadataILi2EEENS1_24BinaryOpListAlphaFunctorIN3c108BFloat16ELi2ELi2ELi0EEEJSt5minusIfEfEEEvT_T0_DpT1_.kd
    .uniform_work_group_size: 1
    .uses_dynamic_stack: false
    .vgpr_count:     32
    .vgpr_spill_count: 0
    .wavefront_size: 32
    .workgroup_processor_mode: 1
  - .args:
      - .offset:         0
        .size:           3144
        .value_kind:     by_value
      - .offset:         3144
        .size:           1
        .value_kind:     by_value
      - .offset:         3145
        .size:           1
        .value_kind:     by_value
      - .offset:         3148
        .size:           4
        .value_kind:     by_value
      - .offset:         3152
        .size:           4
        .value_kind:     hidden_block_count_x
      - .offset:         3156
        .size:           4
        .value_kind:     hidden_block_count_y
      - .offset:         3160
        .size:           4
        .value_kind:     hidden_block_count_z
      - .offset:         3164
        .size:           2
        .value_kind:     hidden_group_size_x
      - .offset:         3166
        .size:           2
        .value_kind:     hidden_group_size_y
      - .offset:         3168
        .size:           2
        .value_kind:     hidden_group_size_z
      - .offset:         3170
        .size:           2
        .value_kind:     hidden_remainder_x
      - .offset:         3172
        .size:           2
        .value_kind:     hidden_remainder_y
      - .offset:         3174
        .size:           2
        .value_kind:     hidden_remainder_z
      - .offset:         3192
        .size:           8
        .value_kind:     hidden_global_offset_x
      - .offset:         3200
        .size:           8
        .value_kind:     hidden_global_offset_y
      - .offset:         3208
        .size:           8
        .value_kind:     hidden_global_offset_z
      - .offset:         3216
        .size:           2
        .value_kind:     hidden_grid_dims
    .group_segment_fixed_size: 0
    .kernarg_segment_align: 8
    .kernarg_segment_size: 3408
    .language:       OpenCL C
    .language_version:
      - 2
      - 0
    .max_flat_workgroup_size: 512
    .name:           _ZN2at6native12_GLOBAL__N_125multi_tensor_apply_kernelINS1_18TensorListMetadataILi2EEENS1_24BinaryOpListAlphaFunctorIN3c104HalfELi2ELi2ELi0EEEJSt5minusIfEfEEEvT_T0_DpT1_
    .private_segment_fixed_size: 0
    .sgpr_count:     26
    .sgpr_spill_count: 0
    .symbol:         _ZN2at6native12_GLOBAL__N_125multi_tensor_apply_kernelINS1_18TensorListMetadataILi2EEENS1_24BinaryOpListAlphaFunctorIN3c104HalfELi2ELi2ELi0EEEJSt5minusIfEfEEEvT_T0_DpT1_.kd
    .uniform_work_group_size: 1
    .uses_dynamic_stack: false
    .vgpr_count:     33
    .vgpr_spill_count: 0
    .wavefront_size: 32
    .workgroup_processor_mode: 1
  - .args:
      - .offset:         0
        .size:           3144
        .value_kind:     by_value
      - .offset:         3144
        .size:           1
        .value_kind:     by_value
      - .offset:         3145
        .size:           1
        .value_kind:     by_value
      - .offset:         3146
        .size:           1
        .value_kind:     by_value
      - .offset:         3152
        .size:           4
        .value_kind:     hidden_block_count_x
      - .offset:         3156
        .size:           4
        .value_kind:     hidden_block_count_y
      - .offset:         3160
        .size:           4
        .value_kind:     hidden_block_count_z
      - .offset:         3164
        .size:           2
        .value_kind:     hidden_group_size_x
      - .offset:         3166
        .size:           2
        .value_kind:     hidden_group_size_y
      - .offset:         3168
        .size:           2
        .value_kind:     hidden_group_size_z
      - .offset:         3170
        .size:           2
        .value_kind:     hidden_remainder_x
      - .offset:         3172
        .size:           2
        .value_kind:     hidden_remainder_y
      - .offset:         3174
        .size:           2
        .value_kind:     hidden_remainder_z
      - .offset:         3192
        .size:           8
        .value_kind:     hidden_global_offset_x
      - .offset:         3200
        .size:           8
        .value_kind:     hidden_global_offset_y
      - .offset:         3208
        .size:           8
        .value_kind:     hidden_global_offset_z
      - .offset:         3216
        .size:           2
        .value_kind:     hidden_grid_dims
    .group_segment_fixed_size: 0
    .kernarg_segment_align: 8
    .kernarg_segment_size: 3408
    .language:       OpenCL C
    .language_version:
      - 2
      - 0
    .max_flat_workgroup_size: 512
    .name:           _ZN2at6native12_GLOBAL__N_125multi_tensor_apply_kernelINS1_18TensorListMetadataILi3EEENS1_24BinaryOpListAlphaFunctorIhLi3ELi2ELi2EEEJSt5minusIhEhEEEvT_T0_DpT1_
    .private_segment_fixed_size: 0
    .sgpr_count:     26
    .sgpr_spill_count: 0
    .symbol:         _ZN2at6native12_GLOBAL__N_125multi_tensor_apply_kernelINS1_18TensorListMetadataILi3EEENS1_24BinaryOpListAlphaFunctorIhLi3ELi2ELi2EEEJSt5minusIhEhEEEvT_T0_DpT1_.kd
    .uniform_work_group_size: 1
    .uses_dynamic_stack: false
    .vgpr_count:     39
    .vgpr_spill_count: 0
    .wavefront_size: 32
    .workgroup_processor_mode: 1
  - .args:
      - .offset:         0
        .size:           3144
        .value_kind:     by_value
      - .offset:         3144
        .size:           1
        .value_kind:     by_value
      - .offset:         3145
        .size:           1
        .value_kind:     by_value
      - .offset:         3146
        .size:           1
        .value_kind:     by_value
      - .offset:         3152
        .size:           4
        .value_kind:     hidden_block_count_x
      - .offset:         3156
        .size:           4
        .value_kind:     hidden_block_count_y
      - .offset:         3160
        .size:           4
        .value_kind:     hidden_block_count_z
      - .offset:         3164
        .size:           2
        .value_kind:     hidden_group_size_x
      - .offset:         3166
        .size:           2
        .value_kind:     hidden_group_size_y
      - .offset:         3168
        .size:           2
        .value_kind:     hidden_group_size_z
      - .offset:         3170
        .size:           2
        .value_kind:     hidden_remainder_x
      - .offset:         3172
        .size:           2
        .value_kind:     hidden_remainder_y
      - .offset:         3174
        .size:           2
        .value_kind:     hidden_remainder_z
      - .offset:         3192
        .size:           8
        .value_kind:     hidden_global_offset_x
      - .offset:         3200
        .size:           8
        .value_kind:     hidden_global_offset_y
      - .offset:         3208
        .size:           8
        .value_kind:     hidden_global_offset_z
      - .offset:         3216
        .size:           2
        .value_kind:     hidden_grid_dims
    .group_segment_fixed_size: 0
    .kernarg_segment_align: 8
    .kernarg_segment_size: 3408
    .language:       OpenCL C
    .language_version:
      - 2
      - 0
    .max_flat_workgroup_size: 512
    .name:           _ZN2at6native12_GLOBAL__N_125multi_tensor_apply_kernelINS1_18TensorListMetadataILi3EEENS1_24BinaryOpListAlphaFunctorIaLi3ELi2ELi2EEEJSt5minusIaEaEEEvT_T0_DpT1_
    .private_segment_fixed_size: 0
    .sgpr_count:     26
    .sgpr_spill_count: 0
    .symbol:         _ZN2at6native12_GLOBAL__N_125multi_tensor_apply_kernelINS1_18TensorListMetadataILi3EEENS1_24BinaryOpListAlphaFunctorIaLi3ELi2ELi2EEEJSt5minusIaEaEEEvT_T0_DpT1_.kd
    .uniform_work_group_size: 1
    .uses_dynamic_stack: false
    .vgpr_count:     39
    .vgpr_spill_count: 0
    .wavefront_size: 32
    .workgroup_processor_mode: 1
  - .args:
      - .offset:         0
        .size:           3144
        .value_kind:     by_value
      - .offset:         3144
        .size:           1
        .value_kind:     by_value
      - .offset:         3145
        .size:           1
        .value_kind:     by_value
      - .offset:         3148
        .size:           4
        .value_kind:     by_value
      - .offset:         3152
        .size:           4
        .value_kind:     hidden_block_count_x
      - .offset:         3156
        .size:           4
        .value_kind:     hidden_block_count_y
      - .offset:         3160
        .size:           4
        .value_kind:     hidden_block_count_z
      - .offset:         3164
        .size:           2
        .value_kind:     hidden_group_size_x
      - .offset:         3166
        .size:           2
        .value_kind:     hidden_group_size_y
      - .offset:         3168
        .size:           2
        .value_kind:     hidden_group_size_z
      - .offset:         3170
        .size:           2
        .value_kind:     hidden_remainder_x
      - .offset:         3172
        .size:           2
        .value_kind:     hidden_remainder_y
      - .offset:         3174
        .size:           2
        .value_kind:     hidden_remainder_z
      - .offset:         3192
        .size:           8
        .value_kind:     hidden_global_offset_x
      - .offset:         3200
        .size:           8
        .value_kind:     hidden_global_offset_y
      - .offset:         3208
        .size:           8
        .value_kind:     hidden_global_offset_z
      - .offset:         3216
        .size:           2
        .value_kind:     hidden_grid_dims
    .group_segment_fixed_size: 0
    .kernarg_segment_align: 8
    .kernarg_segment_size: 3408
    .language:       OpenCL C
    .language_version:
      - 2
      - 0
    .max_flat_workgroup_size: 512
    .name:           _ZN2at6native12_GLOBAL__N_125multi_tensor_apply_kernelINS1_18TensorListMetadataILi3EEENS1_24BinaryOpListAlphaFunctorIiLi3ELi2ELi2EEEJSt5minusIiEiEEEvT_T0_DpT1_
    .private_segment_fixed_size: 0
    .sgpr_count:     30
    .sgpr_spill_count: 0
    .symbol:         _ZN2at6native12_GLOBAL__N_125multi_tensor_apply_kernelINS1_18TensorListMetadataILi3EEENS1_24BinaryOpListAlphaFunctorIiLi3ELi2ELi2EEEJSt5minusIiEiEEEvT_T0_DpT1_.kd
    .uniform_work_group_size: 1
    .uses_dynamic_stack: false
    .vgpr_count:     41
    .vgpr_spill_count: 0
    .wavefront_size: 32
    .workgroup_processor_mode: 1
  - .args:
      - .offset:         0
        .size:           3144
        .value_kind:     by_value
      - .offset:         3144
        .size:           1
        .value_kind:     by_value
      - .offset:         3145
        .size:           1
        .value_kind:     by_value
      - .offset:         3152
        .size:           8
        .value_kind:     by_value
      - .offset:         3160
        .size:           4
        .value_kind:     hidden_block_count_x
      - .offset:         3164
        .size:           4
        .value_kind:     hidden_block_count_y
      - .offset:         3168
        .size:           4
        .value_kind:     hidden_block_count_z
      - .offset:         3172
        .size:           2
        .value_kind:     hidden_group_size_x
      - .offset:         3174
        .size:           2
        .value_kind:     hidden_group_size_y
      - .offset:         3176
        .size:           2
        .value_kind:     hidden_group_size_z
      - .offset:         3178
        .size:           2
        .value_kind:     hidden_remainder_x
      - .offset:         3180
        .size:           2
        .value_kind:     hidden_remainder_y
      - .offset:         3182
        .size:           2
        .value_kind:     hidden_remainder_z
      - .offset:         3200
        .size:           8
        .value_kind:     hidden_global_offset_x
      - .offset:         3208
        .size:           8
        .value_kind:     hidden_global_offset_y
      - .offset:         3216
        .size:           8
        .value_kind:     hidden_global_offset_z
      - .offset:         3224
        .size:           2
        .value_kind:     hidden_grid_dims
    .group_segment_fixed_size: 0
    .kernarg_segment_align: 8
    .kernarg_segment_size: 3416
    .language:       OpenCL C
    .language_version:
      - 2
      - 0
    .max_flat_workgroup_size: 512
    .name:           _ZN2at6native12_GLOBAL__N_125multi_tensor_apply_kernelINS1_18TensorListMetadataILi3EEENS1_24BinaryOpListAlphaFunctorIlLi3ELi2ELi2EEEJSt5minusIlElEEEvT_T0_DpT1_
    .private_segment_fixed_size: 0
    .sgpr_count:     30
    .sgpr_spill_count: 0
    .symbol:         _ZN2at6native12_GLOBAL__N_125multi_tensor_apply_kernelINS1_18TensorListMetadataILi3EEENS1_24BinaryOpListAlphaFunctorIlLi3ELi2ELi2EEEJSt5minusIlElEEEvT_T0_DpT1_.kd
    .uniform_work_group_size: 1
    .uses_dynamic_stack: false
    .vgpr_count:     50
    .vgpr_spill_count: 0
    .wavefront_size: 32
    .workgroup_processor_mode: 1
  - .args:
      - .offset:         0
        .size:           3144
        .value_kind:     by_value
      - .offset:         3144
        .size:           1
        .value_kind:     by_value
      - .offset:         3145
        .size:           1
        .value_kind:     by_value
      - .offset:         3146
        .size:           2
        .value_kind:     by_value
      - .offset:         3152
        .size:           4
        .value_kind:     hidden_block_count_x
      - .offset:         3156
        .size:           4
        .value_kind:     hidden_block_count_y
      - .offset:         3160
        .size:           4
        .value_kind:     hidden_block_count_z
      - .offset:         3164
        .size:           2
        .value_kind:     hidden_group_size_x
      - .offset:         3166
        .size:           2
        .value_kind:     hidden_group_size_y
      - .offset:         3168
        .size:           2
        .value_kind:     hidden_group_size_z
      - .offset:         3170
        .size:           2
        .value_kind:     hidden_remainder_x
      - .offset:         3172
        .size:           2
        .value_kind:     hidden_remainder_y
      - .offset:         3174
        .size:           2
        .value_kind:     hidden_remainder_z
      - .offset:         3192
        .size:           8
        .value_kind:     hidden_global_offset_x
      - .offset:         3200
        .size:           8
        .value_kind:     hidden_global_offset_y
      - .offset:         3208
        .size:           8
        .value_kind:     hidden_global_offset_z
      - .offset:         3216
        .size:           2
        .value_kind:     hidden_grid_dims
    .group_segment_fixed_size: 0
    .kernarg_segment_align: 8
    .kernarg_segment_size: 3408
    .language:       OpenCL C
    .language_version:
      - 2
      - 0
    .max_flat_workgroup_size: 512
    .name:           _ZN2at6native12_GLOBAL__N_125multi_tensor_apply_kernelINS1_18TensorListMetadataILi3EEENS1_24BinaryOpListAlphaFunctorIsLi3ELi2ELi2EEEJSt5minusIsEsEEEvT_T0_DpT1_
    .private_segment_fixed_size: 0
    .sgpr_count:     24
    .sgpr_spill_count: 0
    .symbol:         _ZN2at6native12_GLOBAL__N_125multi_tensor_apply_kernelINS1_18TensorListMetadataILi3EEENS1_24BinaryOpListAlphaFunctorIsLi3ELi2ELi2EEEJSt5minusIsEsEEEvT_T0_DpT1_.kd
    .uniform_work_group_size: 1
    .uses_dynamic_stack: false
    .vgpr_count:     39
    .vgpr_spill_count: 0
    .wavefront_size: 32
    .workgroup_processor_mode: 1
  - .args:
      - .offset:         0
        .size:           3144
        .value_kind:     by_value
      - .offset:         3144
        .size:           1
        .value_kind:     by_value
      - .offset:         3145
        .size:           1
        .value_kind:     by_value
      - .offset:         3152
        .size:           8
        .value_kind:     by_value
      - .offset:         3160
        .size:           4
        .value_kind:     hidden_block_count_x
      - .offset:         3164
        .size:           4
        .value_kind:     hidden_block_count_y
      - .offset:         3168
        .size:           4
        .value_kind:     hidden_block_count_z
      - .offset:         3172
        .size:           2
        .value_kind:     hidden_group_size_x
      - .offset:         3174
        .size:           2
        .value_kind:     hidden_group_size_y
      - .offset:         3176
        .size:           2
        .value_kind:     hidden_group_size_z
      - .offset:         3178
        .size:           2
        .value_kind:     hidden_remainder_x
      - .offset:         3180
        .size:           2
        .value_kind:     hidden_remainder_y
      - .offset:         3182
        .size:           2
        .value_kind:     hidden_remainder_z
      - .offset:         3200
        .size:           8
        .value_kind:     hidden_global_offset_x
      - .offset:         3208
        .size:           8
        .value_kind:     hidden_global_offset_y
      - .offset:         3216
        .size:           8
        .value_kind:     hidden_global_offset_z
      - .offset:         3224
        .size:           2
        .value_kind:     hidden_grid_dims
    .group_segment_fixed_size: 0
    .kernarg_segment_align: 8
    .kernarg_segment_size: 3416
    .language:       OpenCL C
    .language_version:
      - 2
      - 0
    .max_flat_workgroup_size: 512
    .name:           _ZN2at6native12_GLOBAL__N_125multi_tensor_apply_kernelINS1_18TensorListMetadataILi3EEENS1_24BinaryOpListAlphaFunctorIdLi3ELi2ELi2EEEJSt5minusIdEdEEEvT_T0_DpT1_
    .private_segment_fixed_size: 0
    .sgpr_count:     29
    .sgpr_spill_count: 0
    .symbol:         _ZN2at6native12_GLOBAL__N_125multi_tensor_apply_kernelINS1_18TensorListMetadataILi3EEENS1_24BinaryOpListAlphaFunctorIdLi3ELi2ELi2EEEJSt5minusIdEdEEEvT_T0_DpT1_.kd
    .uniform_work_group_size: 1
    .uses_dynamic_stack: false
    .vgpr_count:     47
    .vgpr_spill_count: 0
    .wavefront_size: 32
    .workgroup_processor_mode: 1
  - .args:
      - .offset:         0
        .size:           3144
        .value_kind:     by_value
      - .offset:         3144
        .size:           1
        .value_kind:     by_value
      - .offset:         3145
        .size:           1
        .value_kind:     by_value
      - .offset:         3148
        .size:           4
        .value_kind:     by_value
      - .offset:         3152
        .size:           4
        .value_kind:     hidden_block_count_x
      - .offset:         3156
        .size:           4
        .value_kind:     hidden_block_count_y
      - .offset:         3160
        .size:           4
        .value_kind:     hidden_block_count_z
      - .offset:         3164
        .size:           2
        .value_kind:     hidden_group_size_x
      - .offset:         3166
        .size:           2
        .value_kind:     hidden_group_size_y
      - .offset:         3168
        .size:           2
        .value_kind:     hidden_group_size_z
      - .offset:         3170
        .size:           2
        .value_kind:     hidden_remainder_x
      - .offset:         3172
        .size:           2
        .value_kind:     hidden_remainder_y
      - .offset:         3174
        .size:           2
        .value_kind:     hidden_remainder_z
      - .offset:         3192
        .size:           8
        .value_kind:     hidden_global_offset_x
      - .offset:         3200
        .size:           8
        .value_kind:     hidden_global_offset_y
      - .offset:         3208
        .size:           8
        .value_kind:     hidden_global_offset_z
      - .offset:         3216
        .size:           2
        .value_kind:     hidden_grid_dims
    .group_segment_fixed_size: 0
    .kernarg_segment_align: 8
    .kernarg_segment_size: 3408
    .language:       OpenCL C
    .language_version:
      - 2
      - 0
    .max_flat_workgroup_size: 512
    .name:           _ZN2at6native12_GLOBAL__N_125multi_tensor_apply_kernelINS1_18TensorListMetadataILi3EEENS1_24BinaryOpListAlphaFunctorIfLi3ELi2ELi2EEEJSt5minusIfEfEEEvT_T0_DpT1_
    .private_segment_fixed_size: 0
    .sgpr_count:     30
    .sgpr_spill_count: 0
    .symbol:         _ZN2at6native12_GLOBAL__N_125multi_tensor_apply_kernelINS1_18TensorListMetadataILi3EEENS1_24BinaryOpListAlphaFunctorIfLi3ELi2ELi2EEEJSt5minusIfEfEEEvT_T0_DpT1_.kd
    .uniform_work_group_size: 1
    .uses_dynamic_stack: false
    .vgpr_count:     41
    .vgpr_spill_count: 0
    .wavefront_size: 32
    .workgroup_processor_mode: 1
  - .args:
      - .offset:         0
        .size:           3144
        .value_kind:     by_value
      - .offset:         3144
        .size:           1
        .value_kind:     by_value
      - .offset:         3145
        .size:           1
        .value_kind:     by_value
      - .offset:         3152
        .size:           16
        .value_kind:     by_value
      - .offset:         3168
        .size:           4
        .value_kind:     hidden_block_count_x
      - .offset:         3172
        .size:           4
        .value_kind:     hidden_block_count_y
      - .offset:         3176
        .size:           4
        .value_kind:     hidden_block_count_z
      - .offset:         3180
        .size:           2
        .value_kind:     hidden_group_size_x
      - .offset:         3182
        .size:           2
        .value_kind:     hidden_group_size_y
      - .offset:         3184
        .size:           2
        .value_kind:     hidden_group_size_z
      - .offset:         3186
        .size:           2
        .value_kind:     hidden_remainder_x
      - .offset:         3188
        .size:           2
        .value_kind:     hidden_remainder_y
      - .offset:         3190
        .size:           2
        .value_kind:     hidden_remainder_z
      - .offset:         3208
        .size:           8
        .value_kind:     hidden_global_offset_x
      - .offset:         3216
        .size:           8
        .value_kind:     hidden_global_offset_y
      - .offset:         3224
        .size:           8
        .value_kind:     hidden_global_offset_z
      - .offset:         3232
        .size:           2
        .value_kind:     hidden_grid_dims
    .group_segment_fixed_size: 0
    .kernarg_segment_align: 16
    .kernarg_segment_size: 3424
    .language:       OpenCL C
    .language_version:
      - 2
      - 0
    .max_flat_workgroup_size: 512
    .name:           _ZN2at6native12_GLOBAL__N_125multi_tensor_apply_kernelINS1_18TensorListMetadataILi3EEENS1_24BinaryOpListAlphaFunctorIN3c107complexIdEELi3ELi2ELi2EEEJSt5minusIS8_ES8_EEEvT_T0_DpT1_
    .private_segment_fixed_size: 0
    .sgpr_count:     31
    .sgpr_spill_count: 0
    .symbol:         _ZN2at6native12_GLOBAL__N_125multi_tensor_apply_kernelINS1_18TensorListMetadataILi3EEENS1_24BinaryOpListAlphaFunctorIN3c107complexIdEELi3ELi2ELi2EEEJSt5minusIS8_ES8_EEEvT_T0_DpT1_.kd
    .uniform_work_group_size: 1
    .uses_dynamic_stack: false
    .vgpr_count:     62
    .vgpr_spill_count: 0
    .wavefront_size: 32
    .workgroup_processor_mode: 1
  - .args:
      - .offset:         0
        .size:           3144
        .value_kind:     by_value
      - .offset:         3144
        .size:           1
        .value_kind:     by_value
      - .offset:         3145
        .size:           1
        .value_kind:     by_value
      - .offset:         3152
        .size:           8
        .value_kind:     by_value
      - .offset:         3160
        .size:           4
        .value_kind:     hidden_block_count_x
      - .offset:         3164
        .size:           4
        .value_kind:     hidden_block_count_y
      - .offset:         3168
        .size:           4
        .value_kind:     hidden_block_count_z
      - .offset:         3172
        .size:           2
        .value_kind:     hidden_group_size_x
      - .offset:         3174
        .size:           2
        .value_kind:     hidden_group_size_y
      - .offset:         3176
        .size:           2
        .value_kind:     hidden_group_size_z
      - .offset:         3178
        .size:           2
        .value_kind:     hidden_remainder_x
      - .offset:         3180
        .size:           2
        .value_kind:     hidden_remainder_y
      - .offset:         3182
        .size:           2
        .value_kind:     hidden_remainder_z
      - .offset:         3200
        .size:           8
        .value_kind:     hidden_global_offset_x
      - .offset:         3208
        .size:           8
        .value_kind:     hidden_global_offset_y
      - .offset:         3216
        .size:           8
        .value_kind:     hidden_global_offset_z
      - .offset:         3224
        .size:           2
        .value_kind:     hidden_grid_dims
    .group_segment_fixed_size: 0
    .kernarg_segment_align: 8
    .kernarg_segment_size: 3416
    .language:       OpenCL C
    .language_version:
      - 2
      - 0
    .max_flat_workgroup_size: 512
    .name:           _ZN2at6native12_GLOBAL__N_125multi_tensor_apply_kernelINS1_18TensorListMetadataILi3EEENS1_24BinaryOpListAlphaFunctorIN3c107complexIfEELi3ELi2ELi2EEEJSt5minusIS8_ES8_EEEvT_T0_DpT1_
    .private_segment_fixed_size: 0
    .sgpr_count:     29
    .sgpr_spill_count: 0
    .symbol:         _ZN2at6native12_GLOBAL__N_125multi_tensor_apply_kernelINS1_18TensorListMetadataILi3EEENS1_24BinaryOpListAlphaFunctorIN3c107complexIfEELi3ELi2ELi2EEEJSt5minusIS8_ES8_EEEvT_T0_DpT1_.kd
    .uniform_work_group_size: 1
    .uses_dynamic_stack: false
    .vgpr_count:     44
    .vgpr_spill_count: 0
    .wavefront_size: 32
    .workgroup_processor_mode: 1
  - .args:
      - .offset:         0
        .size:           3144
        .value_kind:     by_value
      - .offset:         3144
        .size:           1
        .value_kind:     by_value
      - .offset:         3145
        .size:           1
        .value_kind:     by_value
      - .offset:         3146
        .size:           1
        .value_kind:     by_value
      - .offset:         3152
        .size:           4
        .value_kind:     hidden_block_count_x
      - .offset:         3156
        .size:           4
        .value_kind:     hidden_block_count_y
      - .offset:         3160
        .size:           4
        .value_kind:     hidden_block_count_z
      - .offset:         3164
        .size:           2
        .value_kind:     hidden_group_size_x
      - .offset:         3166
        .size:           2
        .value_kind:     hidden_group_size_y
      - .offset:         3168
        .size:           2
        .value_kind:     hidden_group_size_z
      - .offset:         3170
        .size:           2
        .value_kind:     hidden_remainder_x
      - .offset:         3172
        .size:           2
        .value_kind:     hidden_remainder_y
      - .offset:         3174
        .size:           2
        .value_kind:     hidden_remainder_z
      - .offset:         3192
        .size:           8
        .value_kind:     hidden_global_offset_x
      - .offset:         3200
        .size:           8
        .value_kind:     hidden_global_offset_y
      - .offset:         3208
        .size:           8
        .value_kind:     hidden_global_offset_z
      - .offset:         3216
        .size:           2
        .value_kind:     hidden_grid_dims
    .group_segment_fixed_size: 0
    .kernarg_segment_align: 8
    .kernarg_segment_size: 3408
    .language:       OpenCL C
    .language_version:
      - 2
      - 0
    .max_flat_workgroup_size: 512
    .name:           _ZN2at6native12_GLOBAL__N_125multi_tensor_apply_kernelINS1_18TensorListMetadataILi3EEENS1_24BinaryOpListAlphaFunctorIbLi3ELi2ELi2EEEJSt5minusIbEbEEEvT_T0_DpT1_
    .private_segment_fixed_size: 0
    .sgpr_count:     28
    .sgpr_spill_count: 0
    .symbol:         _ZN2at6native12_GLOBAL__N_125multi_tensor_apply_kernelINS1_18TensorListMetadataILi3EEENS1_24BinaryOpListAlphaFunctorIbLi3ELi2ELi2EEEJSt5minusIbEbEEEvT_T0_DpT1_.kd
    .uniform_work_group_size: 1
    .uses_dynamic_stack: false
    .vgpr_count:     39
    .vgpr_spill_count: 0
    .wavefront_size: 32
    .workgroup_processor_mode: 1
  - .args:
      - .offset:         0
        .size:           3144
        .value_kind:     by_value
      - .offset:         3144
        .size:           1
        .value_kind:     by_value
      - .offset:         3145
        .size:           1
        .value_kind:     by_value
      - .offset:         3148
        .size:           4
        .value_kind:     by_value
      - .offset:         3152
        .size:           4
        .value_kind:     hidden_block_count_x
      - .offset:         3156
        .size:           4
        .value_kind:     hidden_block_count_y
      - .offset:         3160
        .size:           4
        .value_kind:     hidden_block_count_z
      - .offset:         3164
        .size:           2
        .value_kind:     hidden_group_size_x
      - .offset:         3166
        .size:           2
        .value_kind:     hidden_group_size_y
      - .offset:         3168
        .size:           2
        .value_kind:     hidden_group_size_z
      - .offset:         3170
        .size:           2
        .value_kind:     hidden_remainder_x
      - .offset:         3172
        .size:           2
        .value_kind:     hidden_remainder_y
      - .offset:         3174
        .size:           2
        .value_kind:     hidden_remainder_z
      - .offset:         3192
        .size:           8
        .value_kind:     hidden_global_offset_x
      - .offset:         3200
        .size:           8
        .value_kind:     hidden_global_offset_y
      - .offset:         3208
        .size:           8
        .value_kind:     hidden_global_offset_z
      - .offset:         3216
        .size:           2
        .value_kind:     hidden_grid_dims
    .group_segment_fixed_size: 0
    .kernarg_segment_align: 8
    .kernarg_segment_size: 3408
    .language:       OpenCL C
    .language_version:
      - 2
      - 0
    .max_flat_workgroup_size: 512
    .name:           _ZN2at6native12_GLOBAL__N_125multi_tensor_apply_kernelINS1_18TensorListMetadataILi3EEENS1_24BinaryOpListAlphaFunctorIN3c108BFloat16ELi3ELi2ELi2EEEJSt5minusIfEfEEEvT_T0_DpT1_
    .private_segment_fixed_size: 0
    .sgpr_count:     24
    .sgpr_spill_count: 0
    .symbol:         _ZN2at6native12_GLOBAL__N_125multi_tensor_apply_kernelINS1_18TensorListMetadataILi3EEENS1_24BinaryOpListAlphaFunctorIN3c108BFloat16ELi3ELi2ELi2EEEJSt5minusIfEfEEEvT_T0_DpT1_.kd
    .uniform_work_group_size: 1
    .uses_dynamic_stack: false
    .vgpr_count:     40
    .vgpr_spill_count: 0
    .wavefront_size: 32
    .workgroup_processor_mode: 1
  - .args:
      - .offset:         0
        .size:           3144
        .value_kind:     by_value
      - .offset:         3144
        .size:           1
        .value_kind:     by_value
      - .offset:         3145
        .size:           1
        .value_kind:     by_value
      - .offset:         3148
        .size:           4
        .value_kind:     by_value
      - .offset:         3152
        .size:           4
        .value_kind:     hidden_block_count_x
      - .offset:         3156
        .size:           4
        .value_kind:     hidden_block_count_y
      - .offset:         3160
        .size:           4
        .value_kind:     hidden_block_count_z
      - .offset:         3164
        .size:           2
        .value_kind:     hidden_group_size_x
      - .offset:         3166
        .size:           2
        .value_kind:     hidden_group_size_y
      - .offset:         3168
        .size:           2
        .value_kind:     hidden_group_size_z
      - .offset:         3170
        .size:           2
        .value_kind:     hidden_remainder_x
      - .offset:         3172
        .size:           2
        .value_kind:     hidden_remainder_y
      - .offset:         3174
        .size:           2
        .value_kind:     hidden_remainder_z
      - .offset:         3192
        .size:           8
        .value_kind:     hidden_global_offset_x
      - .offset:         3200
        .size:           8
        .value_kind:     hidden_global_offset_y
      - .offset:         3208
        .size:           8
        .value_kind:     hidden_global_offset_z
      - .offset:         3216
        .size:           2
        .value_kind:     hidden_grid_dims
    .group_segment_fixed_size: 0
    .kernarg_segment_align: 8
    .kernarg_segment_size: 3408
    .language:       OpenCL C
    .language_version:
      - 2
      - 0
    .max_flat_workgroup_size: 512
    .name:           _ZN2at6native12_GLOBAL__N_125multi_tensor_apply_kernelINS1_18TensorListMetadataILi3EEENS1_24BinaryOpListAlphaFunctorIN3c104HalfELi3ELi2ELi2EEEJSt5minusIfEfEEEvT_T0_DpT1_
    .private_segment_fixed_size: 0
    .sgpr_count:     30
    .sgpr_spill_count: 0
    .symbol:         _ZN2at6native12_GLOBAL__N_125multi_tensor_apply_kernelINS1_18TensorListMetadataILi3EEENS1_24BinaryOpListAlphaFunctorIN3c104HalfELi3ELi2ELi2EEEJSt5minusIfEfEEEvT_T0_DpT1_.kd
    .uniform_work_group_size: 1
    .uses_dynamic_stack: false
    .vgpr_count:     41
    .vgpr_spill_count: 0
    .wavefront_size: 32
    .workgroup_processor_mode: 1
  - .args:
      - .offset:         0
        .size:           3144
        .value_kind:     by_value
      - .offset:         3144
        .size:           1
        .value_kind:     by_value
      - .offset:         3145
        .size:           1
        .value_kind:     by_value
      - .offset:         3146
        .size:           1
        .value_kind:     by_value
      - .offset:         3152
        .size:           4
        .value_kind:     hidden_block_count_x
      - .offset:         3156
        .size:           4
        .value_kind:     hidden_block_count_y
      - .offset:         3160
        .size:           4
        .value_kind:     hidden_block_count_z
      - .offset:         3164
        .size:           2
        .value_kind:     hidden_group_size_x
      - .offset:         3166
        .size:           2
        .value_kind:     hidden_group_size_y
      - .offset:         3168
        .size:           2
        .value_kind:     hidden_group_size_z
      - .offset:         3170
        .size:           2
        .value_kind:     hidden_remainder_x
      - .offset:         3172
        .size:           2
        .value_kind:     hidden_remainder_y
      - .offset:         3174
        .size:           2
        .value_kind:     hidden_remainder_z
      - .offset:         3192
        .size:           8
        .value_kind:     hidden_global_offset_x
      - .offset:         3200
        .size:           8
        .value_kind:     hidden_global_offset_y
      - .offset:         3208
        .size:           8
        .value_kind:     hidden_global_offset_z
      - .offset:         3216
        .size:           2
        .value_kind:     hidden_grid_dims
    .group_segment_fixed_size: 0
    .kernarg_segment_align: 8
    .kernarg_segment_size: 3408
    .language:       OpenCL C
    .language_version:
      - 2
      - 0
    .max_flat_workgroup_size: 512
    .name:           _ZN2at6native12_GLOBAL__N_125multi_tensor_apply_kernelINS1_18TensorListMetadataILi2EEENS1_24BinaryOpListAlphaFunctorIhLi2ELi2ELi0EEEJSt10multipliesIhEhEEEvT_T0_DpT1_
    .private_segment_fixed_size: 0
    .sgpr_count:     22
    .sgpr_spill_count: 0
    .symbol:         _ZN2at6native12_GLOBAL__N_125multi_tensor_apply_kernelINS1_18TensorListMetadataILi2EEENS1_24BinaryOpListAlphaFunctorIhLi2ELi2ELi0EEEJSt10multipliesIhEhEEEvT_T0_DpT1_.kd
    .uniform_work_group_size: 1
    .uses_dynamic_stack: false
    .vgpr_count:     31
    .vgpr_spill_count: 0
    .wavefront_size: 32
    .workgroup_processor_mode: 1
  - .args:
      - .offset:         0
        .size:           3144
        .value_kind:     by_value
      - .offset:         3144
        .size:           1
        .value_kind:     by_value
      - .offset:         3145
        .size:           1
        .value_kind:     by_value
      - .offset:         3146
        .size:           1
        .value_kind:     by_value
      - .offset:         3152
        .size:           4
        .value_kind:     hidden_block_count_x
      - .offset:         3156
        .size:           4
        .value_kind:     hidden_block_count_y
      - .offset:         3160
        .size:           4
        .value_kind:     hidden_block_count_z
      - .offset:         3164
        .size:           2
        .value_kind:     hidden_group_size_x
      - .offset:         3166
        .size:           2
        .value_kind:     hidden_group_size_y
      - .offset:         3168
        .size:           2
        .value_kind:     hidden_group_size_z
      - .offset:         3170
        .size:           2
        .value_kind:     hidden_remainder_x
      - .offset:         3172
        .size:           2
        .value_kind:     hidden_remainder_y
      - .offset:         3174
        .size:           2
        .value_kind:     hidden_remainder_z
      - .offset:         3192
        .size:           8
        .value_kind:     hidden_global_offset_x
      - .offset:         3200
        .size:           8
        .value_kind:     hidden_global_offset_y
      - .offset:         3208
        .size:           8
        .value_kind:     hidden_global_offset_z
      - .offset:         3216
        .size:           2
        .value_kind:     hidden_grid_dims
    .group_segment_fixed_size: 0
    .kernarg_segment_align: 8
    .kernarg_segment_size: 3408
    .language:       OpenCL C
    .language_version:
      - 2
      - 0
    .max_flat_workgroup_size: 512
    .name:           _ZN2at6native12_GLOBAL__N_125multi_tensor_apply_kernelINS1_18TensorListMetadataILi2EEENS1_24BinaryOpListAlphaFunctorIaLi2ELi2ELi0EEEJSt10multipliesIaEaEEEvT_T0_DpT1_
    .private_segment_fixed_size: 0
    .sgpr_count:     22
    .sgpr_spill_count: 0
    .symbol:         _ZN2at6native12_GLOBAL__N_125multi_tensor_apply_kernelINS1_18TensorListMetadataILi2EEENS1_24BinaryOpListAlphaFunctorIaLi2ELi2ELi0EEEJSt10multipliesIaEaEEEvT_T0_DpT1_.kd
    .uniform_work_group_size: 1
    .uses_dynamic_stack: false
    .vgpr_count:     31
    .vgpr_spill_count: 0
    .wavefront_size: 32
    .workgroup_processor_mode: 1
  - .args:
      - .offset:         0
        .size:           3144
        .value_kind:     by_value
      - .offset:         3144
        .size:           1
        .value_kind:     by_value
      - .offset:         3145
        .size:           1
        .value_kind:     by_value
      - .offset:         3148
        .size:           4
        .value_kind:     by_value
      - .offset:         3152
        .size:           4
        .value_kind:     hidden_block_count_x
      - .offset:         3156
        .size:           4
        .value_kind:     hidden_block_count_y
      - .offset:         3160
        .size:           4
        .value_kind:     hidden_block_count_z
      - .offset:         3164
        .size:           2
        .value_kind:     hidden_group_size_x
      - .offset:         3166
        .size:           2
        .value_kind:     hidden_group_size_y
      - .offset:         3168
        .size:           2
        .value_kind:     hidden_group_size_z
      - .offset:         3170
        .size:           2
        .value_kind:     hidden_remainder_x
      - .offset:         3172
        .size:           2
        .value_kind:     hidden_remainder_y
      - .offset:         3174
        .size:           2
        .value_kind:     hidden_remainder_z
      - .offset:         3192
        .size:           8
        .value_kind:     hidden_global_offset_x
      - .offset:         3200
        .size:           8
        .value_kind:     hidden_global_offset_y
      - .offset:         3208
        .size:           8
        .value_kind:     hidden_global_offset_z
      - .offset:         3216
        .size:           2
        .value_kind:     hidden_grid_dims
    .group_segment_fixed_size: 0
    .kernarg_segment_align: 8
    .kernarg_segment_size: 3408
    .language:       OpenCL C
    .language_version:
      - 2
      - 0
    .max_flat_workgroup_size: 512
    .name:           _ZN2at6native12_GLOBAL__N_125multi_tensor_apply_kernelINS1_18TensorListMetadataILi2EEENS1_24BinaryOpListAlphaFunctorIiLi2ELi2ELi0EEEJSt10multipliesIiEiEEEvT_T0_DpT1_
    .private_segment_fixed_size: 0
    .sgpr_count:     26
    .sgpr_spill_count: 0
    .symbol:         _ZN2at6native12_GLOBAL__N_125multi_tensor_apply_kernelINS1_18TensorListMetadataILi2EEENS1_24BinaryOpListAlphaFunctorIiLi2ELi2ELi0EEEJSt10multipliesIiEiEEEvT_T0_DpT1_.kd
    .uniform_work_group_size: 1
    .uses_dynamic_stack: false
    .vgpr_count:     33
    .vgpr_spill_count: 0
    .wavefront_size: 32
    .workgroup_processor_mode: 1
  - .args:
      - .offset:         0
        .size:           3144
        .value_kind:     by_value
      - .offset:         3144
        .size:           1
        .value_kind:     by_value
      - .offset:         3145
        .size:           1
        .value_kind:     by_value
      - .offset:         3152
        .size:           8
        .value_kind:     by_value
      - .offset:         3160
        .size:           4
        .value_kind:     hidden_block_count_x
      - .offset:         3164
        .size:           4
        .value_kind:     hidden_block_count_y
      - .offset:         3168
        .size:           4
        .value_kind:     hidden_block_count_z
      - .offset:         3172
        .size:           2
        .value_kind:     hidden_group_size_x
      - .offset:         3174
        .size:           2
        .value_kind:     hidden_group_size_y
      - .offset:         3176
        .size:           2
        .value_kind:     hidden_group_size_z
      - .offset:         3178
        .size:           2
        .value_kind:     hidden_remainder_x
      - .offset:         3180
        .size:           2
        .value_kind:     hidden_remainder_y
      - .offset:         3182
        .size:           2
        .value_kind:     hidden_remainder_z
      - .offset:         3200
        .size:           8
        .value_kind:     hidden_global_offset_x
      - .offset:         3208
        .size:           8
        .value_kind:     hidden_global_offset_y
      - .offset:         3216
        .size:           8
        .value_kind:     hidden_global_offset_z
      - .offset:         3224
        .size:           2
        .value_kind:     hidden_grid_dims
    .group_segment_fixed_size: 0
    .kernarg_segment_align: 8
    .kernarg_segment_size: 3416
    .language:       OpenCL C
    .language_version:
      - 2
      - 0
    .max_flat_workgroup_size: 512
    .name:           _ZN2at6native12_GLOBAL__N_125multi_tensor_apply_kernelINS1_18TensorListMetadataILi2EEENS1_24BinaryOpListAlphaFunctorIlLi2ELi2ELi0EEEJSt10multipliesIlElEEEvT_T0_DpT1_
    .private_segment_fixed_size: 0
    .sgpr_count:     26
    .sgpr_spill_count: 0
    .symbol:         _ZN2at6native12_GLOBAL__N_125multi_tensor_apply_kernelINS1_18TensorListMetadataILi2EEENS1_24BinaryOpListAlphaFunctorIlLi2ELi2ELi0EEEJSt10multipliesIlElEEEvT_T0_DpT1_.kd
    .uniform_work_group_size: 1
    .uses_dynamic_stack: false
    .vgpr_count:     42
    .vgpr_spill_count: 0
    .wavefront_size: 32
    .workgroup_processor_mode: 1
  - .args:
      - .offset:         0
        .size:           3144
        .value_kind:     by_value
      - .offset:         3144
        .size:           1
        .value_kind:     by_value
      - .offset:         3145
        .size:           1
        .value_kind:     by_value
      - .offset:         3146
        .size:           2
        .value_kind:     by_value
      - .offset:         3152
        .size:           4
        .value_kind:     hidden_block_count_x
      - .offset:         3156
        .size:           4
        .value_kind:     hidden_block_count_y
      - .offset:         3160
        .size:           4
        .value_kind:     hidden_block_count_z
      - .offset:         3164
        .size:           2
        .value_kind:     hidden_group_size_x
      - .offset:         3166
        .size:           2
        .value_kind:     hidden_group_size_y
      - .offset:         3168
        .size:           2
        .value_kind:     hidden_group_size_z
      - .offset:         3170
        .size:           2
        .value_kind:     hidden_remainder_x
      - .offset:         3172
        .size:           2
        .value_kind:     hidden_remainder_y
      - .offset:         3174
        .size:           2
        .value_kind:     hidden_remainder_z
      - .offset:         3192
        .size:           8
        .value_kind:     hidden_global_offset_x
      - .offset:         3200
        .size:           8
        .value_kind:     hidden_global_offset_y
      - .offset:         3208
        .size:           8
        .value_kind:     hidden_global_offset_z
      - .offset:         3216
        .size:           2
        .value_kind:     hidden_grid_dims
    .group_segment_fixed_size: 0
    .kernarg_segment_align: 8
    .kernarg_segment_size: 3408
    .language:       OpenCL C
    .language_version:
      - 2
      - 0
    .max_flat_workgroup_size: 512
    .name:           _ZN2at6native12_GLOBAL__N_125multi_tensor_apply_kernelINS1_18TensorListMetadataILi2EEENS1_24BinaryOpListAlphaFunctorIsLi2ELi2ELi0EEEJSt10multipliesIsEsEEEvT_T0_DpT1_
    .private_segment_fixed_size: 0
    .sgpr_count:     22
    .sgpr_spill_count: 0
    .symbol:         _ZN2at6native12_GLOBAL__N_125multi_tensor_apply_kernelINS1_18TensorListMetadataILi2EEENS1_24BinaryOpListAlphaFunctorIsLi2ELi2ELi0EEEJSt10multipliesIsEsEEEvT_T0_DpT1_.kd
    .uniform_work_group_size: 1
    .uses_dynamic_stack: false
    .vgpr_count:     31
    .vgpr_spill_count: 0
    .wavefront_size: 32
    .workgroup_processor_mode: 1
  - .args:
      - .offset:         0
        .size:           3144
        .value_kind:     by_value
      - .offset:         3144
        .size:           1
        .value_kind:     by_value
      - .offset:         3145
        .size:           1
        .value_kind:     by_value
      - .offset:         3152
        .size:           8
        .value_kind:     by_value
      - .offset:         3160
        .size:           4
        .value_kind:     hidden_block_count_x
      - .offset:         3164
        .size:           4
        .value_kind:     hidden_block_count_y
      - .offset:         3168
        .size:           4
        .value_kind:     hidden_block_count_z
      - .offset:         3172
        .size:           2
        .value_kind:     hidden_group_size_x
      - .offset:         3174
        .size:           2
        .value_kind:     hidden_group_size_y
      - .offset:         3176
        .size:           2
        .value_kind:     hidden_group_size_z
      - .offset:         3178
        .size:           2
        .value_kind:     hidden_remainder_x
      - .offset:         3180
        .size:           2
        .value_kind:     hidden_remainder_y
      - .offset:         3182
        .size:           2
        .value_kind:     hidden_remainder_z
      - .offset:         3200
        .size:           8
        .value_kind:     hidden_global_offset_x
      - .offset:         3208
        .size:           8
        .value_kind:     hidden_global_offset_y
      - .offset:         3216
        .size:           8
        .value_kind:     hidden_global_offset_z
      - .offset:         3224
        .size:           2
        .value_kind:     hidden_grid_dims
    .group_segment_fixed_size: 0
    .kernarg_segment_align: 8
    .kernarg_segment_size: 3416
    .language:       OpenCL C
    .language_version:
      - 2
      - 0
    .max_flat_workgroup_size: 512
    .name:           _ZN2at6native12_GLOBAL__N_125multi_tensor_apply_kernelINS1_18TensorListMetadataILi2EEENS1_24BinaryOpListAlphaFunctorIdLi2ELi2ELi0EEEJSt10multipliesIdEdEEEvT_T0_DpT1_
    .private_segment_fixed_size: 0
    .sgpr_count:     26
    .sgpr_spill_count: 0
    .symbol:         _ZN2at6native12_GLOBAL__N_125multi_tensor_apply_kernelINS1_18TensorListMetadataILi2EEENS1_24BinaryOpListAlphaFunctorIdLi2ELi2ELi0EEEJSt10multipliesIdEdEEEvT_T0_DpT1_.kd
    .uniform_work_group_size: 1
    .uses_dynamic_stack: false
    .vgpr_count:     39
    .vgpr_spill_count: 0
    .wavefront_size: 32
    .workgroup_processor_mode: 1
  - .args:
      - .offset:         0
        .size:           3144
        .value_kind:     by_value
      - .offset:         3144
        .size:           1
        .value_kind:     by_value
      - .offset:         3145
        .size:           1
        .value_kind:     by_value
      - .offset:         3148
        .size:           4
        .value_kind:     by_value
      - .offset:         3152
        .size:           4
        .value_kind:     hidden_block_count_x
      - .offset:         3156
        .size:           4
        .value_kind:     hidden_block_count_y
      - .offset:         3160
        .size:           4
        .value_kind:     hidden_block_count_z
      - .offset:         3164
        .size:           2
        .value_kind:     hidden_group_size_x
      - .offset:         3166
        .size:           2
        .value_kind:     hidden_group_size_y
      - .offset:         3168
        .size:           2
        .value_kind:     hidden_group_size_z
      - .offset:         3170
        .size:           2
        .value_kind:     hidden_remainder_x
      - .offset:         3172
        .size:           2
        .value_kind:     hidden_remainder_y
      - .offset:         3174
        .size:           2
        .value_kind:     hidden_remainder_z
      - .offset:         3192
        .size:           8
        .value_kind:     hidden_global_offset_x
      - .offset:         3200
        .size:           8
        .value_kind:     hidden_global_offset_y
      - .offset:         3208
        .size:           8
        .value_kind:     hidden_global_offset_z
      - .offset:         3216
        .size:           2
        .value_kind:     hidden_grid_dims
    .group_segment_fixed_size: 0
    .kernarg_segment_align: 8
    .kernarg_segment_size: 3408
    .language:       OpenCL C
    .language_version:
      - 2
      - 0
    .max_flat_workgroup_size: 512
    .name:           _ZN2at6native12_GLOBAL__N_125multi_tensor_apply_kernelINS1_18TensorListMetadataILi2EEENS1_24BinaryOpListAlphaFunctorIfLi2ELi2ELi0EEEJSt10multipliesIfEfEEEvT_T0_DpT1_
    .private_segment_fixed_size: 0
    .sgpr_count:     26
    .sgpr_spill_count: 0
    .symbol:         _ZN2at6native12_GLOBAL__N_125multi_tensor_apply_kernelINS1_18TensorListMetadataILi2EEENS1_24BinaryOpListAlphaFunctorIfLi2ELi2ELi0EEEJSt10multipliesIfEfEEEvT_T0_DpT1_.kd
    .uniform_work_group_size: 1
    .uses_dynamic_stack: false
    .vgpr_count:     33
    .vgpr_spill_count: 0
    .wavefront_size: 32
    .workgroup_processor_mode: 1
  - .args:
      - .offset:         0
        .size:           3144
        .value_kind:     by_value
      - .offset:         3144
        .size:           1
        .value_kind:     by_value
      - .offset:         3145
        .size:           1
        .value_kind:     by_value
      - .offset:         3152
        .size:           16
        .value_kind:     by_value
      - .offset:         3168
        .size:           4
        .value_kind:     hidden_block_count_x
      - .offset:         3172
        .size:           4
        .value_kind:     hidden_block_count_y
      - .offset:         3176
        .size:           4
        .value_kind:     hidden_block_count_z
      - .offset:         3180
        .size:           2
        .value_kind:     hidden_group_size_x
      - .offset:         3182
        .size:           2
        .value_kind:     hidden_group_size_y
      - .offset:         3184
        .size:           2
        .value_kind:     hidden_group_size_z
      - .offset:         3186
        .size:           2
        .value_kind:     hidden_remainder_x
      - .offset:         3188
        .size:           2
        .value_kind:     hidden_remainder_y
      - .offset:         3190
        .size:           2
        .value_kind:     hidden_remainder_z
      - .offset:         3208
        .size:           8
        .value_kind:     hidden_global_offset_x
      - .offset:         3216
        .size:           8
        .value_kind:     hidden_global_offset_y
      - .offset:         3224
        .size:           8
        .value_kind:     hidden_global_offset_z
      - .offset:         3232
        .size:           2
        .value_kind:     hidden_grid_dims
    .group_segment_fixed_size: 0
    .kernarg_segment_align: 16
    .kernarg_segment_size: 3424
    .language:       OpenCL C
    .language_version:
      - 2
      - 0
    .max_flat_workgroup_size: 512
    .name:           _ZN2at6native12_GLOBAL__N_125multi_tensor_apply_kernelINS1_18TensorListMetadataILi2EEENS1_24BinaryOpListAlphaFunctorIN3c107complexIdEELi2ELi2ELi0EEEJSt10multipliesIS8_ES8_EEEvT_T0_DpT1_
    .private_segment_fixed_size: 0
    .sgpr_count:     28
    .sgpr_spill_count: 0
    .symbol:         _ZN2at6native12_GLOBAL__N_125multi_tensor_apply_kernelINS1_18TensorListMetadataILi2EEENS1_24BinaryOpListAlphaFunctorIN3c107complexIdEELi2ELi2ELi0EEEJSt10multipliesIS8_ES8_EEEvT_T0_DpT1_.kd
    .uniform_work_group_size: 1
    .uses_dynamic_stack: false
    .vgpr_count:     54
    .vgpr_spill_count: 0
    .wavefront_size: 32
    .workgroup_processor_mode: 1
  - .args:
      - .offset:         0
        .size:           3144
        .value_kind:     by_value
      - .offset:         3144
        .size:           1
        .value_kind:     by_value
      - .offset:         3145
        .size:           1
        .value_kind:     by_value
      - .offset:         3152
        .size:           8
        .value_kind:     by_value
      - .offset:         3160
        .size:           4
        .value_kind:     hidden_block_count_x
      - .offset:         3164
        .size:           4
        .value_kind:     hidden_block_count_y
      - .offset:         3168
        .size:           4
        .value_kind:     hidden_block_count_z
      - .offset:         3172
        .size:           2
        .value_kind:     hidden_group_size_x
      - .offset:         3174
        .size:           2
        .value_kind:     hidden_group_size_y
      - .offset:         3176
        .size:           2
        .value_kind:     hidden_group_size_z
      - .offset:         3178
        .size:           2
        .value_kind:     hidden_remainder_x
      - .offset:         3180
        .size:           2
        .value_kind:     hidden_remainder_y
      - .offset:         3182
        .size:           2
        .value_kind:     hidden_remainder_z
      - .offset:         3200
        .size:           8
        .value_kind:     hidden_global_offset_x
      - .offset:         3208
        .size:           8
        .value_kind:     hidden_global_offset_y
      - .offset:         3216
        .size:           8
        .value_kind:     hidden_global_offset_z
      - .offset:         3224
        .size:           2
        .value_kind:     hidden_grid_dims
    .group_segment_fixed_size: 0
    .kernarg_segment_align: 8
    .kernarg_segment_size: 3416
    .language:       OpenCL C
    .language_version:
      - 2
      - 0
    .max_flat_workgroup_size: 512
    .name:           _ZN2at6native12_GLOBAL__N_125multi_tensor_apply_kernelINS1_18TensorListMetadataILi2EEENS1_24BinaryOpListAlphaFunctorIN3c107complexIfEELi2ELi2ELi0EEEJSt10multipliesIS8_ES8_EEEvT_T0_DpT1_
    .private_segment_fixed_size: 0
    .sgpr_count:     26
    .sgpr_spill_count: 0
    .symbol:         _ZN2at6native12_GLOBAL__N_125multi_tensor_apply_kernelINS1_18TensorListMetadataILi2EEENS1_24BinaryOpListAlphaFunctorIN3c107complexIfEELi2ELi2ELi0EEEJSt10multipliesIS8_ES8_EEEvT_T0_DpT1_.kd
    .uniform_work_group_size: 1
    .uses_dynamic_stack: false
    .vgpr_count:     38
    .vgpr_spill_count: 0
    .wavefront_size: 32
    .workgroup_processor_mode: 1
  - .args:
      - .offset:         0
        .size:           3144
        .value_kind:     by_value
      - .offset:         3144
        .size:           1
        .value_kind:     by_value
      - .offset:         3145
        .size:           1
        .value_kind:     by_value
      - .offset:         3146
        .size:           1
        .value_kind:     by_value
      - .offset:         3152
        .size:           4
        .value_kind:     hidden_block_count_x
      - .offset:         3156
        .size:           4
        .value_kind:     hidden_block_count_y
      - .offset:         3160
        .size:           4
        .value_kind:     hidden_block_count_z
      - .offset:         3164
        .size:           2
        .value_kind:     hidden_group_size_x
      - .offset:         3166
        .size:           2
        .value_kind:     hidden_group_size_y
      - .offset:         3168
        .size:           2
        .value_kind:     hidden_group_size_z
      - .offset:         3170
        .size:           2
        .value_kind:     hidden_remainder_x
      - .offset:         3172
        .size:           2
        .value_kind:     hidden_remainder_y
      - .offset:         3174
        .size:           2
        .value_kind:     hidden_remainder_z
      - .offset:         3192
        .size:           8
        .value_kind:     hidden_global_offset_x
      - .offset:         3200
        .size:           8
        .value_kind:     hidden_global_offset_y
      - .offset:         3208
        .size:           8
        .value_kind:     hidden_global_offset_z
      - .offset:         3216
        .size:           2
        .value_kind:     hidden_grid_dims
    .group_segment_fixed_size: 0
    .kernarg_segment_align: 8
    .kernarg_segment_size: 3408
    .language:       OpenCL C
    .language_version:
      - 2
      - 0
    .max_flat_workgroup_size: 512
    .name:           _ZN2at6native12_GLOBAL__N_125multi_tensor_apply_kernelINS1_18TensorListMetadataILi2EEENS1_24BinaryOpListAlphaFunctorIbLi2ELi2ELi0EEEJSt10multipliesIbEbEEEvT_T0_DpT1_
    .private_segment_fixed_size: 0
    .sgpr_count:     28
    .sgpr_spill_count: 0
    .symbol:         _ZN2at6native12_GLOBAL__N_125multi_tensor_apply_kernelINS1_18TensorListMetadataILi2EEENS1_24BinaryOpListAlphaFunctorIbLi2ELi2ELi0EEEJSt10multipliesIbEbEEEvT_T0_DpT1_.kd
    .uniform_work_group_size: 1
    .uses_dynamic_stack: false
    .vgpr_count:     31
    .vgpr_spill_count: 0
    .wavefront_size: 32
    .workgroup_processor_mode: 1
  - .args:
      - .offset:         0
        .size:           3144
        .value_kind:     by_value
      - .offset:         3144
        .size:           1
        .value_kind:     by_value
      - .offset:         3145
        .size:           1
        .value_kind:     by_value
      - .offset:         3148
        .size:           4
        .value_kind:     by_value
      - .offset:         3152
        .size:           4
        .value_kind:     hidden_block_count_x
      - .offset:         3156
        .size:           4
        .value_kind:     hidden_block_count_y
      - .offset:         3160
        .size:           4
        .value_kind:     hidden_block_count_z
      - .offset:         3164
        .size:           2
        .value_kind:     hidden_group_size_x
      - .offset:         3166
        .size:           2
        .value_kind:     hidden_group_size_y
      - .offset:         3168
        .size:           2
        .value_kind:     hidden_group_size_z
      - .offset:         3170
        .size:           2
        .value_kind:     hidden_remainder_x
      - .offset:         3172
        .size:           2
        .value_kind:     hidden_remainder_y
      - .offset:         3174
        .size:           2
        .value_kind:     hidden_remainder_z
      - .offset:         3192
        .size:           8
        .value_kind:     hidden_global_offset_x
      - .offset:         3200
        .size:           8
        .value_kind:     hidden_global_offset_y
      - .offset:         3208
        .size:           8
        .value_kind:     hidden_global_offset_z
      - .offset:         3216
        .size:           2
        .value_kind:     hidden_grid_dims
    .group_segment_fixed_size: 0
    .kernarg_segment_align: 8
    .kernarg_segment_size: 3408
    .language:       OpenCL C
    .language_version:
      - 2
      - 0
    .max_flat_workgroup_size: 512
    .name:           _ZN2at6native12_GLOBAL__N_125multi_tensor_apply_kernelINS1_18TensorListMetadataILi2EEENS1_24BinaryOpListAlphaFunctorIN3c108BFloat16ELi2ELi2ELi0EEEJSt10multipliesIfEfEEEvT_T0_DpT1_
    .private_segment_fixed_size: 0
    .sgpr_count:     22
    .sgpr_spill_count: 0
    .symbol:         _ZN2at6native12_GLOBAL__N_125multi_tensor_apply_kernelINS1_18TensorListMetadataILi2EEENS1_24BinaryOpListAlphaFunctorIN3c108BFloat16ELi2ELi2ELi0EEEJSt10multipliesIfEfEEEvT_T0_DpT1_.kd
    .uniform_work_group_size: 1
    .uses_dynamic_stack: false
    .vgpr_count:     32
    .vgpr_spill_count: 0
    .wavefront_size: 32
    .workgroup_processor_mode: 1
  - .args:
      - .offset:         0
        .size:           3144
        .value_kind:     by_value
      - .offset:         3144
        .size:           1
        .value_kind:     by_value
      - .offset:         3145
        .size:           1
        .value_kind:     by_value
      - .offset:         3148
        .size:           4
        .value_kind:     by_value
      - .offset:         3152
        .size:           4
        .value_kind:     hidden_block_count_x
      - .offset:         3156
        .size:           4
        .value_kind:     hidden_block_count_y
      - .offset:         3160
        .size:           4
        .value_kind:     hidden_block_count_z
      - .offset:         3164
        .size:           2
        .value_kind:     hidden_group_size_x
      - .offset:         3166
        .size:           2
        .value_kind:     hidden_group_size_y
      - .offset:         3168
        .size:           2
        .value_kind:     hidden_group_size_z
      - .offset:         3170
        .size:           2
        .value_kind:     hidden_remainder_x
      - .offset:         3172
        .size:           2
        .value_kind:     hidden_remainder_y
      - .offset:         3174
        .size:           2
        .value_kind:     hidden_remainder_z
      - .offset:         3192
        .size:           8
        .value_kind:     hidden_global_offset_x
      - .offset:         3200
        .size:           8
        .value_kind:     hidden_global_offset_y
      - .offset:         3208
        .size:           8
        .value_kind:     hidden_global_offset_z
      - .offset:         3216
        .size:           2
        .value_kind:     hidden_grid_dims
    .group_segment_fixed_size: 0
    .kernarg_segment_align: 8
    .kernarg_segment_size: 3408
    .language:       OpenCL C
    .language_version:
      - 2
      - 0
    .max_flat_workgroup_size: 512
    .name:           _ZN2at6native12_GLOBAL__N_125multi_tensor_apply_kernelINS1_18TensorListMetadataILi2EEENS1_24BinaryOpListAlphaFunctorIN3c104HalfELi2ELi2ELi0EEEJSt10multipliesIfEfEEEvT_T0_DpT1_
    .private_segment_fixed_size: 0
    .sgpr_count:     22
    .sgpr_spill_count: 0
    .symbol:         _ZN2at6native12_GLOBAL__N_125multi_tensor_apply_kernelINS1_18TensorListMetadataILi2EEENS1_24BinaryOpListAlphaFunctorIN3c104HalfELi2ELi2ELi0EEEJSt10multipliesIfEfEEEvT_T0_DpT1_.kd
    .uniform_work_group_size: 1
    .uses_dynamic_stack: false
    .vgpr_count:     33
    .vgpr_spill_count: 0
    .wavefront_size: 32
    .workgroup_processor_mode: 1
  - .args:
      - .offset:         0
        .size:           3144
        .value_kind:     by_value
      - .offset:         3144
        .size:           1
        .value_kind:     by_value
      - .offset:         3145
        .size:           1
        .value_kind:     by_value
      - .offset:         3146
        .size:           1
        .value_kind:     by_value
      - .offset:         3152
        .size:           4
        .value_kind:     hidden_block_count_x
      - .offset:         3156
        .size:           4
        .value_kind:     hidden_block_count_y
      - .offset:         3160
        .size:           4
        .value_kind:     hidden_block_count_z
      - .offset:         3164
        .size:           2
        .value_kind:     hidden_group_size_x
      - .offset:         3166
        .size:           2
        .value_kind:     hidden_group_size_y
      - .offset:         3168
        .size:           2
        .value_kind:     hidden_group_size_z
      - .offset:         3170
        .size:           2
        .value_kind:     hidden_remainder_x
      - .offset:         3172
        .size:           2
        .value_kind:     hidden_remainder_y
      - .offset:         3174
        .size:           2
        .value_kind:     hidden_remainder_z
      - .offset:         3192
        .size:           8
        .value_kind:     hidden_global_offset_x
      - .offset:         3200
        .size:           8
        .value_kind:     hidden_global_offset_y
      - .offset:         3208
        .size:           8
        .value_kind:     hidden_global_offset_z
      - .offset:         3216
        .size:           2
        .value_kind:     hidden_grid_dims
    .group_segment_fixed_size: 0
    .kernarg_segment_align: 8
    .kernarg_segment_size: 3408
    .language:       OpenCL C
    .language_version:
      - 2
      - 0
    .max_flat_workgroup_size: 512
    .name:           _ZN2at6native12_GLOBAL__N_125multi_tensor_apply_kernelINS1_18TensorListMetadataILi3EEENS1_24BinaryOpListAlphaFunctorIhLi3ELi2ELi2EEEJSt10multipliesIhEhEEEvT_T0_DpT1_
    .private_segment_fixed_size: 0
    .sgpr_count:     26
    .sgpr_spill_count: 0
    .symbol:         _ZN2at6native12_GLOBAL__N_125multi_tensor_apply_kernelINS1_18TensorListMetadataILi3EEENS1_24BinaryOpListAlphaFunctorIhLi3ELi2ELi2EEEJSt10multipliesIhEhEEEvT_T0_DpT1_.kd
    .uniform_work_group_size: 1
    .uses_dynamic_stack: false
    .vgpr_count:     39
    .vgpr_spill_count: 0
    .wavefront_size: 32
    .workgroup_processor_mode: 1
  - .args:
      - .offset:         0
        .size:           3144
        .value_kind:     by_value
      - .offset:         3144
        .size:           1
        .value_kind:     by_value
      - .offset:         3145
        .size:           1
        .value_kind:     by_value
      - .offset:         3146
        .size:           1
        .value_kind:     by_value
      - .offset:         3152
        .size:           4
        .value_kind:     hidden_block_count_x
      - .offset:         3156
        .size:           4
        .value_kind:     hidden_block_count_y
      - .offset:         3160
        .size:           4
        .value_kind:     hidden_block_count_z
      - .offset:         3164
        .size:           2
        .value_kind:     hidden_group_size_x
      - .offset:         3166
        .size:           2
        .value_kind:     hidden_group_size_y
      - .offset:         3168
        .size:           2
        .value_kind:     hidden_group_size_z
      - .offset:         3170
        .size:           2
        .value_kind:     hidden_remainder_x
      - .offset:         3172
        .size:           2
        .value_kind:     hidden_remainder_y
      - .offset:         3174
        .size:           2
        .value_kind:     hidden_remainder_z
      - .offset:         3192
        .size:           8
        .value_kind:     hidden_global_offset_x
      - .offset:         3200
        .size:           8
        .value_kind:     hidden_global_offset_y
      - .offset:         3208
        .size:           8
        .value_kind:     hidden_global_offset_z
      - .offset:         3216
        .size:           2
        .value_kind:     hidden_grid_dims
    .group_segment_fixed_size: 0
    .kernarg_segment_align: 8
    .kernarg_segment_size: 3408
    .language:       OpenCL C
    .language_version:
      - 2
      - 0
    .max_flat_workgroup_size: 512
    .name:           _ZN2at6native12_GLOBAL__N_125multi_tensor_apply_kernelINS1_18TensorListMetadataILi3EEENS1_24BinaryOpListAlphaFunctorIaLi3ELi2ELi2EEEJSt10multipliesIaEaEEEvT_T0_DpT1_
    .private_segment_fixed_size: 0
    .sgpr_count:     26
    .sgpr_spill_count: 0
    .symbol:         _ZN2at6native12_GLOBAL__N_125multi_tensor_apply_kernelINS1_18TensorListMetadataILi3EEENS1_24BinaryOpListAlphaFunctorIaLi3ELi2ELi2EEEJSt10multipliesIaEaEEEvT_T0_DpT1_.kd
    .uniform_work_group_size: 1
    .uses_dynamic_stack: false
    .vgpr_count:     39
    .vgpr_spill_count: 0
    .wavefront_size: 32
    .workgroup_processor_mode: 1
  - .args:
      - .offset:         0
        .size:           3144
        .value_kind:     by_value
      - .offset:         3144
        .size:           1
        .value_kind:     by_value
      - .offset:         3145
        .size:           1
        .value_kind:     by_value
      - .offset:         3148
        .size:           4
        .value_kind:     by_value
      - .offset:         3152
        .size:           4
        .value_kind:     hidden_block_count_x
      - .offset:         3156
        .size:           4
        .value_kind:     hidden_block_count_y
      - .offset:         3160
        .size:           4
        .value_kind:     hidden_block_count_z
      - .offset:         3164
        .size:           2
        .value_kind:     hidden_group_size_x
      - .offset:         3166
        .size:           2
        .value_kind:     hidden_group_size_y
      - .offset:         3168
        .size:           2
        .value_kind:     hidden_group_size_z
      - .offset:         3170
        .size:           2
        .value_kind:     hidden_remainder_x
      - .offset:         3172
        .size:           2
        .value_kind:     hidden_remainder_y
      - .offset:         3174
        .size:           2
        .value_kind:     hidden_remainder_z
      - .offset:         3192
        .size:           8
        .value_kind:     hidden_global_offset_x
      - .offset:         3200
        .size:           8
        .value_kind:     hidden_global_offset_y
      - .offset:         3208
        .size:           8
        .value_kind:     hidden_global_offset_z
      - .offset:         3216
        .size:           2
        .value_kind:     hidden_grid_dims
    .group_segment_fixed_size: 0
    .kernarg_segment_align: 8
    .kernarg_segment_size: 3408
    .language:       OpenCL C
    .language_version:
      - 2
      - 0
    .max_flat_workgroup_size: 512
    .name:           _ZN2at6native12_GLOBAL__N_125multi_tensor_apply_kernelINS1_18TensorListMetadataILi3EEENS1_24BinaryOpListAlphaFunctorIiLi3ELi2ELi2EEEJSt10multipliesIiEiEEEvT_T0_DpT1_
    .private_segment_fixed_size: 0
    .sgpr_count:     30
    .sgpr_spill_count: 0
    .symbol:         _ZN2at6native12_GLOBAL__N_125multi_tensor_apply_kernelINS1_18TensorListMetadataILi3EEENS1_24BinaryOpListAlphaFunctorIiLi3ELi2ELi2EEEJSt10multipliesIiEiEEEvT_T0_DpT1_.kd
    .uniform_work_group_size: 1
    .uses_dynamic_stack: false
    .vgpr_count:     41
    .vgpr_spill_count: 0
    .wavefront_size: 32
    .workgroup_processor_mode: 1
  - .args:
      - .offset:         0
        .size:           3144
        .value_kind:     by_value
      - .offset:         3144
        .size:           1
        .value_kind:     by_value
      - .offset:         3145
        .size:           1
        .value_kind:     by_value
      - .offset:         3152
        .size:           8
        .value_kind:     by_value
      - .offset:         3160
        .size:           4
        .value_kind:     hidden_block_count_x
      - .offset:         3164
        .size:           4
        .value_kind:     hidden_block_count_y
      - .offset:         3168
        .size:           4
        .value_kind:     hidden_block_count_z
      - .offset:         3172
        .size:           2
        .value_kind:     hidden_group_size_x
      - .offset:         3174
        .size:           2
        .value_kind:     hidden_group_size_y
      - .offset:         3176
        .size:           2
        .value_kind:     hidden_group_size_z
      - .offset:         3178
        .size:           2
        .value_kind:     hidden_remainder_x
      - .offset:         3180
        .size:           2
        .value_kind:     hidden_remainder_y
      - .offset:         3182
        .size:           2
        .value_kind:     hidden_remainder_z
      - .offset:         3200
        .size:           8
        .value_kind:     hidden_global_offset_x
      - .offset:         3208
        .size:           8
        .value_kind:     hidden_global_offset_y
      - .offset:         3216
        .size:           8
        .value_kind:     hidden_global_offset_z
      - .offset:         3224
        .size:           2
        .value_kind:     hidden_grid_dims
    .group_segment_fixed_size: 0
    .kernarg_segment_align: 8
    .kernarg_segment_size: 3416
    .language:       OpenCL C
    .language_version:
      - 2
      - 0
    .max_flat_workgroup_size: 512
    .name:           _ZN2at6native12_GLOBAL__N_125multi_tensor_apply_kernelINS1_18TensorListMetadataILi3EEENS1_24BinaryOpListAlphaFunctorIlLi3ELi2ELi2EEEJSt10multipliesIlElEEEvT_T0_DpT1_
    .private_segment_fixed_size: 0
    .sgpr_count:     29
    .sgpr_spill_count: 0
    .symbol:         _ZN2at6native12_GLOBAL__N_125multi_tensor_apply_kernelINS1_18TensorListMetadataILi3EEENS1_24BinaryOpListAlphaFunctorIlLi3ELi2ELi2EEEJSt10multipliesIlElEEEvT_T0_DpT1_.kd
    .uniform_work_group_size: 1
    .uses_dynamic_stack: false
    .vgpr_count:     50
    .vgpr_spill_count: 0
    .wavefront_size: 32
    .workgroup_processor_mode: 1
  - .args:
      - .offset:         0
        .size:           3144
        .value_kind:     by_value
      - .offset:         3144
        .size:           1
        .value_kind:     by_value
      - .offset:         3145
        .size:           1
        .value_kind:     by_value
      - .offset:         3146
        .size:           2
        .value_kind:     by_value
      - .offset:         3152
        .size:           4
        .value_kind:     hidden_block_count_x
      - .offset:         3156
        .size:           4
        .value_kind:     hidden_block_count_y
      - .offset:         3160
        .size:           4
        .value_kind:     hidden_block_count_z
      - .offset:         3164
        .size:           2
        .value_kind:     hidden_group_size_x
      - .offset:         3166
        .size:           2
        .value_kind:     hidden_group_size_y
      - .offset:         3168
        .size:           2
        .value_kind:     hidden_group_size_z
      - .offset:         3170
        .size:           2
        .value_kind:     hidden_remainder_x
      - .offset:         3172
        .size:           2
        .value_kind:     hidden_remainder_y
      - .offset:         3174
        .size:           2
        .value_kind:     hidden_remainder_z
      - .offset:         3192
        .size:           8
        .value_kind:     hidden_global_offset_x
      - .offset:         3200
        .size:           8
        .value_kind:     hidden_global_offset_y
      - .offset:         3208
        .size:           8
        .value_kind:     hidden_global_offset_z
      - .offset:         3216
        .size:           2
        .value_kind:     hidden_grid_dims
    .group_segment_fixed_size: 0
    .kernarg_segment_align: 8
    .kernarg_segment_size: 3408
    .language:       OpenCL C
    .language_version:
      - 2
      - 0
    .max_flat_workgroup_size: 512
    .name:           _ZN2at6native12_GLOBAL__N_125multi_tensor_apply_kernelINS1_18TensorListMetadataILi3EEENS1_24BinaryOpListAlphaFunctorIsLi3ELi2ELi2EEEJSt10multipliesIsEsEEEvT_T0_DpT1_
    .private_segment_fixed_size: 0
    .sgpr_count:     24
    .sgpr_spill_count: 0
    .symbol:         _ZN2at6native12_GLOBAL__N_125multi_tensor_apply_kernelINS1_18TensorListMetadataILi3EEENS1_24BinaryOpListAlphaFunctorIsLi3ELi2ELi2EEEJSt10multipliesIsEsEEEvT_T0_DpT1_.kd
    .uniform_work_group_size: 1
    .uses_dynamic_stack: false
    .vgpr_count:     39
    .vgpr_spill_count: 0
    .wavefront_size: 32
    .workgroup_processor_mode: 1
  - .args:
      - .offset:         0
        .size:           3144
        .value_kind:     by_value
      - .offset:         3144
        .size:           1
        .value_kind:     by_value
      - .offset:         3145
        .size:           1
        .value_kind:     by_value
      - .offset:         3152
        .size:           8
        .value_kind:     by_value
      - .offset:         3160
        .size:           4
        .value_kind:     hidden_block_count_x
      - .offset:         3164
        .size:           4
        .value_kind:     hidden_block_count_y
      - .offset:         3168
        .size:           4
        .value_kind:     hidden_block_count_z
      - .offset:         3172
        .size:           2
        .value_kind:     hidden_group_size_x
      - .offset:         3174
        .size:           2
        .value_kind:     hidden_group_size_y
      - .offset:         3176
        .size:           2
        .value_kind:     hidden_group_size_z
      - .offset:         3178
        .size:           2
        .value_kind:     hidden_remainder_x
      - .offset:         3180
        .size:           2
        .value_kind:     hidden_remainder_y
      - .offset:         3182
        .size:           2
        .value_kind:     hidden_remainder_z
      - .offset:         3200
        .size:           8
        .value_kind:     hidden_global_offset_x
      - .offset:         3208
        .size:           8
        .value_kind:     hidden_global_offset_y
      - .offset:         3216
        .size:           8
        .value_kind:     hidden_global_offset_z
      - .offset:         3224
        .size:           2
        .value_kind:     hidden_grid_dims
    .group_segment_fixed_size: 0
    .kernarg_segment_align: 8
    .kernarg_segment_size: 3416
    .language:       OpenCL C
    .language_version:
      - 2
      - 0
    .max_flat_workgroup_size: 512
    .name:           _ZN2at6native12_GLOBAL__N_125multi_tensor_apply_kernelINS1_18TensorListMetadataILi3EEENS1_24BinaryOpListAlphaFunctorIdLi3ELi2ELi2EEEJSt10multipliesIdEdEEEvT_T0_DpT1_
    .private_segment_fixed_size: 0
    .sgpr_count:     29
    .sgpr_spill_count: 0
    .symbol:         _ZN2at6native12_GLOBAL__N_125multi_tensor_apply_kernelINS1_18TensorListMetadataILi3EEENS1_24BinaryOpListAlphaFunctorIdLi3ELi2ELi2EEEJSt10multipliesIdEdEEEvT_T0_DpT1_.kd
    .uniform_work_group_size: 1
    .uses_dynamic_stack: false
    .vgpr_count:     47
    .vgpr_spill_count: 0
    .wavefront_size: 32
    .workgroup_processor_mode: 1
  - .args:
      - .offset:         0
        .size:           3144
        .value_kind:     by_value
      - .offset:         3144
        .size:           1
        .value_kind:     by_value
      - .offset:         3145
        .size:           1
        .value_kind:     by_value
      - .offset:         3148
        .size:           4
        .value_kind:     by_value
      - .offset:         3152
        .size:           4
        .value_kind:     hidden_block_count_x
      - .offset:         3156
        .size:           4
        .value_kind:     hidden_block_count_y
      - .offset:         3160
        .size:           4
        .value_kind:     hidden_block_count_z
      - .offset:         3164
        .size:           2
        .value_kind:     hidden_group_size_x
      - .offset:         3166
        .size:           2
        .value_kind:     hidden_group_size_y
      - .offset:         3168
        .size:           2
        .value_kind:     hidden_group_size_z
      - .offset:         3170
        .size:           2
        .value_kind:     hidden_remainder_x
      - .offset:         3172
        .size:           2
        .value_kind:     hidden_remainder_y
      - .offset:         3174
        .size:           2
        .value_kind:     hidden_remainder_z
      - .offset:         3192
        .size:           8
        .value_kind:     hidden_global_offset_x
      - .offset:         3200
        .size:           8
        .value_kind:     hidden_global_offset_y
      - .offset:         3208
        .size:           8
        .value_kind:     hidden_global_offset_z
      - .offset:         3216
        .size:           2
        .value_kind:     hidden_grid_dims
    .group_segment_fixed_size: 0
    .kernarg_segment_align: 8
    .kernarg_segment_size: 3408
    .language:       OpenCL C
    .language_version:
      - 2
      - 0
    .max_flat_workgroup_size: 512
    .name:           _ZN2at6native12_GLOBAL__N_125multi_tensor_apply_kernelINS1_18TensorListMetadataILi3EEENS1_24BinaryOpListAlphaFunctorIfLi3ELi2ELi2EEEJSt10multipliesIfEfEEEvT_T0_DpT1_
    .private_segment_fixed_size: 0
    .sgpr_count:     30
    .sgpr_spill_count: 0
    .symbol:         _ZN2at6native12_GLOBAL__N_125multi_tensor_apply_kernelINS1_18TensorListMetadataILi3EEENS1_24BinaryOpListAlphaFunctorIfLi3ELi2ELi2EEEJSt10multipliesIfEfEEEvT_T0_DpT1_.kd
    .uniform_work_group_size: 1
    .uses_dynamic_stack: false
    .vgpr_count:     41
    .vgpr_spill_count: 0
    .wavefront_size: 32
    .workgroup_processor_mode: 1
  - .args:
      - .offset:         0
        .size:           3144
        .value_kind:     by_value
      - .offset:         3144
        .size:           1
        .value_kind:     by_value
      - .offset:         3145
        .size:           1
        .value_kind:     by_value
      - .offset:         3152
        .size:           16
        .value_kind:     by_value
      - .offset:         3168
        .size:           4
        .value_kind:     hidden_block_count_x
      - .offset:         3172
        .size:           4
        .value_kind:     hidden_block_count_y
      - .offset:         3176
        .size:           4
        .value_kind:     hidden_block_count_z
      - .offset:         3180
        .size:           2
        .value_kind:     hidden_group_size_x
      - .offset:         3182
        .size:           2
        .value_kind:     hidden_group_size_y
      - .offset:         3184
        .size:           2
        .value_kind:     hidden_group_size_z
      - .offset:         3186
        .size:           2
        .value_kind:     hidden_remainder_x
      - .offset:         3188
        .size:           2
        .value_kind:     hidden_remainder_y
      - .offset:         3190
        .size:           2
        .value_kind:     hidden_remainder_z
      - .offset:         3208
        .size:           8
        .value_kind:     hidden_global_offset_x
      - .offset:         3216
        .size:           8
        .value_kind:     hidden_global_offset_y
      - .offset:         3224
        .size:           8
        .value_kind:     hidden_global_offset_z
      - .offset:         3232
        .size:           2
        .value_kind:     hidden_grid_dims
    .group_segment_fixed_size: 0
    .kernarg_segment_align: 16
    .kernarg_segment_size: 3424
    .language:       OpenCL C
    .language_version:
      - 2
      - 0
    .max_flat_workgroup_size: 512
    .name:           _ZN2at6native12_GLOBAL__N_125multi_tensor_apply_kernelINS1_18TensorListMetadataILi3EEENS1_24BinaryOpListAlphaFunctorIN3c107complexIdEELi3ELi2ELi2EEEJSt10multipliesIS8_ES8_EEEvT_T0_DpT1_
    .private_segment_fixed_size: 0
    .sgpr_count:     31
    .sgpr_spill_count: 0
    .symbol:         _ZN2at6native12_GLOBAL__N_125multi_tensor_apply_kernelINS1_18TensorListMetadataILi3EEENS1_24BinaryOpListAlphaFunctorIN3c107complexIdEELi3ELi2ELi2EEEJSt10multipliesIS8_ES8_EEEvT_T0_DpT1_.kd
    .uniform_work_group_size: 1
    .uses_dynamic_stack: false
    .vgpr_count:     62
    .vgpr_spill_count: 0
    .wavefront_size: 32
    .workgroup_processor_mode: 1
  - .args:
      - .offset:         0
        .size:           3144
        .value_kind:     by_value
      - .offset:         3144
        .size:           1
        .value_kind:     by_value
      - .offset:         3145
        .size:           1
        .value_kind:     by_value
      - .offset:         3152
        .size:           8
        .value_kind:     by_value
      - .offset:         3160
        .size:           4
        .value_kind:     hidden_block_count_x
      - .offset:         3164
        .size:           4
        .value_kind:     hidden_block_count_y
      - .offset:         3168
        .size:           4
        .value_kind:     hidden_block_count_z
      - .offset:         3172
        .size:           2
        .value_kind:     hidden_group_size_x
      - .offset:         3174
        .size:           2
        .value_kind:     hidden_group_size_y
      - .offset:         3176
        .size:           2
        .value_kind:     hidden_group_size_z
      - .offset:         3178
        .size:           2
        .value_kind:     hidden_remainder_x
      - .offset:         3180
        .size:           2
        .value_kind:     hidden_remainder_y
      - .offset:         3182
        .size:           2
        .value_kind:     hidden_remainder_z
      - .offset:         3200
        .size:           8
        .value_kind:     hidden_global_offset_x
      - .offset:         3208
        .size:           8
        .value_kind:     hidden_global_offset_y
      - .offset:         3216
        .size:           8
        .value_kind:     hidden_global_offset_z
      - .offset:         3224
        .size:           2
        .value_kind:     hidden_grid_dims
    .group_segment_fixed_size: 0
    .kernarg_segment_align: 8
    .kernarg_segment_size: 3416
    .language:       OpenCL C
    .language_version:
      - 2
      - 0
    .max_flat_workgroup_size: 512
    .name:           _ZN2at6native12_GLOBAL__N_125multi_tensor_apply_kernelINS1_18TensorListMetadataILi3EEENS1_24BinaryOpListAlphaFunctorIN3c107complexIfEELi3ELi2ELi2EEEJSt10multipliesIS8_ES8_EEEvT_T0_DpT1_
    .private_segment_fixed_size: 0
    .sgpr_count:     29
    .sgpr_spill_count: 0
    .symbol:         _ZN2at6native12_GLOBAL__N_125multi_tensor_apply_kernelINS1_18TensorListMetadataILi3EEENS1_24BinaryOpListAlphaFunctorIN3c107complexIfEELi3ELi2ELi2EEEJSt10multipliesIS8_ES8_EEEvT_T0_DpT1_.kd
    .uniform_work_group_size: 1
    .uses_dynamic_stack: false
    .vgpr_count:     46
    .vgpr_spill_count: 0
    .wavefront_size: 32
    .workgroup_processor_mode: 1
  - .args:
      - .offset:         0
        .size:           3144
        .value_kind:     by_value
      - .offset:         3144
        .size:           1
        .value_kind:     by_value
      - .offset:         3145
        .size:           1
        .value_kind:     by_value
      - .offset:         3146
        .size:           1
        .value_kind:     by_value
      - .offset:         3152
        .size:           4
        .value_kind:     hidden_block_count_x
      - .offset:         3156
        .size:           4
        .value_kind:     hidden_block_count_y
      - .offset:         3160
        .size:           4
        .value_kind:     hidden_block_count_z
      - .offset:         3164
        .size:           2
        .value_kind:     hidden_group_size_x
      - .offset:         3166
        .size:           2
        .value_kind:     hidden_group_size_y
      - .offset:         3168
        .size:           2
        .value_kind:     hidden_group_size_z
      - .offset:         3170
        .size:           2
        .value_kind:     hidden_remainder_x
      - .offset:         3172
        .size:           2
        .value_kind:     hidden_remainder_y
      - .offset:         3174
        .size:           2
        .value_kind:     hidden_remainder_z
      - .offset:         3192
        .size:           8
        .value_kind:     hidden_global_offset_x
      - .offset:         3200
        .size:           8
        .value_kind:     hidden_global_offset_y
      - .offset:         3208
        .size:           8
        .value_kind:     hidden_global_offset_z
      - .offset:         3216
        .size:           2
        .value_kind:     hidden_grid_dims
    .group_segment_fixed_size: 0
    .kernarg_segment_align: 8
    .kernarg_segment_size: 3408
    .language:       OpenCL C
    .language_version:
      - 2
      - 0
    .max_flat_workgroup_size: 512
    .name:           _ZN2at6native12_GLOBAL__N_125multi_tensor_apply_kernelINS1_18TensorListMetadataILi3EEENS1_24BinaryOpListAlphaFunctorIbLi3ELi2ELi2EEEJSt10multipliesIbEbEEEvT_T0_DpT1_
    .private_segment_fixed_size: 0
    .sgpr_count:     32
    .sgpr_spill_count: 0
    .symbol:         _ZN2at6native12_GLOBAL__N_125multi_tensor_apply_kernelINS1_18TensorListMetadataILi3EEENS1_24BinaryOpListAlphaFunctorIbLi3ELi2ELi2EEEJSt10multipliesIbEbEEEvT_T0_DpT1_.kd
    .uniform_work_group_size: 1
    .uses_dynamic_stack: false
    .vgpr_count:     39
    .vgpr_spill_count: 0
    .wavefront_size: 32
    .workgroup_processor_mode: 1
  - .args:
      - .offset:         0
        .size:           3144
        .value_kind:     by_value
      - .offset:         3144
        .size:           1
        .value_kind:     by_value
      - .offset:         3145
        .size:           1
        .value_kind:     by_value
      - .offset:         3148
        .size:           4
        .value_kind:     by_value
      - .offset:         3152
        .size:           4
        .value_kind:     hidden_block_count_x
      - .offset:         3156
        .size:           4
        .value_kind:     hidden_block_count_y
      - .offset:         3160
        .size:           4
        .value_kind:     hidden_block_count_z
      - .offset:         3164
        .size:           2
        .value_kind:     hidden_group_size_x
      - .offset:         3166
        .size:           2
        .value_kind:     hidden_group_size_y
      - .offset:         3168
        .size:           2
        .value_kind:     hidden_group_size_z
      - .offset:         3170
        .size:           2
        .value_kind:     hidden_remainder_x
      - .offset:         3172
        .size:           2
        .value_kind:     hidden_remainder_y
      - .offset:         3174
        .size:           2
        .value_kind:     hidden_remainder_z
      - .offset:         3192
        .size:           8
        .value_kind:     hidden_global_offset_x
      - .offset:         3200
        .size:           8
        .value_kind:     hidden_global_offset_y
      - .offset:         3208
        .size:           8
        .value_kind:     hidden_global_offset_z
      - .offset:         3216
        .size:           2
        .value_kind:     hidden_grid_dims
    .group_segment_fixed_size: 0
    .kernarg_segment_align: 8
    .kernarg_segment_size: 3408
    .language:       OpenCL C
    .language_version:
      - 2
      - 0
    .max_flat_workgroup_size: 512
    .name:           _ZN2at6native12_GLOBAL__N_125multi_tensor_apply_kernelINS1_18TensorListMetadataILi3EEENS1_24BinaryOpListAlphaFunctorIN3c108BFloat16ELi3ELi2ELi2EEEJSt10multipliesIfEfEEEvT_T0_DpT1_
    .private_segment_fixed_size: 0
    .sgpr_count:     24
    .sgpr_spill_count: 0
    .symbol:         _ZN2at6native12_GLOBAL__N_125multi_tensor_apply_kernelINS1_18TensorListMetadataILi3EEENS1_24BinaryOpListAlphaFunctorIN3c108BFloat16ELi3ELi2ELi2EEEJSt10multipliesIfEfEEEvT_T0_DpT1_.kd
    .uniform_work_group_size: 1
    .uses_dynamic_stack: false
    .vgpr_count:     40
    .vgpr_spill_count: 0
    .wavefront_size: 32
    .workgroup_processor_mode: 1
  - .args:
      - .offset:         0
        .size:           3144
        .value_kind:     by_value
      - .offset:         3144
        .size:           1
        .value_kind:     by_value
      - .offset:         3145
        .size:           1
        .value_kind:     by_value
      - .offset:         3148
        .size:           4
        .value_kind:     by_value
      - .offset:         3152
        .size:           4
        .value_kind:     hidden_block_count_x
      - .offset:         3156
        .size:           4
        .value_kind:     hidden_block_count_y
      - .offset:         3160
        .size:           4
        .value_kind:     hidden_block_count_z
      - .offset:         3164
        .size:           2
        .value_kind:     hidden_group_size_x
      - .offset:         3166
        .size:           2
        .value_kind:     hidden_group_size_y
      - .offset:         3168
        .size:           2
        .value_kind:     hidden_group_size_z
      - .offset:         3170
        .size:           2
        .value_kind:     hidden_remainder_x
      - .offset:         3172
        .size:           2
        .value_kind:     hidden_remainder_y
      - .offset:         3174
        .size:           2
        .value_kind:     hidden_remainder_z
      - .offset:         3192
        .size:           8
        .value_kind:     hidden_global_offset_x
      - .offset:         3200
        .size:           8
        .value_kind:     hidden_global_offset_y
      - .offset:         3208
        .size:           8
        .value_kind:     hidden_global_offset_z
      - .offset:         3216
        .size:           2
        .value_kind:     hidden_grid_dims
    .group_segment_fixed_size: 0
    .kernarg_segment_align: 8
    .kernarg_segment_size: 3408
    .language:       OpenCL C
    .language_version:
      - 2
      - 0
    .max_flat_workgroup_size: 512
    .name:           _ZN2at6native12_GLOBAL__N_125multi_tensor_apply_kernelINS1_18TensorListMetadataILi3EEENS1_24BinaryOpListAlphaFunctorIN3c104HalfELi3ELi2ELi2EEEJSt10multipliesIfEfEEEvT_T0_DpT1_
    .private_segment_fixed_size: 0
    .sgpr_count:     26
    .sgpr_spill_count: 0
    .symbol:         _ZN2at6native12_GLOBAL__N_125multi_tensor_apply_kernelINS1_18TensorListMetadataILi3EEENS1_24BinaryOpListAlphaFunctorIN3c104HalfELi3ELi2ELi2EEEJSt10multipliesIfEfEEEvT_T0_DpT1_.kd
    .uniform_work_group_size: 1
    .uses_dynamic_stack: false
    .vgpr_count:     41
    .vgpr_spill_count: 0
    .wavefront_size: 32
    .workgroup_processor_mode: 1
  - .args:
      - .offset:         0
        .size:           3144
        .value_kind:     by_value
      - .offset:         3144
        .size:           1
        .value_kind:     by_value
      - .offset:         3145
        .size:           1
        .value_kind:     by_value
      - .offset:         3146
        .size:           1
        .value_kind:     by_value
      - .offset:         3152
        .size:           4
        .value_kind:     hidden_block_count_x
      - .offset:         3156
        .size:           4
        .value_kind:     hidden_block_count_y
      - .offset:         3160
        .size:           4
        .value_kind:     hidden_block_count_z
      - .offset:         3164
        .size:           2
        .value_kind:     hidden_group_size_x
      - .offset:         3166
        .size:           2
        .value_kind:     hidden_group_size_y
      - .offset:         3168
        .size:           2
        .value_kind:     hidden_group_size_z
      - .offset:         3170
        .size:           2
        .value_kind:     hidden_remainder_x
      - .offset:         3172
        .size:           2
        .value_kind:     hidden_remainder_y
      - .offset:         3174
        .size:           2
        .value_kind:     hidden_remainder_z
      - .offset:         3192
        .size:           8
        .value_kind:     hidden_global_offset_x
      - .offset:         3200
        .size:           8
        .value_kind:     hidden_global_offset_y
      - .offset:         3208
        .size:           8
        .value_kind:     hidden_global_offset_z
      - .offset:         3216
        .size:           2
        .value_kind:     hidden_grid_dims
    .group_segment_fixed_size: 0
    .kernarg_segment_align: 8
    .kernarg_segment_size: 3408
    .language:       OpenCL C
    .language_version:
      - 2
      - 0
    .max_flat_workgroup_size: 512
    .name:           _ZN2at6native12_GLOBAL__N_125multi_tensor_apply_kernelINS1_18TensorListMetadataILi2EEENS1_24BinaryOpListAlphaFunctorIhLi2ELi2ELi0EEEJSt7dividesIhEhEEEvT_T0_DpT1_
    .private_segment_fixed_size: 0
    .sgpr_count:     22
    .sgpr_spill_count: 0
    .symbol:         _ZN2at6native12_GLOBAL__N_125multi_tensor_apply_kernelINS1_18TensorListMetadataILi2EEENS1_24BinaryOpListAlphaFunctorIhLi2ELi2ELi0EEEJSt7dividesIhEhEEEvT_T0_DpT1_.kd
    .uniform_work_group_size: 1
    .uses_dynamic_stack: false
    .vgpr_count:     32
    .vgpr_spill_count: 0
    .wavefront_size: 32
    .workgroup_processor_mode: 1
  - .args:
      - .offset:         0
        .size:           3144
        .value_kind:     by_value
      - .offset:         3144
        .size:           1
        .value_kind:     by_value
      - .offset:         3145
        .size:           1
        .value_kind:     by_value
      - .offset:         3146
        .size:           1
        .value_kind:     by_value
      - .offset:         3152
        .size:           4
        .value_kind:     hidden_block_count_x
      - .offset:         3156
        .size:           4
        .value_kind:     hidden_block_count_y
      - .offset:         3160
        .size:           4
        .value_kind:     hidden_block_count_z
      - .offset:         3164
        .size:           2
        .value_kind:     hidden_group_size_x
      - .offset:         3166
        .size:           2
        .value_kind:     hidden_group_size_y
      - .offset:         3168
        .size:           2
        .value_kind:     hidden_group_size_z
      - .offset:         3170
        .size:           2
        .value_kind:     hidden_remainder_x
      - .offset:         3172
        .size:           2
        .value_kind:     hidden_remainder_y
      - .offset:         3174
        .size:           2
        .value_kind:     hidden_remainder_z
      - .offset:         3192
        .size:           8
        .value_kind:     hidden_global_offset_x
      - .offset:         3200
        .size:           8
        .value_kind:     hidden_global_offset_y
      - .offset:         3208
        .size:           8
        .value_kind:     hidden_global_offset_z
      - .offset:         3216
        .size:           2
        .value_kind:     hidden_grid_dims
    .group_segment_fixed_size: 0
    .kernarg_segment_align: 8
    .kernarg_segment_size: 3408
    .language:       OpenCL C
    .language_version:
      - 2
      - 0
    .max_flat_workgroup_size: 512
    .name:           _ZN2at6native12_GLOBAL__N_125multi_tensor_apply_kernelINS1_18TensorListMetadataILi2EEENS1_24BinaryOpListAlphaFunctorIaLi2ELi2ELi0EEEJSt7dividesIaEaEEEvT_T0_DpT1_
    .private_segment_fixed_size: 0
    .sgpr_count:     22
    .sgpr_spill_count: 0
    .symbol:         _ZN2at6native12_GLOBAL__N_125multi_tensor_apply_kernelINS1_18TensorListMetadataILi2EEENS1_24BinaryOpListAlphaFunctorIaLi2ELi2ELi0EEEJSt7dividesIaEaEEEvT_T0_DpT1_.kd
    .uniform_work_group_size: 1
    .uses_dynamic_stack: false
    .vgpr_count:     32
    .vgpr_spill_count: 0
    .wavefront_size: 32
    .workgroup_processor_mode: 1
  - .args:
      - .offset:         0
        .size:           3144
        .value_kind:     by_value
      - .offset:         3144
        .size:           1
        .value_kind:     by_value
      - .offset:         3145
        .size:           1
        .value_kind:     by_value
      - .offset:         3148
        .size:           4
        .value_kind:     by_value
      - .offset:         3152
        .size:           4
        .value_kind:     hidden_block_count_x
      - .offset:         3156
        .size:           4
        .value_kind:     hidden_block_count_y
      - .offset:         3160
        .size:           4
        .value_kind:     hidden_block_count_z
      - .offset:         3164
        .size:           2
        .value_kind:     hidden_group_size_x
      - .offset:         3166
        .size:           2
        .value_kind:     hidden_group_size_y
      - .offset:         3168
        .size:           2
        .value_kind:     hidden_group_size_z
      - .offset:         3170
        .size:           2
        .value_kind:     hidden_remainder_x
      - .offset:         3172
        .size:           2
        .value_kind:     hidden_remainder_y
      - .offset:         3174
        .size:           2
        .value_kind:     hidden_remainder_z
      - .offset:         3192
        .size:           8
        .value_kind:     hidden_global_offset_x
      - .offset:         3200
        .size:           8
        .value_kind:     hidden_global_offset_y
      - .offset:         3208
        .size:           8
        .value_kind:     hidden_global_offset_z
      - .offset:         3216
        .size:           2
        .value_kind:     hidden_grid_dims
    .group_segment_fixed_size: 0
    .kernarg_segment_align: 8
    .kernarg_segment_size: 3408
    .language:       OpenCL C
    .language_version:
      - 2
      - 0
    .max_flat_workgroup_size: 512
    .name:           _ZN2at6native12_GLOBAL__N_125multi_tensor_apply_kernelINS1_18TensorListMetadataILi2EEENS1_24BinaryOpListAlphaFunctorIiLi2ELi2ELi0EEEJSt7dividesIiEiEEEvT_T0_DpT1_
    .private_segment_fixed_size: 0
    .sgpr_count:     26
    .sgpr_spill_count: 0
    .symbol:         _ZN2at6native12_GLOBAL__N_125multi_tensor_apply_kernelINS1_18TensorListMetadataILi2EEENS1_24BinaryOpListAlphaFunctorIiLi2ELi2ELi0EEEJSt7dividesIiEiEEEvT_T0_DpT1_.kd
    .uniform_work_group_size: 1
    .uses_dynamic_stack: false
    .vgpr_count:     36
    .vgpr_spill_count: 0
    .wavefront_size: 32
    .workgroup_processor_mode: 1
  - .args:
      - .offset:         0
        .size:           3144
        .value_kind:     by_value
      - .offset:         3144
        .size:           1
        .value_kind:     by_value
      - .offset:         3145
        .size:           1
        .value_kind:     by_value
      - .offset:         3152
        .size:           8
        .value_kind:     by_value
      - .offset:         3160
        .size:           4
        .value_kind:     hidden_block_count_x
      - .offset:         3164
        .size:           4
        .value_kind:     hidden_block_count_y
      - .offset:         3168
        .size:           4
        .value_kind:     hidden_block_count_z
      - .offset:         3172
        .size:           2
        .value_kind:     hidden_group_size_x
      - .offset:         3174
        .size:           2
        .value_kind:     hidden_group_size_y
      - .offset:         3176
        .size:           2
        .value_kind:     hidden_group_size_z
      - .offset:         3178
        .size:           2
        .value_kind:     hidden_remainder_x
      - .offset:         3180
        .size:           2
        .value_kind:     hidden_remainder_y
      - .offset:         3182
        .size:           2
        .value_kind:     hidden_remainder_z
      - .offset:         3200
        .size:           8
        .value_kind:     hidden_global_offset_x
      - .offset:         3208
        .size:           8
        .value_kind:     hidden_global_offset_y
      - .offset:         3216
        .size:           8
        .value_kind:     hidden_global_offset_z
      - .offset:         3224
        .size:           2
        .value_kind:     hidden_grid_dims
    .group_segment_fixed_size: 0
    .kernarg_segment_align: 8
    .kernarg_segment_size: 3416
    .language:       OpenCL C
    .language_version:
      - 2
      - 0
    .max_flat_workgroup_size: 512
    .name:           _ZN2at6native12_GLOBAL__N_125multi_tensor_apply_kernelINS1_18TensorListMetadataILi2EEENS1_24BinaryOpListAlphaFunctorIlLi2ELi2ELi0EEEJSt7dividesIlElEEEvT_T0_DpT1_
    .private_segment_fixed_size: 0
    .sgpr_count:     28
    .sgpr_spill_count: 0
    .symbol:         _ZN2at6native12_GLOBAL__N_125multi_tensor_apply_kernelINS1_18TensorListMetadataILi2EEENS1_24BinaryOpListAlphaFunctorIlLi2ELi2ELi0EEEJSt7dividesIlElEEEvT_T0_DpT1_.kd
    .uniform_work_group_size: 1
    .uses_dynamic_stack: false
    .vgpr_count:     53
    .vgpr_spill_count: 0
    .wavefront_size: 32
    .workgroup_processor_mode: 1
  - .args:
      - .offset:         0
        .size:           3144
        .value_kind:     by_value
      - .offset:         3144
        .size:           1
        .value_kind:     by_value
      - .offset:         3145
        .size:           1
        .value_kind:     by_value
      - .offset:         3146
        .size:           2
        .value_kind:     by_value
      - .offset:         3152
        .size:           4
        .value_kind:     hidden_block_count_x
      - .offset:         3156
        .size:           4
        .value_kind:     hidden_block_count_y
      - .offset:         3160
        .size:           4
        .value_kind:     hidden_block_count_z
      - .offset:         3164
        .size:           2
        .value_kind:     hidden_group_size_x
      - .offset:         3166
        .size:           2
        .value_kind:     hidden_group_size_y
      - .offset:         3168
        .size:           2
        .value_kind:     hidden_group_size_z
      - .offset:         3170
        .size:           2
        .value_kind:     hidden_remainder_x
      - .offset:         3172
        .size:           2
        .value_kind:     hidden_remainder_y
      - .offset:         3174
        .size:           2
        .value_kind:     hidden_remainder_z
      - .offset:         3192
        .size:           8
        .value_kind:     hidden_global_offset_x
      - .offset:         3200
        .size:           8
        .value_kind:     hidden_global_offset_y
      - .offset:         3208
        .size:           8
        .value_kind:     hidden_global_offset_z
      - .offset:         3216
        .size:           2
        .value_kind:     hidden_grid_dims
    .group_segment_fixed_size: 0
    .kernarg_segment_align: 8
    .kernarg_segment_size: 3408
    .language:       OpenCL C
    .language_version:
      - 2
      - 0
    .max_flat_workgroup_size: 512
    .name:           _ZN2at6native12_GLOBAL__N_125multi_tensor_apply_kernelINS1_18TensorListMetadataILi2EEENS1_24BinaryOpListAlphaFunctorIsLi2ELi2ELi0EEEJSt7dividesIsEsEEEvT_T0_DpT1_
    .private_segment_fixed_size: 0
    .sgpr_count:     22
    .sgpr_spill_count: 0
    .symbol:         _ZN2at6native12_GLOBAL__N_125multi_tensor_apply_kernelINS1_18TensorListMetadataILi2EEENS1_24BinaryOpListAlphaFunctorIsLi2ELi2ELi0EEEJSt7dividesIsEsEEEvT_T0_DpT1_.kd
    .uniform_work_group_size: 1
    .uses_dynamic_stack: false
    .vgpr_count:     33
    .vgpr_spill_count: 0
    .wavefront_size: 32
    .workgroup_processor_mode: 1
  - .args:
      - .offset:         0
        .size:           3144
        .value_kind:     by_value
      - .offset:         3144
        .size:           1
        .value_kind:     by_value
      - .offset:         3145
        .size:           1
        .value_kind:     by_value
      - .offset:         3152
        .size:           8
        .value_kind:     by_value
      - .offset:         3160
        .size:           4
        .value_kind:     hidden_block_count_x
      - .offset:         3164
        .size:           4
        .value_kind:     hidden_block_count_y
      - .offset:         3168
        .size:           4
        .value_kind:     hidden_block_count_z
      - .offset:         3172
        .size:           2
        .value_kind:     hidden_group_size_x
      - .offset:         3174
        .size:           2
        .value_kind:     hidden_group_size_y
      - .offset:         3176
        .size:           2
        .value_kind:     hidden_group_size_z
      - .offset:         3178
        .size:           2
        .value_kind:     hidden_remainder_x
      - .offset:         3180
        .size:           2
        .value_kind:     hidden_remainder_y
      - .offset:         3182
        .size:           2
        .value_kind:     hidden_remainder_z
      - .offset:         3200
        .size:           8
        .value_kind:     hidden_global_offset_x
      - .offset:         3208
        .size:           8
        .value_kind:     hidden_global_offset_y
      - .offset:         3216
        .size:           8
        .value_kind:     hidden_global_offset_z
      - .offset:         3224
        .size:           2
        .value_kind:     hidden_grid_dims
    .group_segment_fixed_size: 0
    .kernarg_segment_align: 8
    .kernarg_segment_size: 3416
    .language:       OpenCL C
    .language_version:
      - 2
      - 0
    .max_flat_workgroup_size: 512
    .name:           _ZN2at6native12_GLOBAL__N_125multi_tensor_apply_kernelINS1_18TensorListMetadataILi2EEENS1_24BinaryOpListAlphaFunctorIdLi2ELi2ELi0EEEJSt7dividesIdEdEEEvT_T0_DpT1_
    .private_segment_fixed_size: 0
    .sgpr_count:     28
    .sgpr_spill_count: 0
    .symbol:         _ZN2at6native12_GLOBAL__N_125multi_tensor_apply_kernelINS1_18TensorListMetadataILi2EEENS1_24BinaryOpListAlphaFunctorIdLi2ELi2ELi0EEEJSt7dividesIdEdEEEvT_T0_DpT1_.kd
    .uniform_work_group_size: 1
    .uses_dynamic_stack: false
    .vgpr_count:     54
    .vgpr_spill_count: 0
    .wavefront_size: 32
    .workgroup_processor_mode: 1
  - .args:
      - .offset:         0
        .size:           3144
        .value_kind:     by_value
      - .offset:         3144
        .size:           1
        .value_kind:     by_value
      - .offset:         3145
        .size:           1
        .value_kind:     by_value
      - .offset:         3148
        .size:           4
        .value_kind:     by_value
      - .offset:         3152
        .size:           4
        .value_kind:     hidden_block_count_x
      - .offset:         3156
        .size:           4
        .value_kind:     hidden_block_count_y
      - .offset:         3160
        .size:           4
        .value_kind:     hidden_block_count_z
      - .offset:         3164
        .size:           2
        .value_kind:     hidden_group_size_x
      - .offset:         3166
        .size:           2
        .value_kind:     hidden_group_size_y
      - .offset:         3168
        .size:           2
        .value_kind:     hidden_group_size_z
      - .offset:         3170
        .size:           2
        .value_kind:     hidden_remainder_x
      - .offset:         3172
        .size:           2
        .value_kind:     hidden_remainder_y
      - .offset:         3174
        .size:           2
        .value_kind:     hidden_remainder_z
      - .offset:         3192
        .size:           8
        .value_kind:     hidden_global_offset_x
      - .offset:         3200
        .size:           8
        .value_kind:     hidden_global_offset_y
      - .offset:         3208
        .size:           8
        .value_kind:     hidden_global_offset_z
      - .offset:         3216
        .size:           2
        .value_kind:     hidden_grid_dims
    .group_segment_fixed_size: 0
    .kernarg_segment_align: 8
    .kernarg_segment_size: 3408
    .language:       OpenCL C
    .language_version:
      - 2
      - 0
    .max_flat_workgroup_size: 512
    .name:           _ZN2at6native12_GLOBAL__N_125multi_tensor_apply_kernelINS1_18TensorListMetadataILi2EEENS1_24BinaryOpListAlphaFunctorIfLi2ELi2ELi0EEEJSt7dividesIfEfEEEvT_T0_DpT1_
    .private_segment_fixed_size: 0
    .sgpr_count:     26
    .sgpr_spill_count: 0
    .symbol:         _ZN2at6native12_GLOBAL__N_125multi_tensor_apply_kernelINS1_18TensorListMetadataILi2EEENS1_24BinaryOpListAlphaFunctorIfLi2ELi2ELi0EEEJSt7dividesIfEfEEEvT_T0_DpT1_.kd
    .uniform_work_group_size: 1
    .uses_dynamic_stack: false
    .vgpr_count:     36
    .vgpr_spill_count: 0
    .wavefront_size: 32
    .workgroup_processor_mode: 1
  - .args:
      - .offset:         0
        .size:           3144
        .value_kind:     by_value
      - .offset:         3144
        .size:           1
        .value_kind:     by_value
      - .offset:         3145
        .size:           1
        .value_kind:     by_value
      - .offset:         3152
        .size:           16
        .value_kind:     by_value
      - .offset:         3168
        .size:           4
        .value_kind:     hidden_block_count_x
      - .offset:         3172
        .size:           4
        .value_kind:     hidden_block_count_y
      - .offset:         3176
        .size:           4
        .value_kind:     hidden_block_count_z
      - .offset:         3180
        .size:           2
        .value_kind:     hidden_group_size_x
      - .offset:         3182
        .size:           2
        .value_kind:     hidden_group_size_y
      - .offset:         3184
        .size:           2
        .value_kind:     hidden_group_size_z
      - .offset:         3186
        .size:           2
        .value_kind:     hidden_remainder_x
      - .offset:         3188
        .size:           2
        .value_kind:     hidden_remainder_y
      - .offset:         3190
        .size:           2
        .value_kind:     hidden_remainder_z
      - .offset:         3208
        .size:           8
        .value_kind:     hidden_global_offset_x
      - .offset:         3216
        .size:           8
        .value_kind:     hidden_global_offset_y
      - .offset:         3224
        .size:           8
        .value_kind:     hidden_global_offset_z
      - .offset:         3232
        .size:           2
        .value_kind:     hidden_grid_dims
    .group_segment_fixed_size: 0
    .kernarg_segment_align: 16
    .kernarg_segment_size: 3424
    .language:       OpenCL C
    .language_version:
      - 2
      - 0
    .max_flat_workgroup_size: 512
    .name:           _ZN2at6native12_GLOBAL__N_125multi_tensor_apply_kernelINS1_18TensorListMetadataILi2EEENS1_24BinaryOpListAlphaFunctorIN3c107complexIdEELi2ELi2ELi0EEEJSt7dividesIS8_ES8_EEEvT_T0_DpT1_
    .private_segment_fixed_size: 0
    .sgpr_count:     28
    .sgpr_spill_count: 0
    .symbol:         _ZN2at6native12_GLOBAL__N_125multi_tensor_apply_kernelINS1_18TensorListMetadataILi2EEENS1_24BinaryOpListAlphaFunctorIN3c107complexIdEELi2ELi2ELi0EEEJSt7dividesIS8_ES8_EEEvT_T0_DpT1_.kd
    .uniform_work_group_size: 1
    .uses_dynamic_stack: false
    .vgpr_count:     66
    .vgpr_spill_count: 0
    .wavefront_size: 32
    .workgroup_processor_mode: 1
  - .args:
      - .offset:         0
        .size:           3144
        .value_kind:     by_value
      - .offset:         3144
        .size:           1
        .value_kind:     by_value
      - .offset:         3145
        .size:           1
        .value_kind:     by_value
      - .offset:         3152
        .size:           8
        .value_kind:     by_value
      - .offset:         3160
        .size:           4
        .value_kind:     hidden_block_count_x
      - .offset:         3164
        .size:           4
        .value_kind:     hidden_block_count_y
      - .offset:         3168
        .size:           4
        .value_kind:     hidden_block_count_z
      - .offset:         3172
        .size:           2
        .value_kind:     hidden_group_size_x
      - .offset:         3174
        .size:           2
        .value_kind:     hidden_group_size_y
      - .offset:         3176
        .size:           2
        .value_kind:     hidden_group_size_z
      - .offset:         3178
        .size:           2
        .value_kind:     hidden_remainder_x
      - .offset:         3180
        .size:           2
        .value_kind:     hidden_remainder_y
      - .offset:         3182
        .size:           2
        .value_kind:     hidden_remainder_z
      - .offset:         3200
        .size:           8
        .value_kind:     hidden_global_offset_x
      - .offset:         3208
        .size:           8
        .value_kind:     hidden_global_offset_y
      - .offset:         3216
        .size:           8
        .value_kind:     hidden_global_offset_z
      - .offset:         3224
        .size:           2
        .value_kind:     hidden_grid_dims
    .group_segment_fixed_size: 0
    .kernarg_segment_align: 8
    .kernarg_segment_size: 3416
    .language:       OpenCL C
    .language_version:
      - 2
      - 0
    .max_flat_workgroup_size: 512
    .name:           _ZN2at6native12_GLOBAL__N_125multi_tensor_apply_kernelINS1_18TensorListMetadataILi2EEENS1_24BinaryOpListAlphaFunctorIN3c107complexIfEELi2ELi2ELi0EEEJSt7dividesIS8_ES8_EEEvT_T0_DpT1_
    .private_segment_fixed_size: 0
    .sgpr_count:     28
    .sgpr_spill_count: 0
    .symbol:         _ZN2at6native12_GLOBAL__N_125multi_tensor_apply_kernelINS1_18TensorListMetadataILi2EEENS1_24BinaryOpListAlphaFunctorIN3c107complexIfEELi2ELi2ELi0EEEJSt7dividesIS8_ES8_EEEvT_T0_DpT1_.kd
    .uniform_work_group_size: 1
    .uses_dynamic_stack: false
    .vgpr_count:     44
    .vgpr_spill_count: 0
    .wavefront_size: 32
    .workgroup_processor_mode: 1
  - .args:
      - .offset:         0
        .size:           3144
        .value_kind:     by_value
      - .offset:         3144
        .size:           1
        .value_kind:     by_value
      - .offset:         3145
        .size:           1
        .value_kind:     by_value
      - .offset:         3146
        .size:           1
        .value_kind:     by_value
      - .offset:         3152
        .size:           4
        .value_kind:     hidden_block_count_x
      - .offset:         3156
        .size:           4
        .value_kind:     hidden_block_count_y
      - .offset:         3160
        .size:           4
        .value_kind:     hidden_block_count_z
      - .offset:         3164
        .size:           2
        .value_kind:     hidden_group_size_x
      - .offset:         3166
        .size:           2
        .value_kind:     hidden_group_size_y
      - .offset:         3168
        .size:           2
        .value_kind:     hidden_group_size_z
      - .offset:         3170
        .size:           2
        .value_kind:     hidden_remainder_x
      - .offset:         3172
        .size:           2
        .value_kind:     hidden_remainder_y
      - .offset:         3174
        .size:           2
        .value_kind:     hidden_remainder_z
      - .offset:         3192
        .size:           8
        .value_kind:     hidden_global_offset_x
      - .offset:         3200
        .size:           8
        .value_kind:     hidden_global_offset_y
      - .offset:         3208
        .size:           8
        .value_kind:     hidden_global_offset_z
      - .offset:         3216
        .size:           2
        .value_kind:     hidden_grid_dims
    .group_segment_fixed_size: 0
    .kernarg_segment_align: 8
    .kernarg_segment_size: 3408
    .language:       OpenCL C
    .language_version:
      - 2
      - 0
    .max_flat_workgroup_size: 512
    .name:           _ZN2at6native12_GLOBAL__N_125multi_tensor_apply_kernelINS1_18TensorListMetadataILi2EEENS1_24BinaryOpListAlphaFunctorIbLi2ELi2ELi0EEEJSt7dividesIbEbEEEvT_T0_DpT1_
    .private_segment_fixed_size: 0
    .sgpr_count:     18
    .sgpr_spill_count: 0
    .symbol:         _ZN2at6native12_GLOBAL__N_125multi_tensor_apply_kernelINS1_18TensorListMetadataILi2EEENS1_24BinaryOpListAlphaFunctorIbLi2ELi2ELi0EEEJSt7dividesIbEbEEEvT_T0_DpT1_.kd
    .uniform_work_group_size: 1
    .uses_dynamic_stack: false
    .vgpr_count:     21
    .vgpr_spill_count: 0
    .wavefront_size: 32
    .workgroup_processor_mode: 1
  - .args:
      - .offset:         0
        .size:           3144
        .value_kind:     by_value
      - .offset:         3144
        .size:           1
        .value_kind:     by_value
      - .offset:         3145
        .size:           1
        .value_kind:     by_value
      - .offset:         3148
        .size:           4
        .value_kind:     by_value
      - .offset:         3152
        .size:           4
        .value_kind:     hidden_block_count_x
      - .offset:         3156
        .size:           4
        .value_kind:     hidden_block_count_y
      - .offset:         3160
        .size:           4
        .value_kind:     hidden_block_count_z
      - .offset:         3164
        .size:           2
        .value_kind:     hidden_group_size_x
      - .offset:         3166
        .size:           2
        .value_kind:     hidden_group_size_y
      - .offset:         3168
        .size:           2
        .value_kind:     hidden_group_size_z
      - .offset:         3170
        .size:           2
        .value_kind:     hidden_remainder_x
      - .offset:         3172
        .size:           2
        .value_kind:     hidden_remainder_y
      - .offset:         3174
        .size:           2
        .value_kind:     hidden_remainder_z
      - .offset:         3192
        .size:           8
        .value_kind:     hidden_global_offset_x
      - .offset:         3200
        .size:           8
        .value_kind:     hidden_global_offset_y
      - .offset:         3208
        .size:           8
        .value_kind:     hidden_global_offset_z
      - .offset:         3216
        .size:           2
        .value_kind:     hidden_grid_dims
    .group_segment_fixed_size: 0
    .kernarg_segment_align: 8
    .kernarg_segment_size: 3408
    .language:       OpenCL C
    .language_version:
      - 2
      - 0
    .max_flat_workgroup_size: 512
    .name:           _ZN2at6native12_GLOBAL__N_125multi_tensor_apply_kernelINS1_18TensorListMetadataILi2EEENS1_24BinaryOpListAlphaFunctorIN3c108BFloat16ELi2ELi2ELi0EEEJSt7dividesIfEfEEEvT_T0_DpT1_
    .private_segment_fixed_size: 0
    .sgpr_count:     23
    .sgpr_spill_count: 0
    .symbol:         _ZN2at6native12_GLOBAL__N_125multi_tensor_apply_kernelINS1_18TensorListMetadataILi2EEENS1_24BinaryOpListAlphaFunctorIN3c108BFloat16ELi2ELi2ELi0EEEJSt7dividesIfEfEEEvT_T0_DpT1_.kd
    .uniform_work_group_size: 1
    .uses_dynamic_stack: false
    .vgpr_count:     35
    .vgpr_spill_count: 0
    .wavefront_size: 32
    .workgroup_processor_mode: 1
  - .args:
      - .offset:         0
        .size:           3144
        .value_kind:     by_value
      - .offset:         3144
        .size:           1
        .value_kind:     by_value
      - .offset:         3145
        .size:           1
        .value_kind:     by_value
      - .offset:         3148
        .size:           4
        .value_kind:     by_value
      - .offset:         3152
        .size:           4
        .value_kind:     hidden_block_count_x
      - .offset:         3156
        .size:           4
        .value_kind:     hidden_block_count_y
      - .offset:         3160
        .size:           4
        .value_kind:     hidden_block_count_z
      - .offset:         3164
        .size:           2
        .value_kind:     hidden_group_size_x
      - .offset:         3166
        .size:           2
        .value_kind:     hidden_group_size_y
      - .offset:         3168
        .size:           2
        .value_kind:     hidden_group_size_z
      - .offset:         3170
        .size:           2
        .value_kind:     hidden_remainder_x
      - .offset:         3172
        .size:           2
        .value_kind:     hidden_remainder_y
      - .offset:         3174
        .size:           2
        .value_kind:     hidden_remainder_z
      - .offset:         3192
        .size:           8
        .value_kind:     hidden_global_offset_x
      - .offset:         3200
        .size:           8
        .value_kind:     hidden_global_offset_y
      - .offset:         3208
        .size:           8
        .value_kind:     hidden_global_offset_z
      - .offset:         3216
        .size:           2
        .value_kind:     hidden_grid_dims
    .group_segment_fixed_size: 0
    .kernarg_segment_align: 8
    .kernarg_segment_size: 3408
    .language:       OpenCL C
    .language_version:
      - 2
      - 0
    .max_flat_workgroup_size: 512
    .name:           _ZN2at6native12_GLOBAL__N_125multi_tensor_apply_kernelINS1_18TensorListMetadataILi2EEENS1_24BinaryOpListAlphaFunctorIN3c104HalfELi2ELi2ELi0EEEJSt7dividesIfEfEEEvT_T0_DpT1_
    .private_segment_fixed_size: 0
    .sgpr_count:     23
    .sgpr_spill_count: 0
    .symbol:         _ZN2at6native12_GLOBAL__N_125multi_tensor_apply_kernelINS1_18TensorListMetadataILi2EEENS1_24BinaryOpListAlphaFunctorIN3c104HalfELi2ELi2ELi0EEEJSt7dividesIfEfEEEvT_T0_DpT1_.kd
    .uniform_work_group_size: 1
    .uses_dynamic_stack: false
    .vgpr_count:     36
    .vgpr_spill_count: 0
    .wavefront_size: 32
    .workgroup_processor_mode: 1
  - .args:
      - .offset:         0
        .size:           3144
        .value_kind:     by_value
      - .offset:         3144
        .size:           1
        .value_kind:     by_value
      - .offset:         3145
        .size:           1
        .value_kind:     by_value
      - .offset:         3146
        .size:           1
        .value_kind:     by_value
      - .offset:         3152
        .size:           4
        .value_kind:     hidden_block_count_x
      - .offset:         3156
        .size:           4
        .value_kind:     hidden_block_count_y
      - .offset:         3160
        .size:           4
        .value_kind:     hidden_block_count_z
      - .offset:         3164
        .size:           2
        .value_kind:     hidden_group_size_x
      - .offset:         3166
        .size:           2
        .value_kind:     hidden_group_size_y
      - .offset:         3168
        .size:           2
        .value_kind:     hidden_group_size_z
      - .offset:         3170
        .size:           2
        .value_kind:     hidden_remainder_x
      - .offset:         3172
        .size:           2
        .value_kind:     hidden_remainder_y
      - .offset:         3174
        .size:           2
        .value_kind:     hidden_remainder_z
      - .offset:         3192
        .size:           8
        .value_kind:     hidden_global_offset_x
      - .offset:         3200
        .size:           8
        .value_kind:     hidden_global_offset_y
      - .offset:         3208
        .size:           8
        .value_kind:     hidden_global_offset_z
      - .offset:         3216
        .size:           2
        .value_kind:     hidden_grid_dims
    .group_segment_fixed_size: 0
    .kernarg_segment_align: 8
    .kernarg_segment_size: 3408
    .language:       OpenCL C
    .language_version:
      - 2
      - 0
    .max_flat_workgroup_size: 512
    .name:           _ZN2at6native12_GLOBAL__N_125multi_tensor_apply_kernelINS1_18TensorListMetadataILi3EEENS1_24BinaryOpListAlphaFunctorIhLi3ELi2ELi2EEEJSt7dividesIhEhEEEvT_T0_DpT1_
    .private_segment_fixed_size: 0
    .sgpr_count:     26
    .sgpr_spill_count: 0
    .symbol:         _ZN2at6native12_GLOBAL__N_125multi_tensor_apply_kernelINS1_18TensorListMetadataILi3EEENS1_24BinaryOpListAlphaFunctorIhLi3ELi2ELi2EEEJSt7dividesIhEhEEEvT_T0_DpT1_.kd
    .uniform_work_group_size: 1
    .uses_dynamic_stack: false
    .vgpr_count:     40
    .vgpr_spill_count: 0
    .wavefront_size: 32
    .workgroup_processor_mode: 1
  - .args:
      - .offset:         0
        .size:           3144
        .value_kind:     by_value
      - .offset:         3144
        .size:           1
        .value_kind:     by_value
      - .offset:         3145
        .size:           1
        .value_kind:     by_value
      - .offset:         3146
        .size:           1
        .value_kind:     by_value
      - .offset:         3152
        .size:           4
        .value_kind:     hidden_block_count_x
      - .offset:         3156
        .size:           4
        .value_kind:     hidden_block_count_y
      - .offset:         3160
        .size:           4
        .value_kind:     hidden_block_count_z
      - .offset:         3164
        .size:           2
        .value_kind:     hidden_group_size_x
      - .offset:         3166
        .size:           2
        .value_kind:     hidden_group_size_y
      - .offset:         3168
        .size:           2
        .value_kind:     hidden_group_size_z
      - .offset:         3170
        .size:           2
        .value_kind:     hidden_remainder_x
      - .offset:         3172
        .size:           2
        .value_kind:     hidden_remainder_y
      - .offset:         3174
        .size:           2
        .value_kind:     hidden_remainder_z
      - .offset:         3192
        .size:           8
        .value_kind:     hidden_global_offset_x
      - .offset:         3200
        .size:           8
        .value_kind:     hidden_global_offset_y
      - .offset:         3208
        .size:           8
        .value_kind:     hidden_global_offset_z
      - .offset:         3216
        .size:           2
        .value_kind:     hidden_grid_dims
    .group_segment_fixed_size: 0
    .kernarg_segment_align: 8
    .kernarg_segment_size: 3408
    .language:       OpenCL C
    .language_version:
      - 2
      - 0
    .max_flat_workgroup_size: 512
    .name:           _ZN2at6native12_GLOBAL__N_125multi_tensor_apply_kernelINS1_18TensorListMetadataILi3EEENS1_24BinaryOpListAlphaFunctorIaLi3ELi2ELi2EEEJSt7dividesIaEaEEEvT_T0_DpT1_
    .private_segment_fixed_size: 0
    .sgpr_count:     26
    .sgpr_spill_count: 0
    .symbol:         _ZN2at6native12_GLOBAL__N_125multi_tensor_apply_kernelINS1_18TensorListMetadataILi3EEENS1_24BinaryOpListAlphaFunctorIaLi3ELi2ELi2EEEJSt7dividesIaEaEEEvT_T0_DpT1_.kd
    .uniform_work_group_size: 1
    .uses_dynamic_stack: false
    .vgpr_count:     40
    .vgpr_spill_count: 0
    .wavefront_size: 32
    .workgroup_processor_mode: 1
  - .args:
      - .offset:         0
        .size:           3144
        .value_kind:     by_value
      - .offset:         3144
        .size:           1
        .value_kind:     by_value
      - .offset:         3145
        .size:           1
        .value_kind:     by_value
      - .offset:         3148
        .size:           4
        .value_kind:     by_value
      - .offset:         3152
        .size:           4
        .value_kind:     hidden_block_count_x
      - .offset:         3156
        .size:           4
        .value_kind:     hidden_block_count_y
      - .offset:         3160
        .size:           4
        .value_kind:     hidden_block_count_z
      - .offset:         3164
        .size:           2
        .value_kind:     hidden_group_size_x
      - .offset:         3166
        .size:           2
        .value_kind:     hidden_group_size_y
      - .offset:         3168
        .size:           2
        .value_kind:     hidden_group_size_z
      - .offset:         3170
        .size:           2
        .value_kind:     hidden_remainder_x
      - .offset:         3172
        .size:           2
        .value_kind:     hidden_remainder_y
      - .offset:         3174
        .size:           2
        .value_kind:     hidden_remainder_z
      - .offset:         3192
        .size:           8
        .value_kind:     hidden_global_offset_x
      - .offset:         3200
        .size:           8
        .value_kind:     hidden_global_offset_y
      - .offset:         3208
        .size:           8
        .value_kind:     hidden_global_offset_z
      - .offset:         3216
        .size:           2
        .value_kind:     hidden_grid_dims
    .group_segment_fixed_size: 0
    .kernarg_segment_align: 8
    .kernarg_segment_size: 3408
    .language:       OpenCL C
    .language_version:
      - 2
      - 0
    .max_flat_workgroup_size: 512
    .name:           _ZN2at6native12_GLOBAL__N_125multi_tensor_apply_kernelINS1_18TensorListMetadataILi3EEENS1_24BinaryOpListAlphaFunctorIiLi3ELi2ELi2EEEJSt7dividesIiEiEEEvT_T0_DpT1_
    .private_segment_fixed_size: 0
    .sgpr_count:     30
    .sgpr_spill_count: 0
    .symbol:         _ZN2at6native12_GLOBAL__N_125multi_tensor_apply_kernelINS1_18TensorListMetadataILi3EEENS1_24BinaryOpListAlphaFunctorIiLi3ELi2ELi2EEEJSt7dividesIiEiEEEvT_T0_DpT1_.kd
    .uniform_work_group_size: 1
    .uses_dynamic_stack: false
    .vgpr_count:     44
    .vgpr_spill_count: 0
    .wavefront_size: 32
    .workgroup_processor_mode: 1
  - .args:
      - .offset:         0
        .size:           3144
        .value_kind:     by_value
      - .offset:         3144
        .size:           1
        .value_kind:     by_value
      - .offset:         3145
        .size:           1
        .value_kind:     by_value
      - .offset:         3152
        .size:           8
        .value_kind:     by_value
      - .offset:         3160
        .size:           4
        .value_kind:     hidden_block_count_x
      - .offset:         3164
        .size:           4
        .value_kind:     hidden_block_count_y
      - .offset:         3168
        .size:           4
        .value_kind:     hidden_block_count_z
      - .offset:         3172
        .size:           2
        .value_kind:     hidden_group_size_x
      - .offset:         3174
        .size:           2
        .value_kind:     hidden_group_size_y
      - .offset:         3176
        .size:           2
        .value_kind:     hidden_group_size_z
      - .offset:         3178
        .size:           2
        .value_kind:     hidden_remainder_x
      - .offset:         3180
        .size:           2
        .value_kind:     hidden_remainder_y
      - .offset:         3182
        .size:           2
        .value_kind:     hidden_remainder_z
      - .offset:         3200
        .size:           8
        .value_kind:     hidden_global_offset_x
      - .offset:         3208
        .size:           8
        .value_kind:     hidden_global_offset_y
      - .offset:         3216
        .size:           8
        .value_kind:     hidden_global_offset_z
      - .offset:         3224
        .size:           2
        .value_kind:     hidden_grid_dims
    .group_segment_fixed_size: 0
    .kernarg_segment_align: 8
    .kernarg_segment_size: 3416
    .language:       OpenCL C
    .language_version:
      - 2
      - 0
    .max_flat_workgroup_size: 512
    .name:           _ZN2at6native12_GLOBAL__N_125multi_tensor_apply_kernelINS1_18TensorListMetadataILi3EEENS1_24BinaryOpListAlphaFunctorIlLi3ELi2ELi2EEEJSt7dividesIlElEEEvT_T0_DpT1_
    .private_segment_fixed_size: 0
    .sgpr_count:     28
    .sgpr_spill_count: 0
    .symbol:         _ZN2at6native12_GLOBAL__N_125multi_tensor_apply_kernelINS1_18TensorListMetadataILi3EEENS1_24BinaryOpListAlphaFunctorIlLi3ELi2ELi2EEEJSt7dividesIlElEEEvT_T0_DpT1_.kd
    .uniform_work_group_size: 1
    .uses_dynamic_stack: false
    .vgpr_count:     61
    .vgpr_spill_count: 0
    .wavefront_size: 32
    .workgroup_processor_mode: 1
  - .args:
      - .offset:         0
        .size:           3144
        .value_kind:     by_value
      - .offset:         3144
        .size:           1
        .value_kind:     by_value
      - .offset:         3145
        .size:           1
        .value_kind:     by_value
      - .offset:         3146
        .size:           2
        .value_kind:     by_value
      - .offset:         3152
        .size:           4
        .value_kind:     hidden_block_count_x
      - .offset:         3156
        .size:           4
        .value_kind:     hidden_block_count_y
      - .offset:         3160
        .size:           4
        .value_kind:     hidden_block_count_z
      - .offset:         3164
        .size:           2
        .value_kind:     hidden_group_size_x
      - .offset:         3166
        .size:           2
        .value_kind:     hidden_group_size_y
      - .offset:         3168
        .size:           2
        .value_kind:     hidden_group_size_z
      - .offset:         3170
        .size:           2
        .value_kind:     hidden_remainder_x
      - .offset:         3172
        .size:           2
        .value_kind:     hidden_remainder_y
      - .offset:         3174
        .size:           2
        .value_kind:     hidden_remainder_z
      - .offset:         3192
        .size:           8
        .value_kind:     hidden_global_offset_x
      - .offset:         3200
        .size:           8
        .value_kind:     hidden_global_offset_y
      - .offset:         3208
        .size:           8
        .value_kind:     hidden_global_offset_z
      - .offset:         3216
        .size:           2
        .value_kind:     hidden_grid_dims
    .group_segment_fixed_size: 0
    .kernarg_segment_align: 8
    .kernarg_segment_size: 3408
    .language:       OpenCL C
    .language_version:
      - 2
      - 0
    .max_flat_workgroup_size: 512
    .name:           _ZN2at6native12_GLOBAL__N_125multi_tensor_apply_kernelINS1_18TensorListMetadataILi3EEENS1_24BinaryOpListAlphaFunctorIsLi3ELi2ELi2EEEJSt7dividesIsEsEEEvT_T0_DpT1_
    .private_segment_fixed_size: 0
    .sgpr_count:     24
    .sgpr_spill_count: 0
    .symbol:         _ZN2at6native12_GLOBAL__N_125multi_tensor_apply_kernelINS1_18TensorListMetadataILi3EEENS1_24BinaryOpListAlphaFunctorIsLi3ELi2ELi2EEEJSt7dividesIsEsEEEvT_T0_DpT1_.kd
    .uniform_work_group_size: 1
    .uses_dynamic_stack: false
    .vgpr_count:     41
    .vgpr_spill_count: 0
    .wavefront_size: 32
    .workgroup_processor_mode: 1
  - .args:
      - .offset:         0
        .size:           3144
        .value_kind:     by_value
      - .offset:         3144
        .size:           1
        .value_kind:     by_value
      - .offset:         3145
        .size:           1
        .value_kind:     by_value
      - .offset:         3152
        .size:           8
        .value_kind:     by_value
      - .offset:         3160
        .size:           4
        .value_kind:     hidden_block_count_x
      - .offset:         3164
        .size:           4
        .value_kind:     hidden_block_count_y
      - .offset:         3168
        .size:           4
        .value_kind:     hidden_block_count_z
      - .offset:         3172
        .size:           2
        .value_kind:     hidden_group_size_x
      - .offset:         3174
        .size:           2
        .value_kind:     hidden_group_size_y
      - .offset:         3176
        .size:           2
        .value_kind:     hidden_group_size_z
      - .offset:         3178
        .size:           2
        .value_kind:     hidden_remainder_x
      - .offset:         3180
        .size:           2
        .value_kind:     hidden_remainder_y
      - .offset:         3182
        .size:           2
        .value_kind:     hidden_remainder_z
      - .offset:         3200
        .size:           8
        .value_kind:     hidden_global_offset_x
      - .offset:         3208
        .size:           8
        .value_kind:     hidden_global_offset_y
      - .offset:         3216
        .size:           8
        .value_kind:     hidden_global_offset_z
      - .offset:         3224
        .size:           2
        .value_kind:     hidden_grid_dims
    .group_segment_fixed_size: 0
    .kernarg_segment_align: 8
    .kernarg_segment_size: 3416
    .language:       OpenCL C
    .language_version:
      - 2
      - 0
    .max_flat_workgroup_size: 512
    .name:           _ZN2at6native12_GLOBAL__N_125multi_tensor_apply_kernelINS1_18TensorListMetadataILi3EEENS1_24BinaryOpListAlphaFunctorIdLi3ELi2ELi2EEEJSt7dividesIdEdEEEvT_T0_DpT1_
    .private_segment_fixed_size: 0
    .sgpr_count:     30
    .sgpr_spill_count: 0
    .symbol:         _ZN2at6native12_GLOBAL__N_125multi_tensor_apply_kernelINS1_18TensorListMetadataILi3EEENS1_24BinaryOpListAlphaFunctorIdLi3ELi2ELi2EEEJSt7dividesIdEdEEEvT_T0_DpT1_.kd
    .uniform_work_group_size: 1
    .uses_dynamic_stack: false
    .vgpr_count:     55
    .vgpr_spill_count: 0
    .wavefront_size: 32
    .workgroup_processor_mode: 1
  - .args:
      - .offset:         0
        .size:           3144
        .value_kind:     by_value
      - .offset:         3144
        .size:           1
        .value_kind:     by_value
      - .offset:         3145
        .size:           1
        .value_kind:     by_value
      - .offset:         3148
        .size:           4
        .value_kind:     by_value
      - .offset:         3152
        .size:           4
        .value_kind:     hidden_block_count_x
      - .offset:         3156
        .size:           4
        .value_kind:     hidden_block_count_y
      - .offset:         3160
        .size:           4
        .value_kind:     hidden_block_count_z
      - .offset:         3164
        .size:           2
        .value_kind:     hidden_group_size_x
      - .offset:         3166
        .size:           2
        .value_kind:     hidden_group_size_y
      - .offset:         3168
        .size:           2
        .value_kind:     hidden_group_size_z
      - .offset:         3170
        .size:           2
        .value_kind:     hidden_remainder_x
      - .offset:         3172
        .size:           2
        .value_kind:     hidden_remainder_y
      - .offset:         3174
        .size:           2
        .value_kind:     hidden_remainder_z
      - .offset:         3192
        .size:           8
        .value_kind:     hidden_global_offset_x
      - .offset:         3200
        .size:           8
        .value_kind:     hidden_global_offset_y
      - .offset:         3208
        .size:           8
        .value_kind:     hidden_global_offset_z
      - .offset:         3216
        .size:           2
        .value_kind:     hidden_grid_dims
    .group_segment_fixed_size: 0
    .kernarg_segment_align: 8
    .kernarg_segment_size: 3408
    .language:       OpenCL C
    .language_version:
      - 2
      - 0
    .max_flat_workgroup_size: 512
    .name:           _ZN2at6native12_GLOBAL__N_125multi_tensor_apply_kernelINS1_18TensorListMetadataILi3EEENS1_24BinaryOpListAlphaFunctorIfLi3ELi2ELi2EEEJSt7dividesIfEfEEEvT_T0_DpT1_
    .private_segment_fixed_size: 0
    .sgpr_count:     30
    .sgpr_spill_count: 0
    .symbol:         _ZN2at6native12_GLOBAL__N_125multi_tensor_apply_kernelINS1_18TensorListMetadataILi3EEENS1_24BinaryOpListAlphaFunctorIfLi3ELi2ELi2EEEJSt7dividesIfEfEEEvT_T0_DpT1_.kd
    .uniform_work_group_size: 1
    .uses_dynamic_stack: false
    .vgpr_count:     44
    .vgpr_spill_count: 0
    .wavefront_size: 32
    .workgroup_processor_mode: 1
  - .args:
      - .offset:         0
        .size:           3144
        .value_kind:     by_value
      - .offset:         3144
        .size:           1
        .value_kind:     by_value
      - .offset:         3145
        .size:           1
        .value_kind:     by_value
      - .offset:         3152
        .size:           16
        .value_kind:     by_value
      - .offset:         3168
        .size:           4
        .value_kind:     hidden_block_count_x
      - .offset:         3172
        .size:           4
        .value_kind:     hidden_block_count_y
      - .offset:         3176
        .size:           4
        .value_kind:     hidden_block_count_z
      - .offset:         3180
        .size:           2
        .value_kind:     hidden_group_size_x
      - .offset:         3182
        .size:           2
        .value_kind:     hidden_group_size_y
      - .offset:         3184
        .size:           2
        .value_kind:     hidden_group_size_z
      - .offset:         3186
        .size:           2
        .value_kind:     hidden_remainder_x
      - .offset:         3188
        .size:           2
        .value_kind:     hidden_remainder_y
      - .offset:         3190
        .size:           2
        .value_kind:     hidden_remainder_z
      - .offset:         3208
        .size:           8
        .value_kind:     hidden_global_offset_x
      - .offset:         3216
        .size:           8
        .value_kind:     hidden_global_offset_y
      - .offset:         3224
        .size:           8
        .value_kind:     hidden_global_offset_z
      - .offset:         3232
        .size:           2
        .value_kind:     hidden_grid_dims
    .group_segment_fixed_size: 0
    .kernarg_segment_align: 16
    .kernarg_segment_size: 3424
    .language:       OpenCL C
    .language_version:
      - 2
      - 0
    .max_flat_workgroup_size: 512
    .name:           _ZN2at6native12_GLOBAL__N_125multi_tensor_apply_kernelINS1_18TensorListMetadataILi3EEENS1_24BinaryOpListAlphaFunctorIN3c107complexIdEELi3ELi2ELi2EEEJSt7dividesIS8_ES8_EEEvT_T0_DpT1_
    .private_segment_fixed_size: 0
    .sgpr_count:     31
    .sgpr_spill_count: 0
    .symbol:         _ZN2at6native12_GLOBAL__N_125multi_tensor_apply_kernelINS1_18TensorListMetadataILi3EEENS1_24BinaryOpListAlphaFunctorIN3c107complexIdEELi3ELi2ELi2EEEJSt7dividesIS8_ES8_EEEvT_T0_DpT1_.kd
    .uniform_work_group_size: 1
    .uses_dynamic_stack: false
    .vgpr_count:     74
    .vgpr_spill_count: 0
    .wavefront_size: 32
    .workgroup_processor_mode: 1
  - .args:
      - .offset:         0
        .size:           3144
        .value_kind:     by_value
      - .offset:         3144
        .size:           1
        .value_kind:     by_value
      - .offset:         3145
        .size:           1
        .value_kind:     by_value
      - .offset:         3152
        .size:           8
        .value_kind:     by_value
      - .offset:         3160
        .size:           4
        .value_kind:     hidden_block_count_x
      - .offset:         3164
        .size:           4
        .value_kind:     hidden_block_count_y
      - .offset:         3168
        .size:           4
        .value_kind:     hidden_block_count_z
      - .offset:         3172
        .size:           2
        .value_kind:     hidden_group_size_x
      - .offset:         3174
        .size:           2
        .value_kind:     hidden_group_size_y
      - .offset:         3176
        .size:           2
        .value_kind:     hidden_group_size_z
      - .offset:         3178
        .size:           2
        .value_kind:     hidden_remainder_x
      - .offset:         3180
        .size:           2
        .value_kind:     hidden_remainder_y
      - .offset:         3182
        .size:           2
        .value_kind:     hidden_remainder_z
      - .offset:         3200
        .size:           8
        .value_kind:     hidden_global_offset_x
      - .offset:         3208
        .size:           8
        .value_kind:     hidden_global_offset_y
      - .offset:         3216
        .size:           8
        .value_kind:     hidden_global_offset_z
      - .offset:         3224
        .size:           2
        .value_kind:     hidden_grid_dims
    .group_segment_fixed_size: 0
    .kernarg_segment_align: 8
    .kernarg_segment_size: 3416
    .language:       OpenCL C
    .language_version:
      - 2
      - 0
    .max_flat_workgroup_size: 512
    .name:           _ZN2at6native12_GLOBAL__N_125multi_tensor_apply_kernelINS1_18TensorListMetadataILi3EEENS1_24BinaryOpListAlphaFunctorIN3c107complexIfEELi3ELi2ELi2EEEJSt7dividesIS8_ES8_EEEvT_T0_DpT1_
    .private_segment_fixed_size: 0
    .sgpr_count:     29
    .sgpr_spill_count: 0
    .symbol:         _ZN2at6native12_GLOBAL__N_125multi_tensor_apply_kernelINS1_18TensorListMetadataILi3EEENS1_24BinaryOpListAlphaFunctorIN3c107complexIfEELi3ELi2ELi2EEEJSt7dividesIS8_ES8_EEEvT_T0_DpT1_.kd
    .uniform_work_group_size: 1
    .uses_dynamic_stack: false
    .vgpr_count:     52
    .vgpr_spill_count: 0
    .wavefront_size: 32
    .workgroup_processor_mode: 1
  - .args:
      - .offset:         0
        .size:           3144
        .value_kind:     by_value
      - .offset:         3144
        .size:           1
        .value_kind:     by_value
      - .offset:         3145
        .size:           1
        .value_kind:     by_value
      - .offset:         3146
        .size:           1
        .value_kind:     by_value
      - .offset:         3152
        .size:           4
        .value_kind:     hidden_block_count_x
      - .offset:         3156
        .size:           4
        .value_kind:     hidden_block_count_y
      - .offset:         3160
        .size:           4
        .value_kind:     hidden_block_count_z
      - .offset:         3164
        .size:           2
        .value_kind:     hidden_group_size_x
      - .offset:         3166
        .size:           2
        .value_kind:     hidden_group_size_y
      - .offset:         3168
        .size:           2
        .value_kind:     hidden_group_size_z
      - .offset:         3170
        .size:           2
        .value_kind:     hidden_remainder_x
      - .offset:         3172
        .size:           2
        .value_kind:     hidden_remainder_y
      - .offset:         3174
        .size:           2
        .value_kind:     hidden_remainder_z
      - .offset:         3192
        .size:           8
        .value_kind:     hidden_global_offset_x
      - .offset:         3200
        .size:           8
        .value_kind:     hidden_global_offset_y
      - .offset:         3208
        .size:           8
        .value_kind:     hidden_global_offset_z
      - .offset:         3216
        .size:           2
        .value_kind:     hidden_grid_dims
    .group_segment_fixed_size: 0
    .kernarg_segment_align: 8
    .kernarg_segment_size: 3408
    .language:       OpenCL C
    .language_version:
      - 2
      - 0
    .max_flat_workgroup_size: 512
    .name:           _ZN2at6native12_GLOBAL__N_125multi_tensor_apply_kernelINS1_18TensorListMetadataILi3EEENS1_24BinaryOpListAlphaFunctorIbLi3ELi2ELi2EEEJSt7dividesIbEbEEEvT_T0_DpT1_
    .private_segment_fixed_size: 0
    .sgpr_count:     20
    .sgpr_spill_count: 0
    .symbol:         _ZN2at6native12_GLOBAL__N_125multi_tensor_apply_kernelINS1_18TensorListMetadataILi3EEENS1_24BinaryOpListAlphaFunctorIbLi3ELi2ELi2EEEJSt7dividesIbEbEEEvT_T0_DpT1_.kd
    .uniform_work_group_size: 1
    .uses_dynamic_stack: false
    .vgpr_count:     29
    .vgpr_spill_count: 0
    .wavefront_size: 32
    .workgroup_processor_mode: 1
  - .args:
      - .offset:         0
        .size:           3144
        .value_kind:     by_value
      - .offset:         3144
        .size:           1
        .value_kind:     by_value
      - .offset:         3145
        .size:           1
        .value_kind:     by_value
      - .offset:         3148
        .size:           4
        .value_kind:     by_value
      - .offset:         3152
        .size:           4
        .value_kind:     hidden_block_count_x
      - .offset:         3156
        .size:           4
        .value_kind:     hidden_block_count_y
      - .offset:         3160
        .size:           4
        .value_kind:     hidden_block_count_z
      - .offset:         3164
        .size:           2
        .value_kind:     hidden_group_size_x
      - .offset:         3166
        .size:           2
        .value_kind:     hidden_group_size_y
      - .offset:         3168
        .size:           2
        .value_kind:     hidden_group_size_z
      - .offset:         3170
        .size:           2
        .value_kind:     hidden_remainder_x
      - .offset:         3172
        .size:           2
        .value_kind:     hidden_remainder_y
      - .offset:         3174
        .size:           2
        .value_kind:     hidden_remainder_z
      - .offset:         3192
        .size:           8
        .value_kind:     hidden_global_offset_x
      - .offset:         3200
        .size:           8
        .value_kind:     hidden_global_offset_y
      - .offset:         3208
        .size:           8
        .value_kind:     hidden_global_offset_z
      - .offset:         3216
        .size:           2
        .value_kind:     hidden_grid_dims
    .group_segment_fixed_size: 0
    .kernarg_segment_align: 8
    .kernarg_segment_size: 3408
    .language:       OpenCL C
    .language_version:
      - 2
      - 0
    .max_flat_workgroup_size: 512
    .name:           _ZN2at6native12_GLOBAL__N_125multi_tensor_apply_kernelINS1_18TensorListMetadataILi3EEENS1_24BinaryOpListAlphaFunctorIN3c108BFloat16ELi3ELi2ELi2EEEJSt7dividesIfEfEEEvT_T0_DpT1_
    .private_segment_fixed_size: 0
    .sgpr_count:     25
    .sgpr_spill_count: 0
    .symbol:         _ZN2at6native12_GLOBAL__N_125multi_tensor_apply_kernelINS1_18TensorListMetadataILi3EEENS1_24BinaryOpListAlphaFunctorIN3c108BFloat16ELi3ELi2ELi2EEEJSt7dividesIfEfEEEvT_T0_DpT1_.kd
    .uniform_work_group_size: 1
    .uses_dynamic_stack: false
    .vgpr_count:     43
    .vgpr_spill_count: 0
    .wavefront_size: 32
    .workgroup_processor_mode: 1
  - .args:
      - .offset:         0
        .size:           3144
        .value_kind:     by_value
      - .offset:         3144
        .size:           1
        .value_kind:     by_value
      - .offset:         3145
        .size:           1
        .value_kind:     by_value
      - .offset:         3148
        .size:           4
        .value_kind:     by_value
      - .offset:         3152
        .size:           4
        .value_kind:     hidden_block_count_x
      - .offset:         3156
        .size:           4
        .value_kind:     hidden_block_count_y
      - .offset:         3160
        .size:           4
        .value_kind:     hidden_block_count_z
      - .offset:         3164
        .size:           2
        .value_kind:     hidden_group_size_x
      - .offset:         3166
        .size:           2
        .value_kind:     hidden_group_size_y
      - .offset:         3168
        .size:           2
        .value_kind:     hidden_group_size_z
      - .offset:         3170
        .size:           2
        .value_kind:     hidden_remainder_x
      - .offset:         3172
        .size:           2
        .value_kind:     hidden_remainder_y
      - .offset:         3174
        .size:           2
        .value_kind:     hidden_remainder_z
      - .offset:         3192
        .size:           8
        .value_kind:     hidden_global_offset_x
      - .offset:         3200
        .size:           8
        .value_kind:     hidden_global_offset_y
      - .offset:         3208
        .size:           8
        .value_kind:     hidden_global_offset_z
      - .offset:         3216
        .size:           2
        .value_kind:     hidden_grid_dims
    .group_segment_fixed_size: 0
    .kernarg_segment_align: 8
    .kernarg_segment_size: 3408
    .language:       OpenCL C
    .language_version:
      - 2
      - 0
    .max_flat_workgroup_size: 512
    .name:           _ZN2at6native12_GLOBAL__N_125multi_tensor_apply_kernelINS1_18TensorListMetadataILi3EEENS1_24BinaryOpListAlphaFunctorIN3c104HalfELi3ELi2ELi2EEEJSt7dividesIfEfEEEvT_T0_DpT1_
    .private_segment_fixed_size: 0
    .sgpr_count:     29
    .sgpr_spill_count: 0
    .symbol:         _ZN2at6native12_GLOBAL__N_125multi_tensor_apply_kernelINS1_18TensorListMetadataILi3EEENS1_24BinaryOpListAlphaFunctorIN3c104HalfELi3ELi2ELi2EEEJSt7dividesIfEfEEEvT_T0_DpT1_.kd
    .uniform_work_group_size: 1
    .uses_dynamic_stack: false
    .vgpr_count:     44
    .vgpr_spill_count: 0
    .wavefront_size: 32
    .workgroup_processor_mode: 1
  - .args:
      - .offset:         0
        .size:           3144
        .value_kind:     by_value
      - .offset:         3144
        .size:           1
        .value_kind:     by_value
      - .offset:         3145
        .size:           1
        .value_kind:     by_value
      - .offset:         3146
        .size:           1
        .value_kind:     by_value
      - .offset:         3152
        .size:           4
        .value_kind:     hidden_block_count_x
      - .offset:         3156
        .size:           4
        .value_kind:     hidden_block_count_y
      - .offset:         3160
        .size:           4
        .value_kind:     hidden_block_count_z
      - .offset:         3164
        .size:           2
        .value_kind:     hidden_group_size_x
      - .offset:         3166
        .size:           2
        .value_kind:     hidden_group_size_y
      - .offset:         3168
        .size:           2
        .value_kind:     hidden_group_size_z
      - .offset:         3170
        .size:           2
        .value_kind:     hidden_remainder_x
      - .offset:         3172
        .size:           2
        .value_kind:     hidden_remainder_y
      - .offset:         3174
        .size:           2
        .value_kind:     hidden_remainder_z
      - .offset:         3192
        .size:           8
        .value_kind:     hidden_global_offset_x
      - .offset:         3200
        .size:           8
        .value_kind:     hidden_global_offset_y
      - .offset:         3208
        .size:           8
        .value_kind:     hidden_global_offset_z
      - .offset:         3216
        .size:           2
        .value_kind:     hidden_grid_dims
    .group_segment_fixed_size: 0
    .kernarg_segment_align: 8
    .kernarg_segment_size: 3408
    .language:       OpenCL C
    .language_version:
      - 2
      - 0
    .max_flat_workgroup_size: 512
    .name:           _ZN2at6native12_GLOBAL__N_125multi_tensor_apply_kernelINS1_18TensorListMetadataILi2EEENS1_24BinaryOpListAlphaFunctorIhLi2ELi2ELi0EEEJNS0_7minimumIhEEhEEEvT_T0_DpT1_
    .private_segment_fixed_size: 0
    .sgpr_count:     22
    .sgpr_spill_count: 0
    .symbol:         _ZN2at6native12_GLOBAL__N_125multi_tensor_apply_kernelINS1_18TensorListMetadataILi2EEENS1_24BinaryOpListAlphaFunctorIhLi2ELi2ELi0EEEJNS0_7minimumIhEEhEEEvT_T0_DpT1_.kd
    .uniform_work_group_size: 1
    .uses_dynamic_stack: false
    .vgpr_count:     31
    .vgpr_spill_count: 0
    .wavefront_size: 32
    .workgroup_processor_mode: 1
  - .args:
      - .offset:         0
        .size:           3144
        .value_kind:     by_value
      - .offset:         3144
        .size:           1
        .value_kind:     by_value
      - .offset:         3145
        .size:           1
        .value_kind:     by_value
      - .offset:         3146
        .size:           1
        .value_kind:     by_value
      - .offset:         3152
        .size:           4
        .value_kind:     hidden_block_count_x
      - .offset:         3156
        .size:           4
        .value_kind:     hidden_block_count_y
      - .offset:         3160
        .size:           4
        .value_kind:     hidden_block_count_z
      - .offset:         3164
        .size:           2
        .value_kind:     hidden_group_size_x
      - .offset:         3166
        .size:           2
        .value_kind:     hidden_group_size_y
      - .offset:         3168
        .size:           2
        .value_kind:     hidden_group_size_z
      - .offset:         3170
        .size:           2
        .value_kind:     hidden_remainder_x
      - .offset:         3172
        .size:           2
        .value_kind:     hidden_remainder_y
      - .offset:         3174
        .size:           2
        .value_kind:     hidden_remainder_z
      - .offset:         3192
        .size:           8
        .value_kind:     hidden_global_offset_x
      - .offset:         3200
        .size:           8
        .value_kind:     hidden_global_offset_y
      - .offset:         3208
        .size:           8
        .value_kind:     hidden_global_offset_z
      - .offset:         3216
        .size:           2
        .value_kind:     hidden_grid_dims
    .group_segment_fixed_size: 0
    .kernarg_segment_align: 8
    .kernarg_segment_size: 3408
    .language:       OpenCL C
    .language_version:
      - 2
      - 0
    .max_flat_workgroup_size: 512
    .name:           _ZN2at6native12_GLOBAL__N_125multi_tensor_apply_kernelINS1_18TensorListMetadataILi2EEENS1_24BinaryOpListAlphaFunctorIaLi2ELi2ELi0EEEJNS0_7minimumIaEEaEEEvT_T0_DpT1_
    .private_segment_fixed_size: 0
    .sgpr_count:     22
    .sgpr_spill_count: 0
    .symbol:         _ZN2at6native12_GLOBAL__N_125multi_tensor_apply_kernelINS1_18TensorListMetadataILi2EEENS1_24BinaryOpListAlphaFunctorIaLi2ELi2ELi0EEEJNS0_7minimumIaEEaEEEvT_T0_DpT1_.kd
    .uniform_work_group_size: 1
    .uses_dynamic_stack: false
    .vgpr_count:     31
    .vgpr_spill_count: 0
    .wavefront_size: 32
    .workgroup_processor_mode: 1
  - .args:
      - .offset:         0
        .size:           3144
        .value_kind:     by_value
      - .offset:         3144
        .size:           1
        .value_kind:     by_value
      - .offset:         3145
        .size:           1
        .value_kind:     by_value
      - .offset:         3148
        .size:           4
        .value_kind:     by_value
      - .offset:         3152
        .size:           4
        .value_kind:     hidden_block_count_x
      - .offset:         3156
        .size:           4
        .value_kind:     hidden_block_count_y
      - .offset:         3160
        .size:           4
        .value_kind:     hidden_block_count_z
      - .offset:         3164
        .size:           2
        .value_kind:     hidden_group_size_x
      - .offset:         3166
        .size:           2
        .value_kind:     hidden_group_size_y
      - .offset:         3168
        .size:           2
        .value_kind:     hidden_group_size_z
      - .offset:         3170
        .size:           2
        .value_kind:     hidden_remainder_x
      - .offset:         3172
        .size:           2
        .value_kind:     hidden_remainder_y
      - .offset:         3174
        .size:           2
        .value_kind:     hidden_remainder_z
      - .offset:         3192
        .size:           8
        .value_kind:     hidden_global_offset_x
      - .offset:         3200
        .size:           8
        .value_kind:     hidden_global_offset_y
      - .offset:         3208
        .size:           8
        .value_kind:     hidden_global_offset_z
      - .offset:         3216
        .size:           2
        .value_kind:     hidden_grid_dims
    .group_segment_fixed_size: 0
    .kernarg_segment_align: 8
    .kernarg_segment_size: 3408
    .language:       OpenCL C
    .language_version:
      - 2
      - 0
    .max_flat_workgroup_size: 512
    .name:           _ZN2at6native12_GLOBAL__N_125multi_tensor_apply_kernelINS1_18TensorListMetadataILi2EEENS1_24BinaryOpListAlphaFunctorIiLi2ELi2ELi0EEEJNS0_7minimumIiEEiEEEvT_T0_DpT1_
    .private_segment_fixed_size: 0
    .sgpr_count:     26
    .sgpr_spill_count: 0
    .symbol:         _ZN2at6native12_GLOBAL__N_125multi_tensor_apply_kernelINS1_18TensorListMetadataILi2EEENS1_24BinaryOpListAlphaFunctorIiLi2ELi2ELi0EEEJNS0_7minimumIiEEiEEEvT_T0_DpT1_.kd
    .uniform_work_group_size: 1
    .uses_dynamic_stack: false
    .vgpr_count:     33
    .vgpr_spill_count: 0
    .wavefront_size: 32
    .workgroup_processor_mode: 1
  - .args:
      - .offset:         0
        .size:           3144
        .value_kind:     by_value
      - .offset:         3144
        .size:           1
        .value_kind:     by_value
      - .offset:         3145
        .size:           1
        .value_kind:     by_value
      - .offset:         3152
        .size:           8
        .value_kind:     by_value
      - .offset:         3160
        .size:           4
        .value_kind:     hidden_block_count_x
      - .offset:         3164
        .size:           4
        .value_kind:     hidden_block_count_y
      - .offset:         3168
        .size:           4
        .value_kind:     hidden_block_count_z
      - .offset:         3172
        .size:           2
        .value_kind:     hidden_group_size_x
      - .offset:         3174
        .size:           2
        .value_kind:     hidden_group_size_y
      - .offset:         3176
        .size:           2
        .value_kind:     hidden_group_size_z
      - .offset:         3178
        .size:           2
        .value_kind:     hidden_remainder_x
      - .offset:         3180
        .size:           2
        .value_kind:     hidden_remainder_y
      - .offset:         3182
        .size:           2
        .value_kind:     hidden_remainder_z
      - .offset:         3200
        .size:           8
        .value_kind:     hidden_global_offset_x
      - .offset:         3208
        .size:           8
        .value_kind:     hidden_global_offset_y
      - .offset:         3216
        .size:           8
        .value_kind:     hidden_global_offset_z
      - .offset:         3224
        .size:           2
        .value_kind:     hidden_grid_dims
    .group_segment_fixed_size: 0
    .kernarg_segment_align: 8
    .kernarg_segment_size: 3416
    .language:       OpenCL C
    .language_version:
      - 2
      - 0
    .max_flat_workgroup_size: 512
    .name:           _ZN2at6native12_GLOBAL__N_125multi_tensor_apply_kernelINS1_18TensorListMetadataILi2EEENS1_24BinaryOpListAlphaFunctorIlLi2ELi2ELi0EEEJNS0_7minimumIlEElEEEvT_T0_DpT1_
    .private_segment_fixed_size: 0
    .sgpr_count:     28
    .sgpr_spill_count: 0
    .symbol:         _ZN2at6native12_GLOBAL__N_125multi_tensor_apply_kernelINS1_18TensorListMetadataILi2EEENS1_24BinaryOpListAlphaFunctorIlLi2ELi2ELi0EEEJNS0_7minimumIlEElEEEvT_T0_DpT1_.kd
    .uniform_work_group_size: 1
    .uses_dynamic_stack: false
    .vgpr_count:     42
    .vgpr_spill_count: 0
    .wavefront_size: 32
    .workgroup_processor_mode: 1
  - .args:
      - .offset:         0
        .size:           3144
        .value_kind:     by_value
      - .offset:         3144
        .size:           1
        .value_kind:     by_value
      - .offset:         3145
        .size:           1
        .value_kind:     by_value
      - .offset:         3146
        .size:           2
        .value_kind:     by_value
      - .offset:         3152
        .size:           4
        .value_kind:     hidden_block_count_x
      - .offset:         3156
        .size:           4
        .value_kind:     hidden_block_count_y
      - .offset:         3160
        .size:           4
        .value_kind:     hidden_block_count_z
      - .offset:         3164
        .size:           2
        .value_kind:     hidden_group_size_x
      - .offset:         3166
        .size:           2
        .value_kind:     hidden_group_size_y
      - .offset:         3168
        .size:           2
        .value_kind:     hidden_group_size_z
      - .offset:         3170
        .size:           2
        .value_kind:     hidden_remainder_x
      - .offset:         3172
        .size:           2
        .value_kind:     hidden_remainder_y
      - .offset:         3174
        .size:           2
        .value_kind:     hidden_remainder_z
      - .offset:         3192
        .size:           8
        .value_kind:     hidden_global_offset_x
      - .offset:         3200
        .size:           8
        .value_kind:     hidden_global_offset_y
      - .offset:         3208
        .size:           8
        .value_kind:     hidden_global_offset_z
      - .offset:         3216
        .size:           2
        .value_kind:     hidden_grid_dims
    .group_segment_fixed_size: 0
    .kernarg_segment_align: 8
    .kernarg_segment_size: 3408
    .language:       OpenCL C
    .language_version:
      - 2
      - 0
    .max_flat_workgroup_size: 512
    .name:           _ZN2at6native12_GLOBAL__N_125multi_tensor_apply_kernelINS1_18TensorListMetadataILi2EEENS1_24BinaryOpListAlphaFunctorIsLi2ELi2ELi0EEEJNS0_7minimumIsEEsEEEvT_T0_DpT1_
    .private_segment_fixed_size: 0
    .sgpr_count:     22
    .sgpr_spill_count: 0
    .symbol:         _ZN2at6native12_GLOBAL__N_125multi_tensor_apply_kernelINS1_18TensorListMetadataILi2EEENS1_24BinaryOpListAlphaFunctorIsLi2ELi2ELi0EEEJNS0_7minimumIsEEsEEEvT_T0_DpT1_.kd
    .uniform_work_group_size: 1
    .uses_dynamic_stack: false
    .vgpr_count:     31
    .vgpr_spill_count: 0
    .wavefront_size: 32
    .workgroup_processor_mode: 1
  - .args:
      - .offset:         0
        .size:           3144
        .value_kind:     by_value
      - .offset:         3144
        .size:           1
        .value_kind:     by_value
      - .offset:         3145
        .size:           1
        .value_kind:     by_value
      - .offset:         3152
        .size:           8
        .value_kind:     by_value
      - .offset:         3160
        .size:           4
        .value_kind:     hidden_block_count_x
      - .offset:         3164
        .size:           4
        .value_kind:     hidden_block_count_y
      - .offset:         3168
        .size:           4
        .value_kind:     hidden_block_count_z
      - .offset:         3172
        .size:           2
        .value_kind:     hidden_group_size_x
      - .offset:         3174
        .size:           2
        .value_kind:     hidden_group_size_y
      - .offset:         3176
        .size:           2
        .value_kind:     hidden_group_size_z
      - .offset:         3178
        .size:           2
        .value_kind:     hidden_remainder_x
      - .offset:         3180
        .size:           2
        .value_kind:     hidden_remainder_y
      - .offset:         3182
        .size:           2
        .value_kind:     hidden_remainder_z
      - .offset:         3200
        .size:           8
        .value_kind:     hidden_global_offset_x
      - .offset:         3208
        .size:           8
        .value_kind:     hidden_global_offset_y
      - .offset:         3216
        .size:           8
        .value_kind:     hidden_global_offset_z
      - .offset:         3224
        .size:           2
        .value_kind:     hidden_grid_dims
    .group_segment_fixed_size: 0
    .kernarg_segment_align: 8
    .kernarg_segment_size: 3416
    .language:       OpenCL C
    .language_version:
      - 2
      - 0
    .max_flat_workgroup_size: 512
    .name:           _ZN2at6native12_GLOBAL__N_125multi_tensor_apply_kernelINS1_18TensorListMetadataILi2EEENS1_24BinaryOpListAlphaFunctorIdLi2ELi2ELi0EEEJNS0_7minimumIdEEdEEEvT_T0_DpT1_
    .private_segment_fixed_size: 0
    .sgpr_count:     32
    .sgpr_spill_count: 0
    .symbol:         _ZN2at6native12_GLOBAL__N_125multi_tensor_apply_kernelINS1_18TensorListMetadataILi2EEENS1_24BinaryOpListAlphaFunctorIdLi2ELi2ELi0EEEJNS0_7minimumIdEEdEEEvT_T0_DpT1_.kd
    .uniform_work_group_size: 1
    .uses_dynamic_stack: false
    .vgpr_count:     39
    .vgpr_spill_count: 0
    .wavefront_size: 32
    .workgroup_processor_mode: 1
  - .args:
      - .offset:         0
        .size:           3144
        .value_kind:     by_value
      - .offset:         3144
        .size:           1
        .value_kind:     by_value
      - .offset:         3145
        .size:           1
        .value_kind:     by_value
      - .offset:         3148
        .size:           4
        .value_kind:     by_value
      - .offset:         3152
        .size:           4
        .value_kind:     hidden_block_count_x
      - .offset:         3156
        .size:           4
        .value_kind:     hidden_block_count_y
      - .offset:         3160
        .size:           4
        .value_kind:     hidden_block_count_z
      - .offset:         3164
        .size:           2
        .value_kind:     hidden_group_size_x
      - .offset:         3166
        .size:           2
        .value_kind:     hidden_group_size_y
      - .offset:         3168
        .size:           2
        .value_kind:     hidden_group_size_z
      - .offset:         3170
        .size:           2
        .value_kind:     hidden_remainder_x
      - .offset:         3172
        .size:           2
        .value_kind:     hidden_remainder_y
      - .offset:         3174
        .size:           2
        .value_kind:     hidden_remainder_z
      - .offset:         3192
        .size:           8
        .value_kind:     hidden_global_offset_x
      - .offset:         3200
        .size:           8
        .value_kind:     hidden_global_offset_y
      - .offset:         3208
        .size:           8
        .value_kind:     hidden_global_offset_z
      - .offset:         3216
        .size:           2
        .value_kind:     hidden_grid_dims
    .group_segment_fixed_size: 0
    .kernarg_segment_align: 8
    .kernarg_segment_size: 3408
    .language:       OpenCL C
    .language_version:
      - 2
      - 0
    .max_flat_workgroup_size: 512
    .name:           _ZN2at6native12_GLOBAL__N_125multi_tensor_apply_kernelINS1_18TensorListMetadataILi2EEENS1_24BinaryOpListAlphaFunctorIfLi2ELi2ELi0EEEJNS0_7minimumIfEEfEEEvT_T0_DpT1_
    .private_segment_fixed_size: 0
    .sgpr_count:     29
    .sgpr_spill_count: 0
    .symbol:         _ZN2at6native12_GLOBAL__N_125multi_tensor_apply_kernelINS1_18TensorListMetadataILi2EEENS1_24BinaryOpListAlphaFunctorIfLi2ELi2ELi0EEEJNS0_7minimumIfEEfEEEvT_T0_DpT1_.kd
    .uniform_work_group_size: 1
    .uses_dynamic_stack: false
    .vgpr_count:     33
    .vgpr_spill_count: 0
    .wavefront_size: 32
    .workgroup_processor_mode: 1
  - .args:
      - .offset:         0
        .size:           3144
        .value_kind:     by_value
      - .offset:         3144
        .size:           1
        .value_kind:     by_value
      - .offset:         3145
        .size:           1
        .value_kind:     by_value
      - .offset:         3148
        .size:           4
        .value_kind:     by_value
      - .offset:         3152
        .size:           4
        .value_kind:     hidden_block_count_x
      - .offset:         3156
        .size:           4
        .value_kind:     hidden_block_count_y
      - .offset:         3160
        .size:           4
        .value_kind:     hidden_block_count_z
      - .offset:         3164
        .size:           2
        .value_kind:     hidden_group_size_x
      - .offset:         3166
        .size:           2
        .value_kind:     hidden_group_size_y
      - .offset:         3168
        .size:           2
        .value_kind:     hidden_group_size_z
      - .offset:         3170
        .size:           2
        .value_kind:     hidden_remainder_x
      - .offset:         3172
        .size:           2
        .value_kind:     hidden_remainder_y
      - .offset:         3174
        .size:           2
        .value_kind:     hidden_remainder_z
      - .offset:         3192
        .size:           8
        .value_kind:     hidden_global_offset_x
      - .offset:         3200
        .size:           8
        .value_kind:     hidden_global_offset_y
      - .offset:         3208
        .size:           8
        .value_kind:     hidden_global_offset_z
      - .offset:         3216
        .size:           2
        .value_kind:     hidden_grid_dims
    .group_segment_fixed_size: 0
    .kernarg_segment_align: 8
    .kernarg_segment_size: 3408
    .language:       OpenCL C
    .language_version:
      - 2
      - 0
    .max_flat_workgroup_size: 512
    .name:           _ZN2at6native12_GLOBAL__N_125multi_tensor_apply_kernelINS1_18TensorListMetadataILi2EEENS1_24BinaryOpListAlphaFunctorIN3c108BFloat16ELi2ELi2ELi0EEEJNS0_7minimumIfEEfEEEvT_T0_DpT1_
    .private_segment_fixed_size: 0
    .sgpr_count:     26
    .sgpr_spill_count: 0
    .symbol:         _ZN2at6native12_GLOBAL__N_125multi_tensor_apply_kernelINS1_18TensorListMetadataILi2EEENS1_24BinaryOpListAlphaFunctorIN3c108BFloat16ELi2ELi2ELi0EEEJNS0_7minimumIfEEfEEEvT_T0_DpT1_.kd
    .uniform_work_group_size: 1
    .uses_dynamic_stack: false
    .vgpr_count:     32
    .vgpr_spill_count: 0
    .wavefront_size: 32
    .workgroup_processor_mode: 1
  - .args:
      - .offset:         0
        .size:           3144
        .value_kind:     by_value
      - .offset:         3144
        .size:           1
        .value_kind:     by_value
      - .offset:         3145
        .size:           1
        .value_kind:     by_value
      - .offset:         3148
        .size:           4
        .value_kind:     by_value
      - .offset:         3152
        .size:           4
        .value_kind:     hidden_block_count_x
      - .offset:         3156
        .size:           4
        .value_kind:     hidden_block_count_y
      - .offset:         3160
        .size:           4
        .value_kind:     hidden_block_count_z
      - .offset:         3164
        .size:           2
        .value_kind:     hidden_group_size_x
      - .offset:         3166
        .size:           2
        .value_kind:     hidden_group_size_y
      - .offset:         3168
        .size:           2
        .value_kind:     hidden_group_size_z
      - .offset:         3170
        .size:           2
        .value_kind:     hidden_remainder_x
      - .offset:         3172
        .size:           2
        .value_kind:     hidden_remainder_y
      - .offset:         3174
        .size:           2
        .value_kind:     hidden_remainder_z
      - .offset:         3192
        .size:           8
        .value_kind:     hidden_global_offset_x
      - .offset:         3200
        .size:           8
        .value_kind:     hidden_global_offset_y
      - .offset:         3208
        .size:           8
        .value_kind:     hidden_global_offset_z
      - .offset:         3216
        .size:           2
        .value_kind:     hidden_grid_dims
    .group_segment_fixed_size: 0
    .kernarg_segment_align: 8
    .kernarg_segment_size: 3408
    .language:       OpenCL C
    .language_version:
      - 2
      - 0
    .max_flat_workgroup_size: 512
    .name:           _ZN2at6native12_GLOBAL__N_125multi_tensor_apply_kernelINS1_18TensorListMetadataILi2EEENS1_24BinaryOpListAlphaFunctorIN3c104HalfELi2ELi2ELi0EEEJNS0_7minimumIfEEfEEEvT_T0_DpT1_
    .private_segment_fixed_size: 0
    .sgpr_count:     27
    .sgpr_spill_count: 0
    .symbol:         _ZN2at6native12_GLOBAL__N_125multi_tensor_apply_kernelINS1_18TensorListMetadataILi2EEENS1_24BinaryOpListAlphaFunctorIN3c104HalfELi2ELi2ELi0EEEJNS0_7minimumIfEEfEEEvT_T0_DpT1_.kd
    .uniform_work_group_size: 1
    .uses_dynamic_stack: false
    .vgpr_count:     34
    .vgpr_spill_count: 0
    .wavefront_size: 32
    .workgroup_processor_mode: 1
  - .args:
      - .offset:         0
        .size:           3144
        .value_kind:     by_value
      - .offset:         3144
        .size:           1
        .value_kind:     by_value
      - .offset:         3145
        .size:           1
        .value_kind:     by_value
      - .offset:         3146
        .size:           1
        .value_kind:     by_value
      - .offset:         3152
        .size:           4
        .value_kind:     hidden_block_count_x
      - .offset:         3156
        .size:           4
        .value_kind:     hidden_block_count_y
      - .offset:         3160
        .size:           4
        .value_kind:     hidden_block_count_z
      - .offset:         3164
        .size:           2
        .value_kind:     hidden_group_size_x
      - .offset:         3166
        .size:           2
        .value_kind:     hidden_group_size_y
      - .offset:         3168
        .size:           2
        .value_kind:     hidden_group_size_z
      - .offset:         3170
        .size:           2
        .value_kind:     hidden_remainder_x
      - .offset:         3172
        .size:           2
        .value_kind:     hidden_remainder_y
      - .offset:         3174
        .size:           2
        .value_kind:     hidden_remainder_z
      - .offset:         3192
        .size:           8
        .value_kind:     hidden_global_offset_x
      - .offset:         3200
        .size:           8
        .value_kind:     hidden_global_offset_y
      - .offset:         3208
        .size:           8
        .value_kind:     hidden_global_offset_z
      - .offset:         3216
        .size:           2
        .value_kind:     hidden_grid_dims
    .group_segment_fixed_size: 0
    .kernarg_segment_align: 8
    .kernarg_segment_size: 3408
    .language:       OpenCL C
    .language_version:
      - 2
      - 0
    .max_flat_workgroup_size: 512
    .name:           _ZN2at6native12_GLOBAL__N_125multi_tensor_apply_kernelINS1_18TensorListMetadataILi3EEENS1_24BinaryOpListAlphaFunctorIhLi3ELi2ELi2EEEJNS0_7minimumIhEEhEEEvT_T0_DpT1_
    .private_segment_fixed_size: 0
    .sgpr_count:     26
    .sgpr_spill_count: 0
    .symbol:         _ZN2at6native12_GLOBAL__N_125multi_tensor_apply_kernelINS1_18TensorListMetadataILi3EEENS1_24BinaryOpListAlphaFunctorIhLi3ELi2ELi2EEEJNS0_7minimumIhEEhEEEvT_T0_DpT1_.kd
    .uniform_work_group_size: 1
    .uses_dynamic_stack: false
    .vgpr_count:     39
    .vgpr_spill_count: 0
    .wavefront_size: 32
    .workgroup_processor_mode: 1
  - .args:
      - .offset:         0
        .size:           3144
        .value_kind:     by_value
      - .offset:         3144
        .size:           1
        .value_kind:     by_value
      - .offset:         3145
        .size:           1
        .value_kind:     by_value
      - .offset:         3146
        .size:           1
        .value_kind:     by_value
      - .offset:         3152
        .size:           4
        .value_kind:     hidden_block_count_x
      - .offset:         3156
        .size:           4
        .value_kind:     hidden_block_count_y
      - .offset:         3160
        .size:           4
        .value_kind:     hidden_block_count_z
      - .offset:         3164
        .size:           2
        .value_kind:     hidden_group_size_x
      - .offset:         3166
        .size:           2
        .value_kind:     hidden_group_size_y
      - .offset:         3168
        .size:           2
        .value_kind:     hidden_group_size_z
      - .offset:         3170
        .size:           2
        .value_kind:     hidden_remainder_x
      - .offset:         3172
        .size:           2
        .value_kind:     hidden_remainder_y
      - .offset:         3174
        .size:           2
        .value_kind:     hidden_remainder_z
      - .offset:         3192
        .size:           8
        .value_kind:     hidden_global_offset_x
      - .offset:         3200
        .size:           8
        .value_kind:     hidden_global_offset_y
      - .offset:         3208
        .size:           8
        .value_kind:     hidden_global_offset_z
      - .offset:         3216
        .size:           2
        .value_kind:     hidden_grid_dims
    .group_segment_fixed_size: 0
    .kernarg_segment_align: 8
    .kernarg_segment_size: 3408
    .language:       OpenCL C
    .language_version:
      - 2
      - 0
    .max_flat_workgroup_size: 512
    .name:           _ZN2at6native12_GLOBAL__N_125multi_tensor_apply_kernelINS1_18TensorListMetadataILi3EEENS1_24BinaryOpListAlphaFunctorIaLi3ELi2ELi2EEEJNS0_7minimumIaEEaEEEvT_T0_DpT1_
    .private_segment_fixed_size: 0
    .sgpr_count:     26
    .sgpr_spill_count: 0
    .symbol:         _ZN2at6native12_GLOBAL__N_125multi_tensor_apply_kernelINS1_18TensorListMetadataILi3EEENS1_24BinaryOpListAlphaFunctorIaLi3ELi2ELi2EEEJNS0_7minimumIaEEaEEEvT_T0_DpT1_.kd
    .uniform_work_group_size: 1
    .uses_dynamic_stack: false
    .vgpr_count:     39
    .vgpr_spill_count: 0
    .wavefront_size: 32
    .workgroup_processor_mode: 1
  - .args:
      - .offset:         0
        .size:           3144
        .value_kind:     by_value
      - .offset:         3144
        .size:           1
        .value_kind:     by_value
      - .offset:         3145
        .size:           1
        .value_kind:     by_value
      - .offset:         3148
        .size:           4
        .value_kind:     by_value
      - .offset:         3152
        .size:           4
        .value_kind:     hidden_block_count_x
      - .offset:         3156
        .size:           4
        .value_kind:     hidden_block_count_y
      - .offset:         3160
        .size:           4
        .value_kind:     hidden_block_count_z
      - .offset:         3164
        .size:           2
        .value_kind:     hidden_group_size_x
      - .offset:         3166
        .size:           2
        .value_kind:     hidden_group_size_y
      - .offset:         3168
        .size:           2
        .value_kind:     hidden_group_size_z
      - .offset:         3170
        .size:           2
        .value_kind:     hidden_remainder_x
      - .offset:         3172
        .size:           2
        .value_kind:     hidden_remainder_y
      - .offset:         3174
        .size:           2
        .value_kind:     hidden_remainder_z
      - .offset:         3192
        .size:           8
        .value_kind:     hidden_global_offset_x
      - .offset:         3200
        .size:           8
        .value_kind:     hidden_global_offset_y
      - .offset:         3208
        .size:           8
        .value_kind:     hidden_global_offset_z
      - .offset:         3216
        .size:           2
        .value_kind:     hidden_grid_dims
    .group_segment_fixed_size: 0
    .kernarg_segment_align: 8
    .kernarg_segment_size: 3408
    .language:       OpenCL C
    .language_version:
      - 2
      - 0
    .max_flat_workgroup_size: 512
    .name:           _ZN2at6native12_GLOBAL__N_125multi_tensor_apply_kernelINS1_18TensorListMetadataILi3EEENS1_24BinaryOpListAlphaFunctorIiLi3ELi2ELi2EEEJNS0_7minimumIiEEiEEEvT_T0_DpT1_
    .private_segment_fixed_size: 0
    .sgpr_count:     30
    .sgpr_spill_count: 0
    .symbol:         _ZN2at6native12_GLOBAL__N_125multi_tensor_apply_kernelINS1_18TensorListMetadataILi3EEENS1_24BinaryOpListAlphaFunctorIiLi3ELi2ELi2EEEJNS0_7minimumIiEEiEEEvT_T0_DpT1_.kd
    .uniform_work_group_size: 1
    .uses_dynamic_stack: false
    .vgpr_count:     41
    .vgpr_spill_count: 0
    .wavefront_size: 32
    .workgroup_processor_mode: 1
  - .args:
      - .offset:         0
        .size:           3144
        .value_kind:     by_value
      - .offset:         3144
        .size:           1
        .value_kind:     by_value
      - .offset:         3145
        .size:           1
        .value_kind:     by_value
      - .offset:         3152
        .size:           8
        .value_kind:     by_value
      - .offset:         3160
        .size:           4
        .value_kind:     hidden_block_count_x
      - .offset:         3164
        .size:           4
        .value_kind:     hidden_block_count_y
      - .offset:         3168
        .size:           4
        .value_kind:     hidden_block_count_z
      - .offset:         3172
        .size:           2
        .value_kind:     hidden_group_size_x
      - .offset:         3174
        .size:           2
        .value_kind:     hidden_group_size_y
      - .offset:         3176
        .size:           2
        .value_kind:     hidden_group_size_z
      - .offset:         3178
        .size:           2
        .value_kind:     hidden_remainder_x
      - .offset:         3180
        .size:           2
        .value_kind:     hidden_remainder_y
      - .offset:         3182
        .size:           2
        .value_kind:     hidden_remainder_z
      - .offset:         3200
        .size:           8
        .value_kind:     hidden_global_offset_x
      - .offset:         3208
        .size:           8
        .value_kind:     hidden_global_offset_y
      - .offset:         3216
        .size:           8
        .value_kind:     hidden_global_offset_z
      - .offset:         3224
        .size:           2
        .value_kind:     hidden_grid_dims
    .group_segment_fixed_size: 0
    .kernarg_segment_align: 8
    .kernarg_segment_size: 3416
    .language:       OpenCL C
    .language_version:
      - 2
      - 0
    .max_flat_workgroup_size: 512
    .name:           _ZN2at6native12_GLOBAL__N_125multi_tensor_apply_kernelINS1_18TensorListMetadataILi3EEENS1_24BinaryOpListAlphaFunctorIlLi3ELi2ELi2EEEJNS0_7minimumIlEElEEEvT_T0_DpT1_
    .private_segment_fixed_size: 0
    .sgpr_count:     30
    .sgpr_spill_count: 0
    .symbol:         _ZN2at6native12_GLOBAL__N_125multi_tensor_apply_kernelINS1_18TensorListMetadataILi3EEENS1_24BinaryOpListAlphaFunctorIlLi3ELi2ELi2EEEJNS0_7minimumIlEElEEEvT_T0_DpT1_.kd
    .uniform_work_group_size: 1
    .uses_dynamic_stack: false
    .vgpr_count:     50
    .vgpr_spill_count: 0
    .wavefront_size: 32
    .workgroup_processor_mode: 1
  - .args:
      - .offset:         0
        .size:           3144
        .value_kind:     by_value
      - .offset:         3144
        .size:           1
        .value_kind:     by_value
      - .offset:         3145
        .size:           1
        .value_kind:     by_value
      - .offset:         3146
        .size:           2
        .value_kind:     by_value
      - .offset:         3152
        .size:           4
        .value_kind:     hidden_block_count_x
      - .offset:         3156
        .size:           4
        .value_kind:     hidden_block_count_y
      - .offset:         3160
        .size:           4
        .value_kind:     hidden_block_count_z
      - .offset:         3164
        .size:           2
        .value_kind:     hidden_group_size_x
      - .offset:         3166
        .size:           2
        .value_kind:     hidden_group_size_y
      - .offset:         3168
        .size:           2
        .value_kind:     hidden_group_size_z
      - .offset:         3170
        .size:           2
        .value_kind:     hidden_remainder_x
      - .offset:         3172
        .size:           2
        .value_kind:     hidden_remainder_y
      - .offset:         3174
        .size:           2
        .value_kind:     hidden_remainder_z
      - .offset:         3192
        .size:           8
        .value_kind:     hidden_global_offset_x
      - .offset:         3200
        .size:           8
        .value_kind:     hidden_global_offset_y
      - .offset:         3208
        .size:           8
        .value_kind:     hidden_global_offset_z
      - .offset:         3216
        .size:           2
        .value_kind:     hidden_grid_dims
    .group_segment_fixed_size: 0
    .kernarg_segment_align: 8
    .kernarg_segment_size: 3408
    .language:       OpenCL C
    .language_version:
      - 2
      - 0
    .max_flat_workgroup_size: 512
    .name:           _ZN2at6native12_GLOBAL__N_125multi_tensor_apply_kernelINS1_18TensorListMetadataILi3EEENS1_24BinaryOpListAlphaFunctorIsLi3ELi2ELi2EEEJNS0_7minimumIsEEsEEEvT_T0_DpT1_
    .private_segment_fixed_size: 0
    .sgpr_count:     24
    .sgpr_spill_count: 0
    .symbol:         _ZN2at6native12_GLOBAL__N_125multi_tensor_apply_kernelINS1_18TensorListMetadataILi3EEENS1_24BinaryOpListAlphaFunctorIsLi3ELi2ELi2EEEJNS0_7minimumIsEEsEEEvT_T0_DpT1_.kd
    .uniform_work_group_size: 1
    .uses_dynamic_stack: false
    .vgpr_count:     39
    .vgpr_spill_count: 0
    .wavefront_size: 32
    .workgroup_processor_mode: 1
  - .args:
      - .offset:         0
        .size:           3144
        .value_kind:     by_value
      - .offset:         3144
        .size:           1
        .value_kind:     by_value
      - .offset:         3145
        .size:           1
        .value_kind:     by_value
      - .offset:         3152
        .size:           8
        .value_kind:     by_value
      - .offset:         3160
        .size:           4
        .value_kind:     hidden_block_count_x
      - .offset:         3164
        .size:           4
        .value_kind:     hidden_block_count_y
      - .offset:         3168
        .size:           4
        .value_kind:     hidden_block_count_z
      - .offset:         3172
        .size:           2
        .value_kind:     hidden_group_size_x
      - .offset:         3174
        .size:           2
        .value_kind:     hidden_group_size_y
      - .offset:         3176
        .size:           2
        .value_kind:     hidden_group_size_z
      - .offset:         3178
        .size:           2
        .value_kind:     hidden_remainder_x
      - .offset:         3180
        .size:           2
        .value_kind:     hidden_remainder_y
      - .offset:         3182
        .size:           2
        .value_kind:     hidden_remainder_z
      - .offset:         3200
        .size:           8
        .value_kind:     hidden_global_offset_x
      - .offset:         3208
        .size:           8
        .value_kind:     hidden_global_offset_y
      - .offset:         3216
        .size:           8
        .value_kind:     hidden_global_offset_z
      - .offset:         3224
        .size:           2
        .value_kind:     hidden_grid_dims
    .group_segment_fixed_size: 0
    .kernarg_segment_align: 8
    .kernarg_segment_size: 3416
    .language:       OpenCL C
    .language_version:
      - 2
      - 0
    .max_flat_workgroup_size: 512
    .name:           _ZN2at6native12_GLOBAL__N_125multi_tensor_apply_kernelINS1_18TensorListMetadataILi3EEENS1_24BinaryOpListAlphaFunctorIdLi3ELi2ELi2EEEJNS0_7minimumIdEEdEEEvT_T0_DpT1_
    .private_segment_fixed_size: 0
    .sgpr_count:     37
    .sgpr_spill_count: 0
    .symbol:         _ZN2at6native12_GLOBAL__N_125multi_tensor_apply_kernelINS1_18TensorListMetadataILi3EEENS1_24BinaryOpListAlphaFunctorIdLi3ELi2ELi2EEEJNS0_7minimumIdEEdEEEvT_T0_DpT1_.kd
    .uniform_work_group_size: 1
    .uses_dynamic_stack: false
    .vgpr_count:     47
    .vgpr_spill_count: 0
    .wavefront_size: 32
    .workgroup_processor_mode: 1
  - .args:
      - .offset:         0
        .size:           3144
        .value_kind:     by_value
      - .offset:         3144
        .size:           1
        .value_kind:     by_value
      - .offset:         3145
        .size:           1
        .value_kind:     by_value
      - .offset:         3148
        .size:           4
        .value_kind:     by_value
      - .offset:         3152
        .size:           4
        .value_kind:     hidden_block_count_x
      - .offset:         3156
        .size:           4
        .value_kind:     hidden_block_count_y
      - .offset:         3160
        .size:           4
        .value_kind:     hidden_block_count_z
      - .offset:         3164
        .size:           2
        .value_kind:     hidden_group_size_x
      - .offset:         3166
        .size:           2
        .value_kind:     hidden_group_size_y
      - .offset:         3168
        .size:           2
        .value_kind:     hidden_group_size_z
      - .offset:         3170
        .size:           2
        .value_kind:     hidden_remainder_x
      - .offset:         3172
        .size:           2
        .value_kind:     hidden_remainder_y
      - .offset:         3174
        .size:           2
        .value_kind:     hidden_remainder_z
      - .offset:         3192
        .size:           8
        .value_kind:     hidden_global_offset_x
      - .offset:         3200
        .size:           8
        .value_kind:     hidden_global_offset_y
      - .offset:         3208
        .size:           8
        .value_kind:     hidden_global_offset_z
      - .offset:         3216
        .size:           2
        .value_kind:     hidden_grid_dims
    .group_segment_fixed_size: 0
    .kernarg_segment_align: 8
    .kernarg_segment_size: 3408
    .language:       OpenCL C
    .language_version:
      - 2
      - 0
    .max_flat_workgroup_size: 512
    .name:           _ZN2at6native12_GLOBAL__N_125multi_tensor_apply_kernelINS1_18TensorListMetadataILi3EEENS1_24BinaryOpListAlphaFunctorIfLi3ELi2ELi2EEEJNS0_7minimumIfEEfEEEvT_T0_DpT1_
    .private_segment_fixed_size: 0
    .sgpr_count:     33
    .sgpr_spill_count: 0
    .symbol:         _ZN2at6native12_GLOBAL__N_125multi_tensor_apply_kernelINS1_18TensorListMetadataILi3EEENS1_24BinaryOpListAlphaFunctorIfLi3ELi2ELi2EEEJNS0_7minimumIfEEfEEEvT_T0_DpT1_.kd
    .uniform_work_group_size: 1
    .uses_dynamic_stack: false
    .vgpr_count:     41
    .vgpr_spill_count: 0
    .wavefront_size: 32
    .workgroup_processor_mode: 1
  - .args:
      - .offset:         0
        .size:           3144
        .value_kind:     by_value
      - .offset:         3144
        .size:           1
        .value_kind:     by_value
      - .offset:         3145
        .size:           1
        .value_kind:     by_value
      - .offset:         3148
        .size:           4
        .value_kind:     by_value
      - .offset:         3152
        .size:           4
        .value_kind:     hidden_block_count_x
      - .offset:         3156
        .size:           4
        .value_kind:     hidden_block_count_y
      - .offset:         3160
        .size:           4
        .value_kind:     hidden_block_count_z
      - .offset:         3164
        .size:           2
        .value_kind:     hidden_group_size_x
      - .offset:         3166
        .size:           2
        .value_kind:     hidden_group_size_y
      - .offset:         3168
        .size:           2
        .value_kind:     hidden_group_size_z
      - .offset:         3170
        .size:           2
        .value_kind:     hidden_remainder_x
      - .offset:         3172
        .size:           2
        .value_kind:     hidden_remainder_y
      - .offset:         3174
        .size:           2
        .value_kind:     hidden_remainder_z
      - .offset:         3192
        .size:           8
        .value_kind:     hidden_global_offset_x
      - .offset:         3200
        .size:           8
        .value_kind:     hidden_global_offset_y
      - .offset:         3208
        .size:           8
        .value_kind:     hidden_global_offset_z
      - .offset:         3216
        .size:           2
        .value_kind:     hidden_grid_dims
    .group_segment_fixed_size: 0
    .kernarg_segment_align: 8
    .kernarg_segment_size: 3408
    .language:       OpenCL C
    .language_version:
      - 2
      - 0
    .max_flat_workgroup_size: 512
    .name:           _ZN2at6native12_GLOBAL__N_125multi_tensor_apply_kernelINS1_18TensorListMetadataILi3EEENS1_24BinaryOpListAlphaFunctorIN3c108BFloat16ELi3ELi2ELi2EEEJNS0_7minimumIfEEfEEEvT_T0_DpT1_
    .private_segment_fixed_size: 0
    .sgpr_count:     28
    .sgpr_spill_count: 0
    .symbol:         _ZN2at6native12_GLOBAL__N_125multi_tensor_apply_kernelINS1_18TensorListMetadataILi3EEENS1_24BinaryOpListAlphaFunctorIN3c108BFloat16ELi3ELi2ELi2EEEJNS0_7minimumIfEEfEEEvT_T0_DpT1_.kd
    .uniform_work_group_size: 1
    .uses_dynamic_stack: false
    .vgpr_count:     40
    .vgpr_spill_count: 0
    .wavefront_size: 32
    .workgroup_processor_mode: 1
  - .args:
      - .offset:         0
        .size:           3144
        .value_kind:     by_value
      - .offset:         3144
        .size:           1
        .value_kind:     by_value
      - .offset:         3145
        .size:           1
        .value_kind:     by_value
      - .offset:         3148
        .size:           4
        .value_kind:     by_value
      - .offset:         3152
        .size:           4
        .value_kind:     hidden_block_count_x
      - .offset:         3156
        .size:           4
        .value_kind:     hidden_block_count_y
      - .offset:         3160
        .size:           4
        .value_kind:     hidden_block_count_z
      - .offset:         3164
        .size:           2
        .value_kind:     hidden_group_size_x
      - .offset:         3166
        .size:           2
        .value_kind:     hidden_group_size_y
      - .offset:         3168
        .size:           2
        .value_kind:     hidden_group_size_z
      - .offset:         3170
        .size:           2
        .value_kind:     hidden_remainder_x
      - .offset:         3172
        .size:           2
        .value_kind:     hidden_remainder_y
      - .offset:         3174
        .size:           2
        .value_kind:     hidden_remainder_z
      - .offset:         3192
        .size:           8
        .value_kind:     hidden_global_offset_x
      - .offset:         3200
        .size:           8
        .value_kind:     hidden_global_offset_y
      - .offset:         3208
        .size:           8
        .value_kind:     hidden_global_offset_z
      - .offset:         3216
        .size:           2
        .value_kind:     hidden_grid_dims
    .group_segment_fixed_size: 0
    .kernarg_segment_align: 8
    .kernarg_segment_size: 3408
    .language:       OpenCL C
    .language_version:
      - 2
      - 0
    .max_flat_workgroup_size: 512
    .name:           _ZN2at6native12_GLOBAL__N_125multi_tensor_apply_kernelINS1_18TensorListMetadataILi3EEENS1_24BinaryOpListAlphaFunctorIN3c104HalfELi3ELi2ELi2EEEJNS0_7minimumIfEEfEEEvT_T0_DpT1_
    .private_segment_fixed_size: 0
    .sgpr_count:     31
    .sgpr_spill_count: 0
    .symbol:         _ZN2at6native12_GLOBAL__N_125multi_tensor_apply_kernelINS1_18TensorListMetadataILi3EEENS1_24BinaryOpListAlphaFunctorIN3c104HalfELi3ELi2ELi2EEEJNS0_7minimumIfEEfEEEvT_T0_DpT1_.kd
    .uniform_work_group_size: 1
    .uses_dynamic_stack: false
    .vgpr_count:     42
    .vgpr_spill_count: 0
    .wavefront_size: 32
    .workgroup_processor_mode: 1
  - .args:
      - .offset:         0
        .size:           3144
        .value_kind:     by_value
      - .offset:         3144
        .size:           1
        .value_kind:     by_value
      - .offset:         3145
        .size:           1
        .value_kind:     by_value
      - .offset:         3146
        .size:           1
        .value_kind:     by_value
      - .offset:         3152
        .size:           4
        .value_kind:     hidden_block_count_x
      - .offset:         3156
        .size:           4
        .value_kind:     hidden_block_count_y
      - .offset:         3160
        .size:           4
        .value_kind:     hidden_block_count_z
      - .offset:         3164
        .size:           2
        .value_kind:     hidden_group_size_x
      - .offset:         3166
        .size:           2
        .value_kind:     hidden_group_size_y
      - .offset:         3168
        .size:           2
        .value_kind:     hidden_group_size_z
      - .offset:         3170
        .size:           2
        .value_kind:     hidden_remainder_x
      - .offset:         3172
        .size:           2
        .value_kind:     hidden_remainder_y
      - .offset:         3174
        .size:           2
        .value_kind:     hidden_remainder_z
      - .offset:         3192
        .size:           8
        .value_kind:     hidden_global_offset_x
      - .offset:         3200
        .size:           8
        .value_kind:     hidden_global_offset_y
      - .offset:         3208
        .size:           8
        .value_kind:     hidden_global_offset_z
      - .offset:         3216
        .size:           2
        .value_kind:     hidden_grid_dims
    .group_segment_fixed_size: 0
    .kernarg_segment_align: 8
    .kernarg_segment_size: 3408
    .language:       OpenCL C
    .language_version:
      - 2
      - 0
    .max_flat_workgroup_size: 512
    .name:           _ZN2at6native12_GLOBAL__N_125multi_tensor_apply_kernelINS1_18TensorListMetadataILi2EEENS1_24BinaryOpListAlphaFunctorIhLi2ELi2ELi0EEEJNS0_7maximumIhEEhEEEvT_T0_DpT1_
    .private_segment_fixed_size: 0
    .sgpr_count:     22
    .sgpr_spill_count: 0
    .symbol:         _ZN2at6native12_GLOBAL__N_125multi_tensor_apply_kernelINS1_18TensorListMetadataILi2EEENS1_24BinaryOpListAlphaFunctorIhLi2ELi2ELi0EEEJNS0_7maximumIhEEhEEEvT_T0_DpT1_.kd
    .uniform_work_group_size: 1
    .uses_dynamic_stack: false
    .vgpr_count:     31
    .vgpr_spill_count: 0
    .wavefront_size: 32
    .workgroup_processor_mode: 1
  - .args:
      - .offset:         0
        .size:           3144
        .value_kind:     by_value
      - .offset:         3144
        .size:           1
        .value_kind:     by_value
      - .offset:         3145
        .size:           1
        .value_kind:     by_value
      - .offset:         3146
        .size:           1
        .value_kind:     by_value
      - .offset:         3152
        .size:           4
        .value_kind:     hidden_block_count_x
      - .offset:         3156
        .size:           4
        .value_kind:     hidden_block_count_y
      - .offset:         3160
        .size:           4
        .value_kind:     hidden_block_count_z
      - .offset:         3164
        .size:           2
        .value_kind:     hidden_group_size_x
      - .offset:         3166
        .size:           2
        .value_kind:     hidden_group_size_y
      - .offset:         3168
        .size:           2
        .value_kind:     hidden_group_size_z
      - .offset:         3170
        .size:           2
        .value_kind:     hidden_remainder_x
      - .offset:         3172
        .size:           2
        .value_kind:     hidden_remainder_y
      - .offset:         3174
        .size:           2
        .value_kind:     hidden_remainder_z
      - .offset:         3192
        .size:           8
        .value_kind:     hidden_global_offset_x
      - .offset:         3200
        .size:           8
        .value_kind:     hidden_global_offset_y
      - .offset:         3208
        .size:           8
        .value_kind:     hidden_global_offset_z
      - .offset:         3216
        .size:           2
        .value_kind:     hidden_grid_dims
    .group_segment_fixed_size: 0
    .kernarg_segment_align: 8
    .kernarg_segment_size: 3408
    .language:       OpenCL C
    .language_version:
      - 2
      - 0
    .max_flat_workgroup_size: 512
    .name:           _ZN2at6native12_GLOBAL__N_125multi_tensor_apply_kernelINS1_18TensorListMetadataILi2EEENS1_24BinaryOpListAlphaFunctorIaLi2ELi2ELi0EEEJNS0_7maximumIaEEaEEEvT_T0_DpT1_
    .private_segment_fixed_size: 0
    .sgpr_count:     22
    .sgpr_spill_count: 0
    .symbol:         _ZN2at6native12_GLOBAL__N_125multi_tensor_apply_kernelINS1_18TensorListMetadataILi2EEENS1_24BinaryOpListAlphaFunctorIaLi2ELi2ELi0EEEJNS0_7maximumIaEEaEEEvT_T0_DpT1_.kd
    .uniform_work_group_size: 1
    .uses_dynamic_stack: false
    .vgpr_count:     31
    .vgpr_spill_count: 0
    .wavefront_size: 32
    .workgroup_processor_mode: 1
  - .args:
      - .offset:         0
        .size:           3144
        .value_kind:     by_value
      - .offset:         3144
        .size:           1
        .value_kind:     by_value
      - .offset:         3145
        .size:           1
        .value_kind:     by_value
      - .offset:         3148
        .size:           4
        .value_kind:     by_value
      - .offset:         3152
        .size:           4
        .value_kind:     hidden_block_count_x
      - .offset:         3156
        .size:           4
        .value_kind:     hidden_block_count_y
      - .offset:         3160
        .size:           4
        .value_kind:     hidden_block_count_z
      - .offset:         3164
        .size:           2
        .value_kind:     hidden_group_size_x
      - .offset:         3166
        .size:           2
        .value_kind:     hidden_group_size_y
      - .offset:         3168
        .size:           2
        .value_kind:     hidden_group_size_z
      - .offset:         3170
        .size:           2
        .value_kind:     hidden_remainder_x
      - .offset:         3172
        .size:           2
        .value_kind:     hidden_remainder_y
      - .offset:         3174
        .size:           2
        .value_kind:     hidden_remainder_z
      - .offset:         3192
        .size:           8
        .value_kind:     hidden_global_offset_x
      - .offset:         3200
        .size:           8
        .value_kind:     hidden_global_offset_y
      - .offset:         3208
        .size:           8
        .value_kind:     hidden_global_offset_z
      - .offset:         3216
        .size:           2
        .value_kind:     hidden_grid_dims
    .group_segment_fixed_size: 0
    .kernarg_segment_align: 8
    .kernarg_segment_size: 3408
    .language:       OpenCL C
    .language_version:
      - 2
      - 0
    .max_flat_workgroup_size: 512
    .name:           _ZN2at6native12_GLOBAL__N_125multi_tensor_apply_kernelINS1_18TensorListMetadataILi2EEENS1_24BinaryOpListAlphaFunctorIiLi2ELi2ELi0EEEJNS0_7maximumIiEEiEEEvT_T0_DpT1_
    .private_segment_fixed_size: 0
    .sgpr_count:     26
    .sgpr_spill_count: 0
    .symbol:         _ZN2at6native12_GLOBAL__N_125multi_tensor_apply_kernelINS1_18TensorListMetadataILi2EEENS1_24BinaryOpListAlphaFunctorIiLi2ELi2ELi0EEEJNS0_7maximumIiEEiEEEvT_T0_DpT1_.kd
    .uniform_work_group_size: 1
    .uses_dynamic_stack: false
    .vgpr_count:     33
    .vgpr_spill_count: 0
    .wavefront_size: 32
    .workgroup_processor_mode: 1
  - .args:
      - .offset:         0
        .size:           3144
        .value_kind:     by_value
      - .offset:         3144
        .size:           1
        .value_kind:     by_value
      - .offset:         3145
        .size:           1
        .value_kind:     by_value
      - .offset:         3152
        .size:           8
        .value_kind:     by_value
      - .offset:         3160
        .size:           4
        .value_kind:     hidden_block_count_x
      - .offset:         3164
        .size:           4
        .value_kind:     hidden_block_count_y
      - .offset:         3168
        .size:           4
        .value_kind:     hidden_block_count_z
      - .offset:         3172
        .size:           2
        .value_kind:     hidden_group_size_x
      - .offset:         3174
        .size:           2
        .value_kind:     hidden_group_size_y
      - .offset:         3176
        .size:           2
        .value_kind:     hidden_group_size_z
      - .offset:         3178
        .size:           2
        .value_kind:     hidden_remainder_x
      - .offset:         3180
        .size:           2
        .value_kind:     hidden_remainder_y
      - .offset:         3182
        .size:           2
        .value_kind:     hidden_remainder_z
      - .offset:         3200
        .size:           8
        .value_kind:     hidden_global_offset_x
      - .offset:         3208
        .size:           8
        .value_kind:     hidden_global_offset_y
      - .offset:         3216
        .size:           8
        .value_kind:     hidden_global_offset_z
      - .offset:         3224
        .size:           2
        .value_kind:     hidden_grid_dims
    .group_segment_fixed_size: 0
    .kernarg_segment_align: 8
    .kernarg_segment_size: 3416
    .language:       OpenCL C
    .language_version:
      - 2
      - 0
    .max_flat_workgroup_size: 512
    .name:           _ZN2at6native12_GLOBAL__N_125multi_tensor_apply_kernelINS1_18TensorListMetadataILi2EEENS1_24BinaryOpListAlphaFunctorIlLi2ELi2ELi0EEEJNS0_7maximumIlEElEEEvT_T0_DpT1_
    .private_segment_fixed_size: 0
    .sgpr_count:     28
    .sgpr_spill_count: 0
    .symbol:         _ZN2at6native12_GLOBAL__N_125multi_tensor_apply_kernelINS1_18TensorListMetadataILi2EEENS1_24BinaryOpListAlphaFunctorIlLi2ELi2ELi0EEEJNS0_7maximumIlEElEEEvT_T0_DpT1_.kd
    .uniform_work_group_size: 1
    .uses_dynamic_stack: false
    .vgpr_count:     42
    .vgpr_spill_count: 0
    .wavefront_size: 32
    .workgroup_processor_mode: 1
  - .args:
      - .offset:         0
        .size:           3144
        .value_kind:     by_value
      - .offset:         3144
        .size:           1
        .value_kind:     by_value
      - .offset:         3145
        .size:           1
        .value_kind:     by_value
      - .offset:         3146
        .size:           2
        .value_kind:     by_value
      - .offset:         3152
        .size:           4
        .value_kind:     hidden_block_count_x
      - .offset:         3156
        .size:           4
        .value_kind:     hidden_block_count_y
      - .offset:         3160
        .size:           4
        .value_kind:     hidden_block_count_z
      - .offset:         3164
        .size:           2
        .value_kind:     hidden_group_size_x
      - .offset:         3166
        .size:           2
        .value_kind:     hidden_group_size_y
      - .offset:         3168
        .size:           2
        .value_kind:     hidden_group_size_z
      - .offset:         3170
        .size:           2
        .value_kind:     hidden_remainder_x
      - .offset:         3172
        .size:           2
        .value_kind:     hidden_remainder_y
      - .offset:         3174
        .size:           2
        .value_kind:     hidden_remainder_z
      - .offset:         3192
        .size:           8
        .value_kind:     hidden_global_offset_x
      - .offset:         3200
        .size:           8
        .value_kind:     hidden_global_offset_y
      - .offset:         3208
        .size:           8
        .value_kind:     hidden_global_offset_z
      - .offset:         3216
        .size:           2
        .value_kind:     hidden_grid_dims
    .group_segment_fixed_size: 0
    .kernarg_segment_align: 8
    .kernarg_segment_size: 3408
    .language:       OpenCL C
    .language_version:
      - 2
      - 0
    .max_flat_workgroup_size: 512
    .name:           _ZN2at6native12_GLOBAL__N_125multi_tensor_apply_kernelINS1_18TensorListMetadataILi2EEENS1_24BinaryOpListAlphaFunctorIsLi2ELi2ELi0EEEJNS0_7maximumIsEEsEEEvT_T0_DpT1_
    .private_segment_fixed_size: 0
    .sgpr_count:     22
    .sgpr_spill_count: 0
    .symbol:         _ZN2at6native12_GLOBAL__N_125multi_tensor_apply_kernelINS1_18TensorListMetadataILi2EEENS1_24BinaryOpListAlphaFunctorIsLi2ELi2ELi0EEEJNS0_7maximumIsEEsEEEvT_T0_DpT1_.kd
    .uniform_work_group_size: 1
    .uses_dynamic_stack: false
    .vgpr_count:     31
    .vgpr_spill_count: 0
    .wavefront_size: 32
    .workgroup_processor_mode: 1
  - .args:
      - .offset:         0
        .size:           3144
        .value_kind:     by_value
      - .offset:         3144
        .size:           1
        .value_kind:     by_value
      - .offset:         3145
        .size:           1
        .value_kind:     by_value
      - .offset:         3152
        .size:           8
        .value_kind:     by_value
      - .offset:         3160
        .size:           4
        .value_kind:     hidden_block_count_x
      - .offset:         3164
        .size:           4
        .value_kind:     hidden_block_count_y
      - .offset:         3168
        .size:           4
        .value_kind:     hidden_block_count_z
      - .offset:         3172
        .size:           2
        .value_kind:     hidden_group_size_x
      - .offset:         3174
        .size:           2
        .value_kind:     hidden_group_size_y
      - .offset:         3176
        .size:           2
        .value_kind:     hidden_group_size_z
      - .offset:         3178
        .size:           2
        .value_kind:     hidden_remainder_x
      - .offset:         3180
        .size:           2
        .value_kind:     hidden_remainder_y
      - .offset:         3182
        .size:           2
        .value_kind:     hidden_remainder_z
      - .offset:         3200
        .size:           8
        .value_kind:     hidden_global_offset_x
      - .offset:         3208
        .size:           8
        .value_kind:     hidden_global_offset_y
      - .offset:         3216
        .size:           8
        .value_kind:     hidden_global_offset_z
      - .offset:         3224
        .size:           2
        .value_kind:     hidden_grid_dims
    .group_segment_fixed_size: 0
    .kernarg_segment_align: 8
    .kernarg_segment_size: 3416
    .language:       OpenCL C
    .language_version:
      - 2
      - 0
    .max_flat_workgroup_size: 512
    .name:           _ZN2at6native12_GLOBAL__N_125multi_tensor_apply_kernelINS1_18TensorListMetadataILi2EEENS1_24BinaryOpListAlphaFunctorIdLi2ELi2ELi0EEEJNS0_7maximumIdEEdEEEvT_T0_DpT1_
    .private_segment_fixed_size: 0
    .sgpr_count:     32
    .sgpr_spill_count: 0
    .symbol:         _ZN2at6native12_GLOBAL__N_125multi_tensor_apply_kernelINS1_18TensorListMetadataILi2EEENS1_24BinaryOpListAlphaFunctorIdLi2ELi2ELi0EEEJNS0_7maximumIdEEdEEEvT_T0_DpT1_.kd
    .uniform_work_group_size: 1
    .uses_dynamic_stack: false
    .vgpr_count:     39
    .vgpr_spill_count: 0
    .wavefront_size: 32
    .workgroup_processor_mode: 1
  - .args:
      - .offset:         0
        .size:           3144
        .value_kind:     by_value
      - .offset:         3144
        .size:           1
        .value_kind:     by_value
      - .offset:         3145
        .size:           1
        .value_kind:     by_value
      - .offset:         3148
        .size:           4
        .value_kind:     by_value
      - .offset:         3152
        .size:           4
        .value_kind:     hidden_block_count_x
      - .offset:         3156
        .size:           4
        .value_kind:     hidden_block_count_y
      - .offset:         3160
        .size:           4
        .value_kind:     hidden_block_count_z
      - .offset:         3164
        .size:           2
        .value_kind:     hidden_group_size_x
      - .offset:         3166
        .size:           2
        .value_kind:     hidden_group_size_y
      - .offset:         3168
        .size:           2
        .value_kind:     hidden_group_size_z
      - .offset:         3170
        .size:           2
        .value_kind:     hidden_remainder_x
      - .offset:         3172
        .size:           2
        .value_kind:     hidden_remainder_y
      - .offset:         3174
        .size:           2
        .value_kind:     hidden_remainder_z
      - .offset:         3192
        .size:           8
        .value_kind:     hidden_global_offset_x
      - .offset:         3200
        .size:           8
        .value_kind:     hidden_global_offset_y
      - .offset:         3208
        .size:           8
        .value_kind:     hidden_global_offset_z
      - .offset:         3216
        .size:           2
        .value_kind:     hidden_grid_dims
    .group_segment_fixed_size: 0
    .kernarg_segment_align: 8
    .kernarg_segment_size: 3408
    .language:       OpenCL C
    .language_version:
      - 2
      - 0
    .max_flat_workgroup_size: 512
    .name:           _ZN2at6native12_GLOBAL__N_125multi_tensor_apply_kernelINS1_18TensorListMetadataILi2EEENS1_24BinaryOpListAlphaFunctorIfLi2ELi2ELi0EEEJNS0_7maximumIfEEfEEEvT_T0_DpT1_
    .private_segment_fixed_size: 0
    .sgpr_count:     29
    .sgpr_spill_count: 0
    .symbol:         _ZN2at6native12_GLOBAL__N_125multi_tensor_apply_kernelINS1_18TensorListMetadataILi2EEENS1_24BinaryOpListAlphaFunctorIfLi2ELi2ELi0EEEJNS0_7maximumIfEEfEEEvT_T0_DpT1_.kd
    .uniform_work_group_size: 1
    .uses_dynamic_stack: false
    .vgpr_count:     33
    .vgpr_spill_count: 0
    .wavefront_size: 32
    .workgroup_processor_mode: 1
  - .args:
      - .offset:         0
        .size:           3144
        .value_kind:     by_value
      - .offset:         3144
        .size:           1
        .value_kind:     by_value
      - .offset:         3145
        .size:           1
        .value_kind:     by_value
      - .offset:         3148
        .size:           4
        .value_kind:     by_value
      - .offset:         3152
        .size:           4
        .value_kind:     hidden_block_count_x
      - .offset:         3156
        .size:           4
        .value_kind:     hidden_block_count_y
      - .offset:         3160
        .size:           4
        .value_kind:     hidden_block_count_z
      - .offset:         3164
        .size:           2
        .value_kind:     hidden_group_size_x
      - .offset:         3166
        .size:           2
        .value_kind:     hidden_group_size_y
      - .offset:         3168
        .size:           2
        .value_kind:     hidden_group_size_z
      - .offset:         3170
        .size:           2
        .value_kind:     hidden_remainder_x
      - .offset:         3172
        .size:           2
        .value_kind:     hidden_remainder_y
      - .offset:         3174
        .size:           2
        .value_kind:     hidden_remainder_z
      - .offset:         3192
        .size:           8
        .value_kind:     hidden_global_offset_x
      - .offset:         3200
        .size:           8
        .value_kind:     hidden_global_offset_y
      - .offset:         3208
        .size:           8
        .value_kind:     hidden_global_offset_z
      - .offset:         3216
        .size:           2
        .value_kind:     hidden_grid_dims
    .group_segment_fixed_size: 0
    .kernarg_segment_align: 8
    .kernarg_segment_size: 3408
    .language:       OpenCL C
    .language_version:
      - 2
      - 0
    .max_flat_workgroup_size: 512
    .name:           _ZN2at6native12_GLOBAL__N_125multi_tensor_apply_kernelINS1_18TensorListMetadataILi2EEENS1_24BinaryOpListAlphaFunctorIN3c108BFloat16ELi2ELi2ELi0EEEJNS0_7maximumIfEEfEEEvT_T0_DpT1_
    .private_segment_fixed_size: 0
    .sgpr_count:     26
    .sgpr_spill_count: 0
    .symbol:         _ZN2at6native12_GLOBAL__N_125multi_tensor_apply_kernelINS1_18TensorListMetadataILi2EEENS1_24BinaryOpListAlphaFunctorIN3c108BFloat16ELi2ELi2ELi0EEEJNS0_7maximumIfEEfEEEvT_T0_DpT1_.kd
    .uniform_work_group_size: 1
    .uses_dynamic_stack: false
    .vgpr_count:     32
    .vgpr_spill_count: 0
    .wavefront_size: 32
    .workgroup_processor_mode: 1
  - .args:
      - .offset:         0
        .size:           3144
        .value_kind:     by_value
      - .offset:         3144
        .size:           1
        .value_kind:     by_value
      - .offset:         3145
        .size:           1
        .value_kind:     by_value
      - .offset:         3148
        .size:           4
        .value_kind:     by_value
      - .offset:         3152
        .size:           4
        .value_kind:     hidden_block_count_x
      - .offset:         3156
        .size:           4
        .value_kind:     hidden_block_count_y
      - .offset:         3160
        .size:           4
        .value_kind:     hidden_block_count_z
      - .offset:         3164
        .size:           2
        .value_kind:     hidden_group_size_x
      - .offset:         3166
        .size:           2
        .value_kind:     hidden_group_size_y
      - .offset:         3168
        .size:           2
        .value_kind:     hidden_group_size_z
      - .offset:         3170
        .size:           2
        .value_kind:     hidden_remainder_x
      - .offset:         3172
        .size:           2
        .value_kind:     hidden_remainder_y
      - .offset:         3174
        .size:           2
        .value_kind:     hidden_remainder_z
      - .offset:         3192
        .size:           8
        .value_kind:     hidden_global_offset_x
      - .offset:         3200
        .size:           8
        .value_kind:     hidden_global_offset_y
      - .offset:         3208
        .size:           8
        .value_kind:     hidden_global_offset_z
      - .offset:         3216
        .size:           2
        .value_kind:     hidden_grid_dims
    .group_segment_fixed_size: 0
    .kernarg_segment_align: 8
    .kernarg_segment_size: 3408
    .language:       OpenCL C
    .language_version:
      - 2
      - 0
    .max_flat_workgroup_size: 512
    .name:           _ZN2at6native12_GLOBAL__N_125multi_tensor_apply_kernelINS1_18TensorListMetadataILi2EEENS1_24BinaryOpListAlphaFunctorIN3c104HalfELi2ELi2ELi0EEEJNS0_7maximumIfEEfEEEvT_T0_DpT1_
    .private_segment_fixed_size: 0
    .sgpr_count:     27
    .sgpr_spill_count: 0
    .symbol:         _ZN2at6native12_GLOBAL__N_125multi_tensor_apply_kernelINS1_18TensorListMetadataILi2EEENS1_24BinaryOpListAlphaFunctorIN3c104HalfELi2ELi2ELi0EEEJNS0_7maximumIfEEfEEEvT_T0_DpT1_.kd
    .uniform_work_group_size: 1
    .uses_dynamic_stack: false
    .vgpr_count:     34
    .vgpr_spill_count: 0
    .wavefront_size: 32
    .workgroup_processor_mode: 1
  - .args:
      - .offset:         0
        .size:           3144
        .value_kind:     by_value
      - .offset:         3144
        .size:           1
        .value_kind:     by_value
      - .offset:         3145
        .size:           1
        .value_kind:     by_value
      - .offset:         3146
        .size:           1
        .value_kind:     by_value
      - .offset:         3152
        .size:           4
        .value_kind:     hidden_block_count_x
      - .offset:         3156
        .size:           4
        .value_kind:     hidden_block_count_y
      - .offset:         3160
        .size:           4
        .value_kind:     hidden_block_count_z
      - .offset:         3164
        .size:           2
        .value_kind:     hidden_group_size_x
      - .offset:         3166
        .size:           2
        .value_kind:     hidden_group_size_y
      - .offset:         3168
        .size:           2
        .value_kind:     hidden_group_size_z
      - .offset:         3170
        .size:           2
        .value_kind:     hidden_remainder_x
      - .offset:         3172
        .size:           2
        .value_kind:     hidden_remainder_y
      - .offset:         3174
        .size:           2
        .value_kind:     hidden_remainder_z
      - .offset:         3192
        .size:           8
        .value_kind:     hidden_global_offset_x
      - .offset:         3200
        .size:           8
        .value_kind:     hidden_global_offset_y
      - .offset:         3208
        .size:           8
        .value_kind:     hidden_global_offset_z
      - .offset:         3216
        .size:           2
        .value_kind:     hidden_grid_dims
    .group_segment_fixed_size: 0
    .kernarg_segment_align: 8
    .kernarg_segment_size: 3408
    .language:       OpenCL C
    .language_version:
      - 2
      - 0
    .max_flat_workgroup_size: 512
    .name:           _ZN2at6native12_GLOBAL__N_125multi_tensor_apply_kernelINS1_18TensorListMetadataILi3EEENS1_24BinaryOpListAlphaFunctorIhLi3ELi2ELi2EEEJNS0_7maximumIhEEhEEEvT_T0_DpT1_
    .private_segment_fixed_size: 0
    .sgpr_count:     26
    .sgpr_spill_count: 0
    .symbol:         _ZN2at6native12_GLOBAL__N_125multi_tensor_apply_kernelINS1_18TensorListMetadataILi3EEENS1_24BinaryOpListAlphaFunctorIhLi3ELi2ELi2EEEJNS0_7maximumIhEEhEEEvT_T0_DpT1_.kd
    .uniform_work_group_size: 1
    .uses_dynamic_stack: false
    .vgpr_count:     39
    .vgpr_spill_count: 0
    .wavefront_size: 32
    .workgroup_processor_mode: 1
  - .args:
      - .offset:         0
        .size:           3144
        .value_kind:     by_value
      - .offset:         3144
        .size:           1
        .value_kind:     by_value
      - .offset:         3145
        .size:           1
        .value_kind:     by_value
      - .offset:         3146
        .size:           1
        .value_kind:     by_value
      - .offset:         3152
        .size:           4
        .value_kind:     hidden_block_count_x
      - .offset:         3156
        .size:           4
        .value_kind:     hidden_block_count_y
      - .offset:         3160
        .size:           4
        .value_kind:     hidden_block_count_z
      - .offset:         3164
        .size:           2
        .value_kind:     hidden_group_size_x
      - .offset:         3166
        .size:           2
        .value_kind:     hidden_group_size_y
      - .offset:         3168
        .size:           2
        .value_kind:     hidden_group_size_z
      - .offset:         3170
        .size:           2
        .value_kind:     hidden_remainder_x
      - .offset:         3172
        .size:           2
        .value_kind:     hidden_remainder_y
      - .offset:         3174
        .size:           2
        .value_kind:     hidden_remainder_z
      - .offset:         3192
        .size:           8
        .value_kind:     hidden_global_offset_x
      - .offset:         3200
        .size:           8
        .value_kind:     hidden_global_offset_y
      - .offset:         3208
        .size:           8
        .value_kind:     hidden_global_offset_z
      - .offset:         3216
        .size:           2
        .value_kind:     hidden_grid_dims
    .group_segment_fixed_size: 0
    .kernarg_segment_align: 8
    .kernarg_segment_size: 3408
    .language:       OpenCL C
    .language_version:
      - 2
      - 0
    .max_flat_workgroup_size: 512
    .name:           _ZN2at6native12_GLOBAL__N_125multi_tensor_apply_kernelINS1_18TensorListMetadataILi3EEENS1_24BinaryOpListAlphaFunctorIaLi3ELi2ELi2EEEJNS0_7maximumIaEEaEEEvT_T0_DpT1_
    .private_segment_fixed_size: 0
    .sgpr_count:     26
    .sgpr_spill_count: 0
    .symbol:         _ZN2at6native12_GLOBAL__N_125multi_tensor_apply_kernelINS1_18TensorListMetadataILi3EEENS1_24BinaryOpListAlphaFunctorIaLi3ELi2ELi2EEEJNS0_7maximumIaEEaEEEvT_T0_DpT1_.kd
    .uniform_work_group_size: 1
    .uses_dynamic_stack: false
    .vgpr_count:     39
    .vgpr_spill_count: 0
    .wavefront_size: 32
    .workgroup_processor_mode: 1
  - .args:
      - .offset:         0
        .size:           3144
        .value_kind:     by_value
      - .offset:         3144
        .size:           1
        .value_kind:     by_value
      - .offset:         3145
        .size:           1
        .value_kind:     by_value
      - .offset:         3148
        .size:           4
        .value_kind:     by_value
      - .offset:         3152
        .size:           4
        .value_kind:     hidden_block_count_x
      - .offset:         3156
        .size:           4
        .value_kind:     hidden_block_count_y
      - .offset:         3160
        .size:           4
        .value_kind:     hidden_block_count_z
      - .offset:         3164
        .size:           2
        .value_kind:     hidden_group_size_x
      - .offset:         3166
        .size:           2
        .value_kind:     hidden_group_size_y
      - .offset:         3168
        .size:           2
        .value_kind:     hidden_group_size_z
      - .offset:         3170
        .size:           2
        .value_kind:     hidden_remainder_x
      - .offset:         3172
        .size:           2
        .value_kind:     hidden_remainder_y
      - .offset:         3174
        .size:           2
        .value_kind:     hidden_remainder_z
      - .offset:         3192
        .size:           8
        .value_kind:     hidden_global_offset_x
      - .offset:         3200
        .size:           8
        .value_kind:     hidden_global_offset_y
      - .offset:         3208
        .size:           8
        .value_kind:     hidden_global_offset_z
      - .offset:         3216
        .size:           2
        .value_kind:     hidden_grid_dims
    .group_segment_fixed_size: 0
    .kernarg_segment_align: 8
    .kernarg_segment_size: 3408
    .language:       OpenCL C
    .language_version:
      - 2
      - 0
    .max_flat_workgroup_size: 512
    .name:           _ZN2at6native12_GLOBAL__N_125multi_tensor_apply_kernelINS1_18TensorListMetadataILi3EEENS1_24BinaryOpListAlphaFunctorIiLi3ELi2ELi2EEEJNS0_7maximumIiEEiEEEvT_T0_DpT1_
    .private_segment_fixed_size: 0
    .sgpr_count:     30
    .sgpr_spill_count: 0
    .symbol:         _ZN2at6native12_GLOBAL__N_125multi_tensor_apply_kernelINS1_18TensorListMetadataILi3EEENS1_24BinaryOpListAlphaFunctorIiLi3ELi2ELi2EEEJNS0_7maximumIiEEiEEEvT_T0_DpT1_.kd
    .uniform_work_group_size: 1
    .uses_dynamic_stack: false
    .vgpr_count:     41
    .vgpr_spill_count: 0
    .wavefront_size: 32
    .workgroup_processor_mode: 1
  - .args:
      - .offset:         0
        .size:           3144
        .value_kind:     by_value
      - .offset:         3144
        .size:           1
        .value_kind:     by_value
      - .offset:         3145
        .size:           1
        .value_kind:     by_value
      - .offset:         3152
        .size:           8
        .value_kind:     by_value
      - .offset:         3160
        .size:           4
        .value_kind:     hidden_block_count_x
      - .offset:         3164
        .size:           4
        .value_kind:     hidden_block_count_y
      - .offset:         3168
        .size:           4
        .value_kind:     hidden_block_count_z
      - .offset:         3172
        .size:           2
        .value_kind:     hidden_group_size_x
      - .offset:         3174
        .size:           2
        .value_kind:     hidden_group_size_y
      - .offset:         3176
        .size:           2
        .value_kind:     hidden_group_size_z
      - .offset:         3178
        .size:           2
        .value_kind:     hidden_remainder_x
      - .offset:         3180
        .size:           2
        .value_kind:     hidden_remainder_y
      - .offset:         3182
        .size:           2
        .value_kind:     hidden_remainder_z
      - .offset:         3200
        .size:           8
        .value_kind:     hidden_global_offset_x
      - .offset:         3208
        .size:           8
        .value_kind:     hidden_global_offset_y
      - .offset:         3216
        .size:           8
        .value_kind:     hidden_global_offset_z
      - .offset:         3224
        .size:           2
        .value_kind:     hidden_grid_dims
    .group_segment_fixed_size: 0
    .kernarg_segment_align: 8
    .kernarg_segment_size: 3416
    .language:       OpenCL C
    .language_version:
      - 2
      - 0
    .max_flat_workgroup_size: 512
    .name:           _ZN2at6native12_GLOBAL__N_125multi_tensor_apply_kernelINS1_18TensorListMetadataILi3EEENS1_24BinaryOpListAlphaFunctorIlLi3ELi2ELi2EEEJNS0_7maximumIlEElEEEvT_T0_DpT1_
    .private_segment_fixed_size: 0
    .sgpr_count:     30
    .sgpr_spill_count: 0
    .symbol:         _ZN2at6native12_GLOBAL__N_125multi_tensor_apply_kernelINS1_18TensorListMetadataILi3EEENS1_24BinaryOpListAlphaFunctorIlLi3ELi2ELi2EEEJNS0_7maximumIlEElEEEvT_T0_DpT1_.kd
    .uniform_work_group_size: 1
    .uses_dynamic_stack: false
    .vgpr_count:     50
    .vgpr_spill_count: 0
    .wavefront_size: 32
    .workgroup_processor_mode: 1
  - .args:
      - .offset:         0
        .size:           3144
        .value_kind:     by_value
      - .offset:         3144
        .size:           1
        .value_kind:     by_value
      - .offset:         3145
        .size:           1
        .value_kind:     by_value
      - .offset:         3146
        .size:           2
        .value_kind:     by_value
      - .offset:         3152
        .size:           4
        .value_kind:     hidden_block_count_x
      - .offset:         3156
        .size:           4
        .value_kind:     hidden_block_count_y
      - .offset:         3160
        .size:           4
        .value_kind:     hidden_block_count_z
      - .offset:         3164
        .size:           2
        .value_kind:     hidden_group_size_x
      - .offset:         3166
        .size:           2
        .value_kind:     hidden_group_size_y
      - .offset:         3168
        .size:           2
        .value_kind:     hidden_group_size_z
      - .offset:         3170
        .size:           2
        .value_kind:     hidden_remainder_x
      - .offset:         3172
        .size:           2
        .value_kind:     hidden_remainder_y
      - .offset:         3174
        .size:           2
        .value_kind:     hidden_remainder_z
      - .offset:         3192
        .size:           8
        .value_kind:     hidden_global_offset_x
      - .offset:         3200
        .size:           8
        .value_kind:     hidden_global_offset_y
      - .offset:         3208
        .size:           8
        .value_kind:     hidden_global_offset_z
      - .offset:         3216
        .size:           2
        .value_kind:     hidden_grid_dims
    .group_segment_fixed_size: 0
    .kernarg_segment_align: 8
    .kernarg_segment_size: 3408
    .language:       OpenCL C
    .language_version:
      - 2
      - 0
    .max_flat_workgroup_size: 512
    .name:           _ZN2at6native12_GLOBAL__N_125multi_tensor_apply_kernelINS1_18TensorListMetadataILi3EEENS1_24BinaryOpListAlphaFunctorIsLi3ELi2ELi2EEEJNS0_7maximumIsEEsEEEvT_T0_DpT1_
    .private_segment_fixed_size: 0
    .sgpr_count:     24
    .sgpr_spill_count: 0
    .symbol:         _ZN2at6native12_GLOBAL__N_125multi_tensor_apply_kernelINS1_18TensorListMetadataILi3EEENS1_24BinaryOpListAlphaFunctorIsLi3ELi2ELi2EEEJNS0_7maximumIsEEsEEEvT_T0_DpT1_.kd
    .uniform_work_group_size: 1
    .uses_dynamic_stack: false
    .vgpr_count:     39
    .vgpr_spill_count: 0
    .wavefront_size: 32
    .workgroup_processor_mode: 1
  - .args:
      - .offset:         0
        .size:           3144
        .value_kind:     by_value
      - .offset:         3144
        .size:           1
        .value_kind:     by_value
      - .offset:         3145
        .size:           1
        .value_kind:     by_value
      - .offset:         3152
        .size:           8
        .value_kind:     by_value
      - .offset:         3160
        .size:           4
        .value_kind:     hidden_block_count_x
      - .offset:         3164
        .size:           4
        .value_kind:     hidden_block_count_y
      - .offset:         3168
        .size:           4
        .value_kind:     hidden_block_count_z
      - .offset:         3172
        .size:           2
        .value_kind:     hidden_group_size_x
      - .offset:         3174
        .size:           2
        .value_kind:     hidden_group_size_y
      - .offset:         3176
        .size:           2
        .value_kind:     hidden_group_size_z
      - .offset:         3178
        .size:           2
        .value_kind:     hidden_remainder_x
      - .offset:         3180
        .size:           2
        .value_kind:     hidden_remainder_y
      - .offset:         3182
        .size:           2
        .value_kind:     hidden_remainder_z
      - .offset:         3200
        .size:           8
        .value_kind:     hidden_global_offset_x
      - .offset:         3208
        .size:           8
        .value_kind:     hidden_global_offset_y
      - .offset:         3216
        .size:           8
        .value_kind:     hidden_global_offset_z
      - .offset:         3224
        .size:           2
        .value_kind:     hidden_grid_dims
    .group_segment_fixed_size: 0
    .kernarg_segment_align: 8
    .kernarg_segment_size: 3416
    .language:       OpenCL C
    .language_version:
      - 2
      - 0
    .max_flat_workgroup_size: 512
    .name:           _ZN2at6native12_GLOBAL__N_125multi_tensor_apply_kernelINS1_18TensorListMetadataILi3EEENS1_24BinaryOpListAlphaFunctorIdLi3ELi2ELi2EEEJNS0_7maximumIdEEdEEEvT_T0_DpT1_
    .private_segment_fixed_size: 0
    .sgpr_count:     37
    .sgpr_spill_count: 0
    .symbol:         _ZN2at6native12_GLOBAL__N_125multi_tensor_apply_kernelINS1_18TensorListMetadataILi3EEENS1_24BinaryOpListAlphaFunctorIdLi3ELi2ELi2EEEJNS0_7maximumIdEEdEEEvT_T0_DpT1_.kd
    .uniform_work_group_size: 1
    .uses_dynamic_stack: false
    .vgpr_count:     47
    .vgpr_spill_count: 0
    .wavefront_size: 32
    .workgroup_processor_mode: 1
  - .args:
      - .offset:         0
        .size:           3144
        .value_kind:     by_value
      - .offset:         3144
        .size:           1
        .value_kind:     by_value
      - .offset:         3145
        .size:           1
        .value_kind:     by_value
      - .offset:         3148
        .size:           4
        .value_kind:     by_value
      - .offset:         3152
        .size:           4
        .value_kind:     hidden_block_count_x
      - .offset:         3156
        .size:           4
        .value_kind:     hidden_block_count_y
      - .offset:         3160
        .size:           4
        .value_kind:     hidden_block_count_z
      - .offset:         3164
        .size:           2
        .value_kind:     hidden_group_size_x
      - .offset:         3166
        .size:           2
        .value_kind:     hidden_group_size_y
      - .offset:         3168
        .size:           2
        .value_kind:     hidden_group_size_z
      - .offset:         3170
        .size:           2
        .value_kind:     hidden_remainder_x
      - .offset:         3172
        .size:           2
        .value_kind:     hidden_remainder_y
      - .offset:         3174
        .size:           2
        .value_kind:     hidden_remainder_z
      - .offset:         3192
        .size:           8
        .value_kind:     hidden_global_offset_x
      - .offset:         3200
        .size:           8
        .value_kind:     hidden_global_offset_y
      - .offset:         3208
        .size:           8
        .value_kind:     hidden_global_offset_z
      - .offset:         3216
        .size:           2
        .value_kind:     hidden_grid_dims
    .group_segment_fixed_size: 0
    .kernarg_segment_align: 8
    .kernarg_segment_size: 3408
    .language:       OpenCL C
    .language_version:
      - 2
      - 0
    .max_flat_workgroup_size: 512
    .name:           _ZN2at6native12_GLOBAL__N_125multi_tensor_apply_kernelINS1_18TensorListMetadataILi3EEENS1_24BinaryOpListAlphaFunctorIfLi3ELi2ELi2EEEJNS0_7maximumIfEEfEEEvT_T0_DpT1_
    .private_segment_fixed_size: 0
    .sgpr_count:     33
    .sgpr_spill_count: 0
    .symbol:         _ZN2at6native12_GLOBAL__N_125multi_tensor_apply_kernelINS1_18TensorListMetadataILi3EEENS1_24BinaryOpListAlphaFunctorIfLi3ELi2ELi2EEEJNS0_7maximumIfEEfEEEvT_T0_DpT1_.kd
    .uniform_work_group_size: 1
    .uses_dynamic_stack: false
    .vgpr_count:     41
    .vgpr_spill_count: 0
    .wavefront_size: 32
    .workgroup_processor_mode: 1
  - .args:
      - .offset:         0
        .size:           3144
        .value_kind:     by_value
      - .offset:         3144
        .size:           1
        .value_kind:     by_value
      - .offset:         3145
        .size:           1
        .value_kind:     by_value
      - .offset:         3148
        .size:           4
        .value_kind:     by_value
      - .offset:         3152
        .size:           4
        .value_kind:     hidden_block_count_x
      - .offset:         3156
        .size:           4
        .value_kind:     hidden_block_count_y
      - .offset:         3160
        .size:           4
        .value_kind:     hidden_block_count_z
      - .offset:         3164
        .size:           2
        .value_kind:     hidden_group_size_x
      - .offset:         3166
        .size:           2
        .value_kind:     hidden_group_size_y
      - .offset:         3168
        .size:           2
        .value_kind:     hidden_group_size_z
      - .offset:         3170
        .size:           2
        .value_kind:     hidden_remainder_x
      - .offset:         3172
        .size:           2
        .value_kind:     hidden_remainder_y
      - .offset:         3174
        .size:           2
        .value_kind:     hidden_remainder_z
      - .offset:         3192
        .size:           8
        .value_kind:     hidden_global_offset_x
      - .offset:         3200
        .size:           8
        .value_kind:     hidden_global_offset_y
      - .offset:         3208
        .size:           8
        .value_kind:     hidden_global_offset_z
      - .offset:         3216
        .size:           2
        .value_kind:     hidden_grid_dims
    .group_segment_fixed_size: 0
    .kernarg_segment_align: 8
    .kernarg_segment_size: 3408
    .language:       OpenCL C
    .language_version:
      - 2
      - 0
    .max_flat_workgroup_size: 512
    .name:           _ZN2at6native12_GLOBAL__N_125multi_tensor_apply_kernelINS1_18TensorListMetadataILi3EEENS1_24BinaryOpListAlphaFunctorIN3c108BFloat16ELi3ELi2ELi2EEEJNS0_7maximumIfEEfEEEvT_T0_DpT1_
    .private_segment_fixed_size: 0
    .sgpr_count:     28
    .sgpr_spill_count: 0
    .symbol:         _ZN2at6native12_GLOBAL__N_125multi_tensor_apply_kernelINS1_18TensorListMetadataILi3EEENS1_24BinaryOpListAlphaFunctorIN3c108BFloat16ELi3ELi2ELi2EEEJNS0_7maximumIfEEfEEEvT_T0_DpT1_.kd
    .uniform_work_group_size: 1
    .uses_dynamic_stack: false
    .vgpr_count:     40
    .vgpr_spill_count: 0
    .wavefront_size: 32
    .workgroup_processor_mode: 1
  - .args:
      - .offset:         0
        .size:           3144
        .value_kind:     by_value
      - .offset:         3144
        .size:           1
        .value_kind:     by_value
      - .offset:         3145
        .size:           1
        .value_kind:     by_value
      - .offset:         3148
        .size:           4
        .value_kind:     by_value
      - .offset:         3152
        .size:           4
        .value_kind:     hidden_block_count_x
      - .offset:         3156
        .size:           4
        .value_kind:     hidden_block_count_y
      - .offset:         3160
        .size:           4
        .value_kind:     hidden_block_count_z
      - .offset:         3164
        .size:           2
        .value_kind:     hidden_group_size_x
      - .offset:         3166
        .size:           2
        .value_kind:     hidden_group_size_y
      - .offset:         3168
        .size:           2
        .value_kind:     hidden_group_size_z
      - .offset:         3170
        .size:           2
        .value_kind:     hidden_remainder_x
      - .offset:         3172
        .size:           2
        .value_kind:     hidden_remainder_y
      - .offset:         3174
        .size:           2
        .value_kind:     hidden_remainder_z
      - .offset:         3192
        .size:           8
        .value_kind:     hidden_global_offset_x
      - .offset:         3200
        .size:           8
        .value_kind:     hidden_global_offset_y
      - .offset:         3208
        .size:           8
        .value_kind:     hidden_global_offset_z
      - .offset:         3216
        .size:           2
        .value_kind:     hidden_grid_dims
    .group_segment_fixed_size: 0
    .kernarg_segment_align: 8
    .kernarg_segment_size: 3408
    .language:       OpenCL C
    .language_version:
      - 2
      - 0
    .max_flat_workgroup_size: 512
    .name:           _ZN2at6native12_GLOBAL__N_125multi_tensor_apply_kernelINS1_18TensorListMetadataILi3EEENS1_24BinaryOpListAlphaFunctorIN3c104HalfELi3ELi2ELi2EEEJNS0_7maximumIfEEfEEEvT_T0_DpT1_
    .private_segment_fixed_size: 0
    .sgpr_count:     31
    .sgpr_spill_count: 0
    .symbol:         _ZN2at6native12_GLOBAL__N_125multi_tensor_apply_kernelINS1_18TensorListMetadataILi3EEENS1_24BinaryOpListAlphaFunctorIN3c104HalfELi3ELi2ELi2EEEJNS0_7maximumIfEEfEEEvT_T0_DpT1_.kd
    .uniform_work_group_size: 1
    .uses_dynamic_stack: false
    .vgpr_count:     42
    .vgpr_spill_count: 0
    .wavefront_size: 32
    .workgroup_processor_mode: 1
  - .args:
      - .offset:         0
        .size:           3144
        .value_kind:     by_value
      - .offset:         3144
        .size:           1
        .value_kind:     by_value
      - .offset:         3145
        .size:           1
        .value_kind:     by_value
      - .offset:         3146
        .size:           1
        .value_kind:     by_value
      - .offset:         3152
        .size:           4
        .value_kind:     hidden_block_count_x
      - .offset:         3156
        .size:           4
        .value_kind:     hidden_block_count_y
      - .offset:         3160
        .size:           4
        .value_kind:     hidden_block_count_z
      - .offset:         3164
        .size:           2
        .value_kind:     hidden_group_size_x
      - .offset:         3166
        .size:           2
        .value_kind:     hidden_group_size_y
      - .offset:         3168
        .size:           2
        .value_kind:     hidden_group_size_z
      - .offset:         3170
        .size:           2
        .value_kind:     hidden_remainder_x
      - .offset:         3172
        .size:           2
        .value_kind:     hidden_remainder_y
      - .offset:         3174
        .size:           2
        .value_kind:     hidden_remainder_z
      - .offset:         3192
        .size:           8
        .value_kind:     hidden_global_offset_x
      - .offset:         3200
        .size:           8
        .value_kind:     hidden_global_offset_y
      - .offset:         3208
        .size:           8
        .value_kind:     hidden_global_offset_z
      - .offset:         3216
        .size:           2
        .value_kind:     hidden_grid_dims
    .group_segment_fixed_size: 0
    .kernarg_segment_align: 8
    .kernarg_segment_size: 3408
    .language:       OpenCL C
    .language_version:
      - 2
      - 0
    .max_flat_workgroup_size: 512
    .name:           _ZN2at6native12_GLOBAL__N_125multi_tensor_apply_kernelINS1_18TensorListMetadataILi2EEENS1_24BinaryOpListAlphaFunctorIhLi2ELi2ELi0EEEJNS1_13power_functorIhEEhEEEvT_T0_DpT1_
    .private_segment_fixed_size: 0
    .sgpr_count:     23
    .sgpr_spill_count: 0
    .symbol:         _ZN2at6native12_GLOBAL__N_125multi_tensor_apply_kernelINS1_18TensorListMetadataILi2EEENS1_24BinaryOpListAlphaFunctorIhLi2ELi2ELi0EEEJNS1_13power_functorIhEEhEEEvT_T0_DpT1_.kd
    .uniform_work_group_size: 1
    .uses_dynamic_stack: false
    .vgpr_count:     17
    .vgpr_spill_count: 0
    .wavefront_size: 32
    .workgroup_processor_mode: 1
  - .args:
      - .offset:         0
        .size:           3144
        .value_kind:     by_value
      - .offset:         3144
        .size:           1
        .value_kind:     by_value
      - .offset:         3145
        .size:           1
        .value_kind:     by_value
      - .offset:         3146
        .size:           1
        .value_kind:     by_value
      - .offset:         3152
        .size:           4
        .value_kind:     hidden_block_count_x
      - .offset:         3156
        .size:           4
        .value_kind:     hidden_block_count_y
      - .offset:         3160
        .size:           4
        .value_kind:     hidden_block_count_z
      - .offset:         3164
        .size:           2
        .value_kind:     hidden_group_size_x
      - .offset:         3166
        .size:           2
        .value_kind:     hidden_group_size_y
      - .offset:         3168
        .size:           2
        .value_kind:     hidden_group_size_z
      - .offset:         3170
        .size:           2
        .value_kind:     hidden_remainder_x
      - .offset:         3172
        .size:           2
        .value_kind:     hidden_remainder_y
      - .offset:         3174
        .size:           2
        .value_kind:     hidden_remainder_z
      - .offset:         3192
        .size:           8
        .value_kind:     hidden_global_offset_x
      - .offset:         3200
        .size:           8
        .value_kind:     hidden_global_offset_y
      - .offset:         3208
        .size:           8
        .value_kind:     hidden_global_offset_z
      - .offset:         3216
        .size:           2
        .value_kind:     hidden_grid_dims
    .group_segment_fixed_size: 0
    .kernarg_segment_align: 8
    .kernarg_segment_size: 3408
    .language:       OpenCL C
    .language_version:
      - 2
      - 0
    .max_flat_workgroup_size: 512
    .name:           _ZN2at6native12_GLOBAL__N_125multi_tensor_apply_kernelINS1_18TensorListMetadataILi2EEENS1_24BinaryOpListAlphaFunctorIaLi2ELi2ELi0EEEJNS1_13power_functorIaEEaEEEvT_T0_DpT1_
    .private_segment_fixed_size: 0
    .sgpr_count:     24
    .sgpr_spill_count: 0
    .symbol:         _ZN2at6native12_GLOBAL__N_125multi_tensor_apply_kernelINS1_18TensorListMetadataILi2EEENS1_24BinaryOpListAlphaFunctorIaLi2ELi2ELi0EEEJNS1_13power_functorIaEEaEEEvT_T0_DpT1_.kd
    .uniform_work_group_size: 1
    .uses_dynamic_stack: false
    .vgpr_count:     18
    .vgpr_spill_count: 0
    .wavefront_size: 32
    .workgroup_processor_mode: 1
  - .args:
      - .offset:         0
        .size:           3144
        .value_kind:     by_value
      - .offset:         3144
        .size:           1
        .value_kind:     by_value
      - .offset:         3145
        .size:           1
        .value_kind:     by_value
      - .offset:         3148
        .size:           4
        .value_kind:     by_value
      - .offset:         3152
        .size:           4
        .value_kind:     hidden_block_count_x
      - .offset:         3156
        .size:           4
        .value_kind:     hidden_block_count_y
      - .offset:         3160
        .size:           4
        .value_kind:     hidden_block_count_z
      - .offset:         3164
        .size:           2
        .value_kind:     hidden_group_size_x
      - .offset:         3166
        .size:           2
        .value_kind:     hidden_group_size_y
      - .offset:         3168
        .size:           2
        .value_kind:     hidden_group_size_z
      - .offset:         3170
        .size:           2
        .value_kind:     hidden_remainder_x
      - .offset:         3172
        .size:           2
        .value_kind:     hidden_remainder_y
      - .offset:         3174
        .size:           2
        .value_kind:     hidden_remainder_z
      - .offset:         3192
        .size:           8
        .value_kind:     hidden_global_offset_x
      - .offset:         3200
        .size:           8
        .value_kind:     hidden_global_offset_y
      - .offset:         3208
        .size:           8
        .value_kind:     hidden_global_offset_z
      - .offset:         3216
        .size:           2
        .value_kind:     hidden_grid_dims
    .group_segment_fixed_size: 0
    .kernarg_segment_align: 8
    .kernarg_segment_size: 3408
    .language:       OpenCL C
    .language_version:
      - 2
      - 0
    .max_flat_workgroup_size: 512
    .name:           _ZN2at6native12_GLOBAL__N_125multi_tensor_apply_kernelINS1_18TensorListMetadataILi2EEENS1_24BinaryOpListAlphaFunctorIiLi2ELi2ELi0EEEJNS1_13power_functorIiEEiEEEvT_T0_DpT1_
    .private_segment_fixed_size: 0
    .sgpr_count:     25
    .sgpr_spill_count: 0
    .symbol:         _ZN2at6native12_GLOBAL__N_125multi_tensor_apply_kernelINS1_18TensorListMetadataILi2EEENS1_24BinaryOpListAlphaFunctorIiLi2ELi2ELi0EEEJNS1_13power_functorIiEEiEEEvT_T0_DpT1_.kd
    .uniform_work_group_size: 1
    .uses_dynamic_stack: false
    .vgpr_count:     21
    .vgpr_spill_count: 0
    .wavefront_size: 32
    .workgroup_processor_mode: 1
  - .args:
      - .offset:         0
        .size:           3144
        .value_kind:     by_value
      - .offset:         3144
        .size:           1
        .value_kind:     by_value
      - .offset:         3145
        .size:           1
        .value_kind:     by_value
      - .offset:         3152
        .size:           8
        .value_kind:     by_value
      - .offset:         3160
        .size:           4
        .value_kind:     hidden_block_count_x
      - .offset:         3164
        .size:           4
        .value_kind:     hidden_block_count_y
      - .offset:         3168
        .size:           4
        .value_kind:     hidden_block_count_z
      - .offset:         3172
        .size:           2
        .value_kind:     hidden_group_size_x
      - .offset:         3174
        .size:           2
        .value_kind:     hidden_group_size_y
      - .offset:         3176
        .size:           2
        .value_kind:     hidden_group_size_z
      - .offset:         3178
        .size:           2
        .value_kind:     hidden_remainder_x
      - .offset:         3180
        .size:           2
        .value_kind:     hidden_remainder_y
      - .offset:         3182
        .size:           2
        .value_kind:     hidden_remainder_z
      - .offset:         3200
        .size:           8
        .value_kind:     hidden_global_offset_x
      - .offset:         3208
        .size:           8
        .value_kind:     hidden_global_offset_y
      - .offset:         3216
        .size:           8
        .value_kind:     hidden_global_offset_z
      - .offset:         3224
        .size:           2
        .value_kind:     hidden_grid_dims
    .group_segment_fixed_size: 0
    .kernarg_segment_align: 8
    .kernarg_segment_size: 3416
    .language:       OpenCL C
    .language_version:
      - 2
      - 0
    .max_flat_workgroup_size: 512
    .name:           _ZN2at6native12_GLOBAL__N_125multi_tensor_apply_kernelINS1_18TensorListMetadataILi2EEENS1_24BinaryOpListAlphaFunctorIlLi2ELi2ELi0EEEJNS1_13power_functorIlEElEEEvT_T0_DpT1_
    .private_segment_fixed_size: 0
    .sgpr_count:     26
    .sgpr_spill_count: 0
    .symbol:         _ZN2at6native12_GLOBAL__N_125multi_tensor_apply_kernelINS1_18TensorListMetadataILi2EEENS1_24BinaryOpListAlphaFunctorIlLi2ELi2ELi0EEEJNS1_13power_functorIlEElEEEvT_T0_DpT1_.kd
    .uniform_work_group_size: 1
    .uses_dynamic_stack: false
    .vgpr_count:     34
    .vgpr_spill_count: 0
    .wavefront_size: 32
    .workgroup_processor_mode: 1
  - .args:
      - .offset:         0
        .size:           3144
        .value_kind:     by_value
      - .offset:         3144
        .size:           1
        .value_kind:     by_value
      - .offset:         3145
        .size:           1
        .value_kind:     by_value
      - .offset:         3146
        .size:           2
        .value_kind:     by_value
      - .offset:         3152
        .size:           4
        .value_kind:     hidden_block_count_x
      - .offset:         3156
        .size:           4
        .value_kind:     hidden_block_count_y
      - .offset:         3160
        .size:           4
        .value_kind:     hidden_block_count_z
      - .offset:         3164
        .size:           2
        .value_kind:     hidden_group_size_x
      - .offset:         3166
        .size:           2
        .value_kind:     hidden_group_size_y
      - .offset:         3168
        .size:           2
        .value_kind:     hidden_group_size_z
      - .offset:         3170
        .size:           2
        .value_kind:     hidden_remainder_x
      - .offset:         3172
        .size:           2
        .value_kind:     hidden_remainder_y
      - .offset:         3174
        .size:           2
        .value_kind:     hidden_remainder_z
      - .offset:         3192
        .size:           8
        .value_kind:     hidden_global_offset_x
      - .offset:         3200
        .size:           8
        .value_kind:     hidden_global_offset_y
      - .offset:         3208
        .size:           8
        .value_kind:     hidden_global_offset_z
      - .offset:         3216
        .size:           2
        .value_kind:     hidden_grid_dims
    .group_segment_fixed_size: 0
    .kernarg_segment_align: 8
    .kernarg_segment_size: 3408
    .language:       OpenCL C
    .language_version:
      - 2
      - 0
    .max_flat_workgroup_size: 512
    .name:           _ZN2at6native12_GLOBAL__N_125multi_tensor_apply_kernelINS1_18TensorListMetadataILi2EEENS1_24BinaryOpListAlphaFunctorIsLi2ELi2ELi0EEEJNS1_13power_functorIsEEsEEEvT_T0_DpT1_
    .private_segment_fixed_size: 0
    .sgpr_count:     26
    .sgpr_spill_count: 0
    .symbol:         _ZN2at6native12_GLOBAL__N_125multi_tensor_apply_kernelINS1_18TensorListMetadataILi2EEENS1_24BinaryOpListAlphaFunctorIsLi2ELi2ELi0EEEJNS1_13power_functorIsEEsEEEvT_T0_DpT1_.kd
    .uniform_work_group_size: 1
    .uses_dynamic_stack: false
    .vgpr_count:     19
    .vgpr_spill_count: 0
    .wavefront_size: 32
    .workgroup_processor_mode: 1
  - .args:
      - .offset:         0
        .size:           3144
        .value_kind:     by_value
      - .offset:         3144
        .size:           1
        .value_kind:     by_value
      - .offset:         3145
        .size:           1
        .value_kind:     by_value
      - .offset:         3152
        .size:           8
        .value_kind:     by_value
      - .offset:         3160
        .size:           4
        .value_kind:     hidden_block_count_x
      - .offset:         3164
        .size:           4
        .value_kind:     hidden_block_count_y
      - .offset:         3168
        .size:           4
        .value_kind:     hidden_block_count_z
      - .offset:         3172
        .size:           2
        .value_kind:     hidden_group_size_x
      - .offset:         3174
        .size:           2
        .value_kind:     hidden_group_size_y
      - .offset:         3176
        .size:           2
        .value_kind:     hidden_group_size_z
      - .offset:         3178
        .size:           2
        .value_kind:     hidden_remainder_x
      - .offset:         3180
        .size:           2
        .value_kind:     hidden_remainder_y
      - .offset:         3182
        .size:           2
        .value_kind:     hidden_remainder_z
      - .offset:         3200
        .size:           8
        .value_kind:     hidden_global_offset_x
      - .offset:         3208
        .size:           8
        .value_kind:     hidden_global_offset_y
      - .offset:         3216
        .size:           8
        .value_kind:     hidden_global_offset_z
      - .offset:         3224
        .size:           2
        .value_kind:     hidden_grid_dims
    .group_segment_fixed_size: 0
    .kernarg_segment_align: 8
    .kernarg_segment_size: 3416
    .language:       OpenCL C
    .language_version:
      - 2
      - 0
    .max_flat_workgroup_size: 512
    .name:           _ZN2at6native12_GLOBAL__N_125multi_tensor_apply_kernelINS1_18TensorListMetadataILi2EEENS1_24BinaryOpListAlphaFunctorIdLi2ELi2ELi0EEEJNS1_13power_functorIdEEdEEEvT_T0_DpT1_
    .private_segment_fixed_size: 0
    .sgpr_count:     81
    .sgpr_spill_count: 0
    .symbol:         _ZN2at6native12_GLOBAL__N_125multi_tensor_apply_kernelINS1_18TensorListMetadataILi2EEENS1_24BinaryOpListAlphaFunctorIdLi2ELi2ELi0EEEJNS1_13power_functorIdEEdEEEvT_T0_DpT1_.kd
    .uniform_work_group_size: 1
    .uses_dynamic_stack: false
    .vgpr_count:     66
    .vgpr_spill_count: 0
    .wavefront_size: 32
    .workgroup_processor_mode: 1
  - .args:
      - .offset:         0
        .size:           3144
        .value_kind:     by_value
      - .offset:         3144
        .size:           1
        .value_kind:     by_value
      - .offset:         3145
        .size:           1
        .value_kind:     by_value
      - .offset:         3148
        .size:           4
        .value_kind:     by_value
      - .offset:         3152
        .size:           4
        .value_kind:     hidden_block_count_x
      - .offset:         3156
        .size:           4
        .value_kind:     hidden_block_count_y
      - .offset:         3160
        .size:           4
        .value_kind:     hidden_block_count_z
      - .offset:         3164
        .size:           2
        .value_kind:     hidden_group_size_x
      - .offset:         3166
        .size:           2
        .value_kind:     hidden_group_size_y
      - .offset:         3168
        .size:           2
        .value_kind:     hidden_group_size_z
      - .offset:         3170
        .size:           2
        .value_kind:     hidden_remainder_x
      - .offset:         3172
        .size:           2
        .value_kind:     hidden_remainder_y
      - .offset:         3174
        .size:           2
        .value_kind:     hidden_remainder_z
      - .offset:         3192
        .size:           8
        .value_kind:     hidden_global_offset_x
      - .offset:         3200
        .size:           8
        .value_kind:     hidden_global_offset_y
      - .offset:         3208
        .size:           8
        .value_kind:     hidden_global_offset_z
      - .offset:         3216
        .size:           2
        .value_kind:     hidden_grid_dims
    .group_segment_fixed_size: 0
    .kernarg_segment_align: 8
    .kernarg_segment_size: 3408
    .language:       OpenCL C
    .language_version:
      - 2
      - 0
    .max_flat_workgroup_size: 512
    .name:           _ZN2at6native12_GLOBAL__N_125multi_tensor_apply_kernelINS1_18TensorListMetadataILi2EEENS1_24BinaryOpListAlphaFunctorIfLi2ELi2ELi0EEEJNS1_13power_functorIfEEfEEEvT_T0_DpT1_
    .private_segment_fixed_size: 0
    .sgpr_count:     51
    .sgpr_spill_count: 0
    .symbol:         _ZN2at6native12_GLOBAL__N_125multi_tensor_apply_kernelINS1_18TensorListMetadataILi2EEENS1_24BinaryOpListAlphaFunctorIfLi2ELi2ELi0EEEJNS1_13power_functorIfEEfEEEvT_T0_DpT1_.kd
    .uniform_work_group_size: 1
    .uses_dynamic_stack: false
    .vgpr_count:     74
    .vgpr_spill_count: 0
    .wavefront_size: 32
    .workgroup_processor_mode: 1
  - .args:
      - .offset:         0
        .size:           3144
        .value_kind:     by_value
      - .offset:         3144
        .size:           1
        .value_kind:     by_value
      - .offset:         3145
        .size:           1
        .value_kind:     by_value
      - .offset:         3152
        .size:           16
        .value_kind:     by_value
      - .offset:         3168
        .size:           4
        .value_kind:     hidden_block_count_x
      - .offset:         3172
        .size:           4
        .value_kind:     hidden_block_count_y
      - .offset:         3176
        .size:           4
        .value_kind:     hidden_block_count_z
      - .offset:         3180
        .size:           2
        .value_kind:     hidden_group_size_x
      - .offset:         3182
        .size:           2
        .value_kind:     hidden_group_size_y
      - .offset:         3184
        .size:           2
        .value_kind:     hidden_group_size_z
      - .offset:         3186
        .size:           2
        .value_kind:     hidden_remainder_x
      - .offset:         3188
        .size:           2
        .value_kind:     hidden_remainder_y
      - .offset:         3190
        .size:           2
        .value_kind:     hidden_remainder_z
      - .offset:         3208
        .size:           8
        .value_kind:     hidden_global_offset_x
      - .offset:         3216
        .size:           8
        .value_kind:     hidden_global_offset_y
      - .offset:         3224
        .size:           8
        .value_kind:     hidden_global_offset_z
      - .offset:         3232
        .size:           2
        .value_kind:     hidden_grid_dims
    .group_segment_fixed_size: 0
    .kernarg_segment_align: 16
    .kernarg_segment_size: 3424
    .language:       OpenCL C
    .language_version:
      - 2
      - 0
    .max_flat_workgroup_size: 512
    .name:           _ZN2at6native12_GLOBAL__N_125multi_tensor_apply_kernelINS1_18TensorListMetadataILi2EEENS1_24BinaryOpListAlphaFunctorIN3c107complexIdEELi2ELi2ELi0EEEJNS1_13power_functorIS8_EES8_EEEvT_T0_DpT1_
    .private_segment_fixed_size: 0
    .sgpr_count:     48
    .sgpr_spill_count: 0
    .symbol:         _ZN2at6native12_GLOBAL__N_125multi_tensor_apply_kernelINS1_18TensorListMetadataILi2EEENS1_24BinaryOpListAlphaFunctorIN3c107complexIdEELi2ELi2ELi0EEEJNS1_13power_functorIS8_EES8_EEEvT_T0_DpT1_.kd
    .uniform_work_group_size: 1
    .uses_dynamic_stack: false
    .vgpr_count:     94
    .vgpr_spill_count: 0
    .wavefront_size: 32
    .workgroup_processor_mode: 1
  - .args:
      - .offset:         0
        .size:           3144
        .value_kind:     by_value
      - .offset:         3144
        .size:           1
        .value_kind:     by_value
      - .offset:         3145
        .size:           1
        .value_kind:     by_value
      - .offset:         3152
        .size:           8
        .value_kind:     by_value
      - .offset:         3160
        .size:           4
        .value_kind:     hidden_block_count_x
      - .offset:         3164
        .size:           4
        .value_kind:     hidden_block_count_y
      - .offset:         3168
        .size:           4
        .value_kind:     hidden_block_count_z
      - .offset:         3172
        .size:           2
        .value_kind:     hidden_group_size_x
      - .offset:         3174
        .size:           2
        .value_kind:     hidden_group_size_y
      - .offset:         3176
        .size:           2
        .value_kind:     hidden_group_size_z
      - .offset:         3178
        .size:           2
        .value_kind:     hidden_remainder_x
      - .offset:         3180
        .size:           2
        .value_kind:     hidden_remainder_y
      - .offset:         3182
        .size:           2
        .value_kind:     hidden_remainder_z
      - .offset:         3200
        .size:           8
        .value_kind:     hidden_global_offset_x
      - .offset:         3208
        .size:           8
        .value_kind:     hidden_global_offset_y
      - .offset:         3216
        .size:           8
        .value_kind:     hidden_global_offset_z
      - .offset:         3224
        .size:           2
        .value_kind:     hidden_grid_dims
    .group_segment_fixed_size: 0
    .kernarg_segment_align: 8
    .kernarg_segment_size: 3416
    .language:       OpenCL C
    .language_version:
      - 2
      - 0
    .max_flat_workgroup_size: 512
    .name:           _ZN2at6native12_GLOBAL__N_125multi_tensor_apply_kernelINS1_18TensorListMetadataILi2EEENS1_24BinaryOpListAlphaFunctorIN3c107complexIfEELi2ELi2ELi0EEEJNS1_13power_functorIS8_EES8_EEEvT_T0_DpT1_
    .private_segment_fixed_size: 0
    .sgpr_count:     44
    .sgpr_spill_count: 0
    .symbol:         _ZN2at6native12_GLOBAL__N_125multi_tensor_apply_kernelINS1_18TensorListMetadataILi2EEENS1_24BinaryOpListAlphaFunctorIN3c107complexIfEELi2ELi2ELi0EEEJNS1_13power_functorIS8_EES8_EEEvT_T0_DpT1_.kd
    .uniform_work_group_size: 1
    .uses_dynamic_stack: false
    .vgpr_count:     53
    .vgpr_spill_count: 0
    .wavefront_size: 32
    .workgroup_processor_mode: 1
  - .args:
      - .offset:         0
        .size:           3144
        .value_kind:     by_value
      - .offset:         3144
        .size:           1
        .value_kind:     by_value
      - .offset:         3145
        .size:           1
        .value_kind:     by_value
      - .offset:         3148
        .size:           4
        .value_kind:     by_value
      - .offset:         3152
        .size:           4
        .value_kind:     hidden_block_count_x
      - .offset:         3156
        .size:           4
        .value_kind:     hidden_block_count_y
      - .offset:         3160
        .size:           4
        .value_kind:     hidden_block_count_z
      - .offset:         3164
        .size:           2
        .value_kind:     hidden_group_size_x
      - .offset:         3166
        .size:           2
        .value_kind:     hidden_group_size_y
      - .offset:         3168
        .size:           2
        .value_kind:     hidden_group_size_z
      - .offset:         3170
        .size:           2
        .value_kind:     hidden_remainder_x
      - .offset:         3172
        .size:           2
        .value_kind:     hidden_remainder_y
      - .offset:         3174
        .size:           2
        .value_kind:     hidden_remainder_z
      - .offset:         3192
        .size:           8
        .value_kind:     hidden_global_offset_x
      - .offset:         3200
        .size:           8
        .value_kind:     hidden_global_offset_y
      - .offset:         3208
        .size:           8
        .value_kind:     hidden_global_offset_z
      - .offset:         3216
        .size:           2
        .value_kind:     hidden_grid_dims
    .group_segment_fixed_size: 0
    .kernarg_segment_align: 8
    .kernarg_segment_size: 3408
    .language:       OpenCL C
    .language_version:
      - 2
      - 0
    .max_flat_workgroup_size: 512
    .name:           _ZN2at6native12_GLOBAL__N_125multi_tensor_apply_kernelINS1_18TensorListMetadataILi2EEENS1_24BinaryOpListAlphaFunctorIN3c108BFloat16ELi2ELi2ELi0EEEJNS1_13power_functorIfEEfEEEvT_T0_DpT1_
    .private_segment_fixed_size: 0
    .sgpr_count:     47
    .sgpr_spill_count: 0
    .symbol:         _ZN2at6native12_GLOBAL__N_125multi_tensor_apply_kernelINS1_18TensorListMetadataILi2EEENS1_24BinaryOpListAlphaFunctorIN3c108BFloat16ELi2ELi2ELi0EEEJNS1_13power_functorIfEEfEEEvT_T0_DpT1_.kd
    .uniform_work_group_size: 1
    .uses_dynamic_stack: false
    .vgpr_count:     75
    .vgpr_spill_count: 0
    .wavefront_size: 32
    .workgroup_processor_mode: 1
  - .args:
      - .offset:         0
        .size:           3144
        .value_kind:     by_value
      - .offset:         3144
        .size:           1
        .value_kind:     by_value
      - .offset:         3145
        .size:           1
        .value_kind:     by_value
      - .offset:         3148
        .size:           4
        .value_kind:     by_value
      - .offset:         3152
        .size:           4
        .value_kind:     hidden_block_count_x
      - .offset:         3156
        .size:           4
        .value_kind:     hidden_block_count_y
      - .offset:         3160
        .size:           4
        .value_kind:     hidden_block_count_z
      - .offset:         3164
        .size:           2
        .value_kind:     hidden_group_size_x
      - .offset:         3166
        .size:           2
        .value_kind:     hidden_group_size_y
      - .offset:         3168
        .size:           2
        .value_kind:     hidden_group_size_z
      - .offset:         3170
        .size:           2
        .value_kind:     hidden_remainder_x
      - .offset:         3172
        .size:           2
        .value_kind:     hidden_remainder_y
      - .offset:         3174
        .size:           2
        .value_kind:     hidden_remainder_z
      - .offset:         3192
        .size:           8
        .value_kind:     hidden_global_offset_x
      - .offset:         3200
        .size:           8
        .value_kind:     hidden_global_offset_y
      - .offset:         3208
        .size:           8
        .value_kind:     hidden_global_offset_z
      - .offset:         3216
        .size:           2
        .value_kind:     hidden_grid_dims
    .group_segment_fixed_size: 0
    .kernarg_segment_align: 8
    .kernarg_segment_size: 3408
    .language:       OpenCL C
    .language_version:
      - 2
      - 0
    .max_flat_workgroup_size: 512
    .name:           _ZN2at6native12_GLOBAL__N_125multi_tensor_apply_kernelINS1_18TensorListMetadataILi2EEENS1_24BinaryOpListAlphaFunctorIN3c104HalfELi2ELi2ELi0EEEJNS1_13power_functorIfEEfEEEvT_T0_DpT1_
    .private_segment_fixed_size: 0
    .sgpr_count:     48
    .sgpr_spill_count: 0
    .symbol:         _ZN2at6native12_GLOBAL__N_125multi_tensor_apply_kernelINS1_18TensorListMetadataILi2EEENS1_24BinaryOpListAlphaFunctorIN3c104HalfELi2ELi2ELi0EEEJNS1_13power_functorIfEEfEEEvT_T0_DpT1_.kd
    .uniform_work_group_size: 1
    .uses_dynamic_stack: false
    .vgpr_count:     74
    .vgpr_spill_count: 0
    .wavefront_size: 32
    .workgroup_processor_mode: 1
  - .args:
      - .offset:         0
        .size:           3144
        .value_kind:     by_value
      - .offset:         3144
        .size:           1
        .value_kind:     by_value
      - .offset:         3145
        .size:           1
        .value_kind:     by_value
      - .offset:         3146
        .size:           1
        .value_kind:     by_value
      - .offset:         3152
        .size:           4
        .value_kind:     hidden_block_count_x
      - .offset:         3156
        .size:           4
        .value_kind:     hidden_block_count_y
      - .offset:         3160
        .size:           4
        .value_kind:     hidden_block_count_z
      - .offset:         3164
        .size:           2
        .value_kind:     hidden_group_size_x
      - .offset:         3166
        .size:           2
        .value_kind:     hidden_group_size_y
      - .offset:         3168
        .size:           2
        .value_kind:     hidden_group_size_z
      - .offset:         3170
        .size:           2
        .value_kind:     hidden_remainder_x
      - .offset:         3172
        .size:           2
        .value_kind:     hidden_remainder_y
      - .offset:         3174
        .size:           2
        .value_kind:     hidden_remainder_z
      - .offset:         3192
        .size:           8
        .value_kind:     hidden_global_offset_x
      - .offset:         3200
        .size:           8
        .value_kind:     hidden_global_offset_y
      - .offset:         3208
        .size:           8
        .value_kind:     hidden_global_offset_z
      - .offset:         3216
        .size:           2
        .value_kind:     hidden_grid_dims
    .group_segment_fixed_size: 0
    .kernarg_segment_align: 8
    .kernarg_segment_size: 3408
    .language:       OpenCL C
    .language_version:
      - 2
      - 0
    .max_flat_workgroup_size: 512
    .name:           _ZN2at6native12_GLOBAL__N_125multi_tensor_apply_kernelINS1_18TensorListMetadataILi3EEENS1_24BinaryOpListAlphaFunctorIhLi3ELi2ELi2EEEJNS1_13power_functorIhEEhEEEvT_T0_DpT1_
    .private_segment_fixed_size: 0
    .sgpr_count:     25
    .sgpr_spill_count: 0
    .symbol:         _ZN2at6native12_GLOBAL__N_125multi_tensor_apply_kernelINS1_18TensorListMetadataILi3EEENS1_24BinaryOpListAlphaFunctorIhLi3ELi2ELi2EEEJNS1_13power_functorIhEEhEEEvT_T0_DpT1_.kd
    .uniform_work_group_size: 1
    .uses_dynamic_stack: false
    .vgpr_count:     17
    .vgpr_spill_count: 0
    .wavefront_size: 32
    .workgroup_processor_mode: 1
  - .args:
      - .offset:         0
        .size:           3144
        .value_kind:     by_value
      - .offset:         3144
        .size:           1
        .value_kind:     by_value
      - .offset:         3145
        .size:           1
        .value_kind:     by_value
      - .offset:         3146
        .size:           1
        .value_kind:     by_value
      - .offset:         3152
        .size:           4
        .value_kind:     hidden_block_count_x
      - .offset:         3156
        .size:           4
        .value_kind:     hidden_block_count_y
      - .offset:         3160
        .size:           4
        .value_kind:     hidden_block_count_z
      - .offset:         3164
        .size:           2
        .value_kind:     hidden_group_size_x
      - .offset:         3166
        .size:           2
        .value_kind:     hidden_group_size_y
      - .offset:         3168
        .size:           2
        .value_kind:     hidden_group_size_z
      - .offset:         3170
        .size:           2
        .value_kind:     hidden_remainder_x
      - .offset:         3172
        .size:           2
        .value_kind:     hidden_remainder_y
      - .offset:         3174
        .size:           2
        .value_kind:     hidden_remainder_z
      - .offset:         3192
        .size:           8
        .value_kind:     hidden_global_offset_x
      - .offset:         3200
        .size:           8
        .value_kind:     hidden_global_offset_y
      - .offset:         3208
        .size:           8
        .value_kind:     hidden_global_offset_z
      - .offset:         3216
        .size:           2
        .value_kind:     hidden_grid_dims
    .group_segment_fixed_size: 0
    .kernarg_segment_align: 8
    .kernarg_segment_size: 3408
    .language:       OpenCL C
    .language_version:
      - 2
      - 0
    .max_flat_workgroup_size: 512
    .name:           _ZN2at6native12_GLOBAL__N_125multi_tensor_apply_kernelINS1_18TensorListMetadataILi3EEENS1_24BinaryOpListAlphaFunctorIaLi3ELi2ELi2EEEJNS1_13power_functorIaEEaEEEvT_T0_DpT1_
    .private_segment_fixed_size: 0
    .sgpr_count:     26
    .sgpr_spill_count: 0
    .symbol:         _ZN2at6native12_GLOBAL__N_125multi_tensor_apply_kernelINS1_18TensorListMetadataILi3EEENS1_24BinaryOpListAlphaFunctorIaLi3ELi2ELi2EEEJNS1_13power_functorIaEEaEEEvT_T0_DpT1_.kd
    .uniform_work_group_size: 1
    .uses_dynamic_stack: false
    .vgpr_count:     18
    .vgpr_spill_count: 0
    .wavefront_size: 32
    .workgroup_processor_mode: 1
  - .args:
      - .offset:         0
        .size:           3144
        .value_kind:     by_value
      - .offset:         3144
        .size:           1
        .value_kind:     by_value
      - .offset:         3145
        .size:           1
        .value_kind:     by_value
      - .offset:         3148
        .size:           4
        .value_kind:     by_value
      - .offset:         3152
        .size:           4
        .value_kind:     hidden_block_count_x
      - .offset:         3156
        .size:           4
        .value_kind:     hidden_block_count_y
      - .offset:         3160
        .size:           4
        .value_kind:     hidden_block_count_z
      - .offset:         3164
        .size:           2
        .value_kind:     hidden_group_size_x
      - .offset:         3166
        .size:           2
        .value_kind:     hidden_group_size_y
      - .offset:         3168
        .size:           2
        .value_kind:     hidden_group_size_z
      - .offset:         3170
        .size:           2
        .value_kind:     hidden_remainder_x
      - .offset:         3172
        .size:           2
        .value_kind:     hidden_remainder_y
      - .offset:         3174
        .size:           2
        .value_kind:     hidden_remainder_z
      - .offset:         3192
        .size:           8
        .value_kind:     hidden_global_offset_x
      - .offset:         3200
        .size:           8
        .value_kind:     hidden_global_offset_y
      - .offset:         3208
        .size:           8
        .value_kind:     hidden_global_offset_z
      - .offset:         3216
        .size:           2
        .value_kind:     hidden_grid_dims
    .group_segment_fixed_size: 0
    .kernarg_segment_align: 8
    .kernarg_segment_size: 3408
    .language:       OpenCL C
    .language_version:
      - 2
      - 0
    .max_flat_workgroup_size: 512
    .name:           _ZN2at6native12_GLOBAL__N_125multi_tensor_apply_kernelINS1_18TensorListMetadataILi3EEENS1_24BinaryOpListAlphaFunctorIiLi3ELi2ELi2EEEJNS1_13power_functorIiEEiEEEvT_T0_DpT1_
    .private_segment_fixed_size: 0
    .sgpr_count:     27
    .sgpr_spill_count: 0
    .symbol:         _ZN2at6native12_GLOBAL__N_125multi_tensor_apply_kernelINS1_18TensorListMetadataILi3EEENS1_24BinaryOpListAlphaFunctorIiLi3ELi2ELi2EEEJNS1_13power_functorIiEEiEEEvT_T0_DpT1_.kd
    .uniform_work_group_size: 1
    .uses_dynamic_stack: false
    .vgpr_count:     21
    .vgpr_spill_count: 0
    .wavefront_size: 32
    .workgroup_processor_mode: 1
  - .args:
      - .offset:         0
        .size:           3144
        .value_kind:     by_value
      - .offset:         3144
        .size:           1
        .value_kind:     by_value
      - .offset:         3145
        .size:           1
        .value_kind:     by_value
      - .offset:         3152
        .size:           8
        .value_kind:     by_value
      - .offset:         3160
        .size:           4
        .value_kind:     hidden_block_count_x
      - .offset:         3164
        .size:           4
        .value_kind:     hidden_block_count_y
      - .offset:         3168
        .size:           4
        .value_kind:     hidden_block_count_z
      - .offset:         3172
        .size:           2
        .value_kind:     hidden_group_size_x
      - .offset:         3174
        .size:           2
        .value_kind:     hidden_group_size_y
      - .offset:         3176
        .size:           2
        .value_kind:     hidden_group_size_z
      - .offset:         3178
        .size:           2
        .value_kind:     hidden_remainder_x
      - .offset:         3180
        .size:           2
        .value_kind:     hidden_remainder_y
      - .offset:         3182
        .size:           2
        .value_kind:     hidden_remainder_z
      - .offset:         3200
        .size:           8
        .value_kind:     hidden_global_offset_x
      - .offset:         3208
        .size:           8
        .value_kind:     hidden_global_offset_y
      - .offset:         3216
        .size:           8
        .value_kind:     hidden_global_offset_z
      - .offset:         3224
        .size:           2
        .value_kind:     hidden_grid_dims
    .group_segment_fixed_size: 0
    .kernarg_segment_align: 8
    .kernarg_segment_size: 3416
    .language:       OpenCL C
    .language_version:
      - 2
      - 0
    .max_flat_workgroup_size: 512
    .name:           _ZN2at6native12_GLOBAL__N_125multi_tensor_apply_kernelINS1_18TensorListMetadataILi3EEENS1_24BinaryOpListAlphaFunctorIlLi3ELi2ELi2EEEJNS1_13power_functorIlEElEEEvT_T0_DpT1_
    .private_segment_fixed_size: 0
    .sgpr_count:     28
    .sgpr_spill_count: 0
    .symbol:         _ZN2at6native12_GLOBAL__N_125multi_tensor_apply_kernelINS1_18TensorListMetadataILi3EEENS1_24BinaryOpListAlphaFunctorIlLi3ELi2ELi2EEEJNS1_13power_functorIlEElEEEvT_T0_DpT1_.kd
    .uniform_work_group_size: 1
    .uses_dynamic_stack: false
    .vgpr_count:     34
    .vgpr_spill_count: 0
    .wavefront_size: 32
    .workgroup_processor_mode: 1
  - .args:
      - .offset:         0
        .size:           3144
        .value_kind:     by_value
      - .offset:         3144
        .size:           1
        .value_kind:     by_value
      - .offset:         3145
        .size:           1
        .value_kind:     by_value
      - .offset:         3146
        .size:           2
        .value_kind:     by_value
      - .offset:         3152
        .size:           4
        .value_kind:     hidden_block_count_x
      - .offset:         3156
        .size:           4
        .value_kind:     hidden_block_count_y
      - .offset:         3160
        .size:           4
        .value_kind:     hidden_block_count_z
      - .offset:         3164
        .size:           2
        .value_kind:     hidden_group_size_x
      - .offset:         3166
        .size:           2
        .value_kind:     hidden_group_size_y
      - .offset:         3168
        .size:           2
        .value_kind:     hidden_group_size_z
      - .offset:         3170
        .size:           2
        .value_kind:     hidden_remainder_x
      - .offset:         3172
        .size:           2
        .value_kind:     hidden_remainder_y
      - .offset:         3174
        .size:           2
        .value_kind:     hidden_remainder_z
      - .offset:         3192
        .size:           8
        .value_kind:     hidden_global_offset_x
      - .offset:         3200
        .size:           8
        .value_kind:     hidden_global_offset_y
      - .offset:         3208
        .size:           8
        .value_kind:     hidden_global_offset_z
      - .offset:         3216
        .size:           2
        .value_kind:     hidden_grid_dims
    .group_segment_fixed_size: 0
    .kernarg_segment_align: 8
    .kernarg_segment_size: 3408
    .language:       OpenCL C
    .language_version:
      - 2
      - 0
    .max_flat_workgroup_size: 512
    .name:           _ZN2at6native12_GLOBAL__N_125multi_tensor_apply_kernelINS1_18TensorListMetadataILi3EEENS1_24BinaryOpListAlphaFunctorIsLi3ELi2ELi2EEEJNS1_13power_functorIsEEsEEEvT_T0_DpT1_
    .private_segment_fixed_size: 0
    .sgpr_count:     28
    .sgpr_spill_count: 0
    .symbol:         _ZN2at6native12_GLOBAL__N_125multi_tensor_apply_kernelINS1_18TensorListMetadataILi3EEENS1_24BinaryOpListAlphaFunctorIsLi3ELi2ELi2EEEJNS1_13power_functorIsEEsEEEvT_T0_DpT1_.kd
    .uniform_work_group_size: 1
    .uses_dynamic_stack: false
    .vgpr_count:     19
    .vgpr_spill_count: 0
    .wavefront_size: 32
    .workgroup_processor_mode: 1
  - .args:
      - .offset:         0
        .size:           3144
        .value_kind:     by_value
      - .offset:         3144
        .size:           1
        .value_kind:     by_value
      - .offset:         3145
        .size:           1
        .value_kind:     by_value
      - .offset:         3152
        .size:           8
        .value_kind:     by_value
      - .offset:         3160
        .size:           4
        .value_kind:     hidden_block_count_x
      - .offset:         3164
        .size:           4
        .value_kind:     hidden_block_count_y
      - .offset:         3168
        .size:           4
        .value_kind:     hidden_block_count_z
      - .offset:         3172
        .size:           2
        .value_kind:     hidden_group_size_x
      - .offset:         3174
        .size:           2
        .value_kind:     hidden_group_size_y
      - .offset:         3176
        .size:           2
        .value_kind:     hidden_group_size_z
      - .offset:         3178
        .size:           2
        .value_kind:     hidden_remainder_x
      - .offset:         3180
        .size:           2
        .value_kind:     hidden_remainder_y
      - .offset:         3182
        .size:           2
        .value_kind:     hidden_remainder_z
      - .offset:         3200
        .size:           8
        .value_kind:     hidden_global_offset_x
      - .offset:         3208
        .size:           8
        .value_kind:     hidden_global_offset_y
      - .offset:         3216
        .size:           8
        .value_kind:     hidden_global_offset_z
      - .offset:         3224
        .size:           2
        .value_kind:     hidden_grid_dims
    .group_segment_fixed_size: 0
    .kernarg_segment_align: 8
    .kernarg_segment_size: 3416
    .language:       OpenCL C
    .language_version:
      - 2
      - 0
    .max_flat_workgroup_size: 512
    .name:           _ZN2at6native12_GLOBAL__N_125multi_tensor_apply_kernelINS1_18TensorListMetadataILi3EEENS1_24BinaryOpListAlphaFunctorIdLi3ELi2ELi2EEEJNS1_13power_functorIdEEdEEEvT_T0_DpT1_
    .private_segment_fixed_size: 0
    .sgpr_count:     102
    .sgpr_spill_count: 0
    .symbol:         _ZN2at6native12_GLOBAL__N_125multi_tensor_apply_kernelINS1_18TensorListMetadataILi3EEENS1_24BinaryOpListAlphaFunctorIdLi3ELi2ELi2EEEJNS1_13power_functorIdEEdEEEvT_T0_DpT1_.kd
    .uniform_work_group_size: 1
    .uses_dynamic_stack: false
    .vgpr_count:     80
    .vgpr_spill_count: 0
    .wavefront_size: 32
    .workgroup_processor_mode: 1
  - .args:
      - .offset:         0
        .size:           3144
        .value_kind:     by_value
      - .offset:         3144
        .size:           1
        .value_kind:     by_value
      - .offset:         3145
        .size:           1
        .value_kind:     by_value
      - .offset:         3148
        .size:           4
        .value_kind:     by_value
      - .offset:         3152
        .size:           4
        .value_kind:     hidden_block_count_x
      - .offset:         3156
        .size:           4
        .value_kind:     hidden_block_count_y
      - .offset:         3160
        .size:           4
        .value_kind:     hidden_block_count_z
      - .offset:         3164
        .size:           2
        .value_kind:     hidden_group_size_x
      - .offset:         3166
        .size:           2
        .value_kind:     hidden_group_size_y
      - .offset:         3168
        .size:           2
        .value_kind:     hidden_group_size_z
      - .offset:         3170
        .size:           2
        .value_kind:     hidden_remainder_x
      - .offset:         3172
        .size:           2
        .value_kind:     hidden_remainder_y
      - .offset:         3174
        .size:           2
        .value_kind:     hidden_remainder_z
      - .offset:         3192
        .size:           8
        .value_kind:     hidden_global_offset_x
      - .offset:         3200
        .size:           8
        .value_kind:     hidden_global_offset_y
      - .offset:         3208
        .size:           8
        .value_kind:     hidden_global_offset_z
      - .offset:         3216
        .size:           2
        .value_kind:     hidden_grid_dims
    .group_segment_fixed_size: 0
    .kernarg_segment_align: 8
    .kernarg_segment_size: 3408
    .language:       OpenCL C
    .language_version:
      - 2
      - 0
    .max_flat_workgroup_size: 512
    .name:           _ZN2at6native12_GLOBAL__N_125multi_tensor_apply_kernelINS1_18TensorListMetadataILi3EEENS1_24BinaryOpListAlphaFunctorIfLi3ELi2ELi2EEEJNS1_13power_functorIfEEfEEEvT_T0_DpT1_
    .private_segment_fixed_size: 0
    .sgpr_count:     55
    .sgpr_spill_count: 0
    .symbol:         _ZN2at6native12_GLOBAL__N_125multi_tensor_apply_kernelINS1_18TensorListMetadataILi3EEENS1_24BinaryOpListAlphaFunctorIfLi3ELi2ELi2EEEJNS1_13power_functorIfEEfEEEvT_T0_DpT1_.kd
    .uniform_work_group_size: 1
    .uses_dynamic_stack: false
    .vgpr_count:     74
    .vgpr_spill_count: 0
    .wavefront_size: 32
    .workgroup_processor_mode: 1
  - .args:
      - .offset:         0
        .size:           3144
        .value_kind:     by_value
      - .offset:         3144
        .size:           1
        .value_kind:     by_value
      - .offset:         3145
        .size:           1
        .value_kind:     by_value
      - .offset:         3152
        .size:           16
        .value_kind:     by_value
      - .offset:         3168
        .size:           4
        .value_kind:     hidden_block_count_x
      - .offset:         3172
        .size:           4
        .value_kind:     hidden_block_count_y
      - .offset:         3176
        .size:           4
        .value_kind:     hidden_block_count_z
      - .offset:         3180
        .size:           2
        .value_kind:     hidden_group_size_x
      - .offset:         3182
        .size:           2
        .value_kind:     hidden_group_size_y
      - .offset:         3184
        .size:           2
        .value_kind:     hidden_group_size_z
      - .offset:         3186
        .size:           2
        .value_kind:     hidden_remainder_x
      - .offset:         3188
        .size:           2
        .value_kind:     hidden_remainder_y
      - .offset:         3190
        .size:           2
        .value_kind:     hidden_remainder_z
      - .offset:         3208
        .size:           8
        .value_kind:     hidden_global_offset_x
      - .offset:         3216
        .size:           8
        .value_kind:     hidden_global_offset_y
      - .offset:         3224
        .size:           8
        .value_kind:     hidden_global_offset_z
      - .offset:         3232
        .size:           2
        .value_kind:     hidden_grid_dims
    .group_segment_fixed_size: 0
    .kernarg_segment_align: 16
    .kernarg_segment_size: 3424
    .language:       OpenCL C
    .language_version:
      - 2
      - 0
    .max_flat_workgroup_size: 512
    .name:           _ZN2at6native12_GLOBAL__N_125multi_tensor_apply_kernelINS1_18TensorListMetadataILi3EEENS1_24BinaryOpListAlphaFunctorIN3c107complexIdEELi3ELi2ELi2EEEJNS1_13power_functorIS8_EES8_EEEvT_T0_DpT1_
    .private_segment_fixed_size: 0
    .sgpr_count:     52
    .sgpr_spill_count: 0
    .symbol:         _ZN2at6native12_GLOBAL__N_125multi_tensor_apply_kernelINS1_18TensorListMetadataILi3EEENS1_24BinaryOpListAlphaFunctorIN3c107complexIdEELi3ELi2ELi2EEEJNS1_13power_functorIS8_EES8_EEEvT_T0_DpT1_.kd
    .uniform_work_group_size: 1
    .uses_dynamic_stack: false
    .vgpr_count:     102
    .vgpr_spill_count: 0
    .wavefront_size: 32
    .workgroup_processor_mode: 1
  - .args:
      - .offset:         0
        .size:           3144
        .value_kind:     by_value
      - .offset:         3144
        .size:           1
        .value_kind:     by_value
      - .offset:         3145
        .size:           1
        .value_kind:     by_value
      - .offset:         3152
        .size:           8
        .value_kind:     by_value
      - .offset:         3160
        .size:           4
        .value_kind:     hidden_block_count_x
      - .offset:         3164
        .size:           4
        .value_kind:     hidden_block_count_y
      - .offset:         3168
        .size:           4
        .value_kind:     hidden_block_count_z
      - .offset:         3172
        .size:           2
        .value_kind:     hidden_group_size_x
      - .offset:         3174
        .size:           2
        .value_kind:     hidden_group_size_y
      - .offset:         3176
        .size:           2
        .value_kind:     hidden_group_size_z
      - .offset:         3178
        .size:           2
        .value_kind:     hidden_remainder_x
      - .offset:         3180
        .size:           2
        .value_kind:     hidden_remainder_y
      - .offset:         3182
        .size:           2
        .value_kind:     hidden_remainder_z
      - .offset:         3200
        .size:           8
        .value_kind:     hidden_global_offset_x
      - .offset:         3208
        .size:           8
        .value_kind:     hidden_global_offset_y
      - .offset:         3216
        .size:           8
        .value_kind:     hidden_global_offset_z
      - .offset:         3224
        .size:           2
        .value_kind:     hidden_grid_dims
    .group_segment_fixed_size: 0
    .kernarg_segment_align: 8
    .kernarg_segment_size: 3416
    .language:       OpenCL C
    .language_version:
      - 2
      - 0
    .max_flat_workgroup_size: 512
    .name:           _ZN2at6native12_GLOBAL__N_125multi_tensor_apply_kernelINS1_18TensorListMetadataILi3EEENS1_24BinaryOpListAlphaFunctorIN3c107complexIfEELi3ELi2ELi2EEEJNS1_13power_functorIS8_EES8_EEEvT_T0_DpT1_
    .private_segment_fixed_size: 0
    .sgpr_count:     48
    .sgpr_spill_count: 0
    .symbol:         _ZN2at6native12_GLOBAL__N_125multi_tensor_apply_kernelINS1_18TensorListMetadataILi3EEENS1_24BinaryOpListAlphaFunctorIN3c107complexIfEELi3ELi2ELi2EEEJNS1_13power_functorIS8_EES8_EEEvT_T0_DpT1_.kd
    .uniform_work_group_size: 1
    .uses_dynamic_stack: false
    .vgpr_count:     61
    .vgpr_spill_count: 0
    .wavefront_size: 32
    .workgroup_processor_mode: 1
  - .args:
      - .offset:         0
        .size:           3144
        .value_kind:     by_value
      - .offset:         3144
        .size:           1
        .value_kind:     by_value
      - .offset:         3145
        .size:           1
        .value_kind:     by_value
      - .offset:         3148
        .size:           4
        .value_kind:     by_value
      - .offset:         3152
        .size:           4
        .value_kind:     hidden_block_count_x
      - .offset:         3156
        .size:           4
        .value_kind:     hidden_block_count_y
      - .offset:         3160
        .size:           4
        .value_kind:     hidden_block_count_z
      - .offset:         3164
        .size:           2
        .value_kind:     hidden_group_size_x
      - .offset:         3166
        .size:           2
        .value_kind:     hidden_group_size_y
      - .offset:         3168
        .size:           2
        .value_kind:     hidden_group_size_z
      - .offset:         3170
        .size:           2
        .value_kind:     hidden_remainder_x
      - .offset:         3172
        .size:           2
        .value_kind:     hidden_remainder_y
      - .offset:         3174
        .size:           2
        .value_kind:     hidden_remainder_z
      - .offset:         3192
        .size:           8
        .value_kind:     hidden_global_offset_x
      - .offset:         3200
        .size:           8
        .value_kind:     hidden_global_offset_y
      - .offset:         3208
        .size:           8
        .value_kind:     hidden_global_offset_z
      - .offset:         3216
        .size:           2
        .value_kind:     hidden_grid_dims
    .group_segment_fixed_size: 0
    .kernarg_segment_align: 8
    .kernarg_segment_size: 3408
    .language:       OpenCL C
    .language_version:
      - 2
      - 0
    .max_flat_workgroup_size: 512
    .name:           _ZN2at6native12_GLOBAL__N_125multi_tensor_apply_kernelINS1_18TensorListMetadataILi3EEENS1_24BinaryOpListAlphaFunctorIN3c108BFloat16ELi3ELi2ELi2EEEJNS1_13power_functorIfEEfEEEvT_T0_DpT1_
    .private_segment_fixed_size: 0
    .sgpr_count:     49
    .sgpr_spill_count: 0
    .symbol:         _ZN2at6native12_GLOBAL__N_125multi_tensor_apply_kernelINS1_18TensorListMetadataILi3EEENS1_24BinaryOpListAlphaFunctorIN3c108BFloat16ELi3ELi2ELi2EEEJNS1_13power_functorIfEEfEEEvT_T0_DpT1_.kd
    .uniform_work_group_size: 1
    .uses_dynamic_stack: false
    .vgpr_count:     75
    .vgpr_spill_count: 0
    .wavefront_size: 32
    .workgroup_processor_mode: 1
  - .args:
      - .offset:         0
        .size:           3144
        .value_kind:     by_value
      - .offset:         3144
        .size:           1
        .value_kind:     by_value
      - .offset:         3145
        .size:           1
        .value_kind:     by_value
      - .offset:         3148
        .size:           4
        .value_kind:     by_value
      - .offset:         3152
        .size:           4
        .value_kind:     hidden_block_count_x
      - .offset:         3156
        .size:           4
        .value_kind:     hidden_block_count_y
      - .offset:         3160
        .size:           4
        .value_kind:     hidden_block_count_z
      - .offset:         3164
        .size:           2
        .value_kind:     hidden_group_size_x
      - .offset:         3166
        .size:           2
        .value_kind:     hidden_group_size_y
      - .offset:         3168
        .size:           2
        .value_kind:     hidden_group_size_z
      - .offset:         3170
        .size:           2
        .value_kind:     hidden_remainder_x
      - .offset:         3172
        .size:           2
        .value_kind:     hidden_remainder_y
      - .offset:         3174
        .size:           2
        .value_kind:     hidden_remainder_z
      - .offset:         3192
        .size:           8
        .value_kind:     hidden_global_offset_x
      - .offset:         3200
        .size:           8
        .value_kind:     hidden_global_offset_y
      - .offset:         3208
        .size:           8
        .value_kind:     hidden_global_offset_z
      - .offset:         3216
        .size:           2
        .value_kind:     hidden_grid_dims
    .group_segment_fixed_size: 0
    .kernarg_segment_align: 8
    .kernarg_segment_size: 3408
    .language:       OpenCL C
    .language_version:
      - 2
      - 0
    .max_flat_workgroup_size: 512
    .name:           _ZN2at6native12_GLOBAL__N_125multi_tensor_apply_kernelINS1_18TensorListMetadataILi3EEENS1_24BinaryOpListAlphaFunctorIN3c104HalfELi3ELi2ELi2EEEJNS1_13power_functorIfEEfEEEvT_T0_DpT1_
    .private_segment_fixed_size: 0
    .sgpr_count:     52
    .sgpr_spill_count: 0
    .symbol:         _ZN2at6native12_GLOBAL__N_125multi_tensor_apply_kernelINS1_18TensorListMetadataILi3EEENS1_24BinaryOpListAlphaFunctorIN3c104HalfELi3ELi2ELi2EEEJNS1_13power_functorIfEEfEEEvT_T0_DpT1_.kd
    .uniform_work_group_size: 1
    .uses_dynamic_stack: false
    .vgpr_count:     74
    .vgpr_spill_count: 0
    .wavefront_size: 32
    .workgroup_processor_mode: 1
  - .args:
      - .offset:         0
        .size:           3144
        .value_kind:     by_value
      - .offset:         3144
        .size:           1
        .value_kind:     by_value
      - .offset:         3145
        .size:           1
        .value_kind:     by_value
      - .offset:         3152
        .size:           4
        .value_kind:     hidden_block_count_x
      - .offset:         3156
        .size:           4
        .value_kind:     hidden_block_count_y
      - .offset:         3160
        .size:           4
        .value_kind:     hidden_block_count_z
      - .offset:         3164
        .size:           2
        .value_kind:     hidden_group_size_x
      - .offset:         3166
        .size:           2
        .value_kind:     hidden_group_size_y
      - .offset:         3168
        .size:           2
        .value_kind:     hidden_group_size_z
      - .offset:         3170
        .size:           2
        .value_kind:     hidden_remainder_x
      - .offset:         3172
        .size:           2
        .value_kind:     hidden_remainder_y
      - .offset:         3174
        .size:           2
        .value_kind:     hidden_remainder_z
      - .offset:         3192
        .size:           8
        .value_kind:     hidden_global_offset_x
      - .offset:         3200
        .size:           8
        .value_kind:     hidden_global_offset_y
      - .offset:         3208
        .size:           8
        .value_kind:     hidden_global_offset_z
      - .offset:         3216
        .size:           2
        .value_kind:     hidden_grid_dims
    .group_segment_fixed_size: 0
    .kernarg_segment_align: 8
    .kernarg_segment_size: 3408
    .language:       OpenCL C
    .language_version:
      - 2
      - 0
    .max_flat_workgroup_size: 512
    .name:           _ZN2at6native12_GLOBAL__N_125multi_tensor_apply_kernelINS1_18TensorListMetadataILi2EEENS1_14UnaryOpFunctorIhLi2ELi1ELi1EEEJNS0_4CopyIhhEEEEEvT_T0_DpT1_
    .private_segment_fixed_size: 0
    .sgpr_count:     20
    .sgpr_spill_count: 0
    .symbol:         _ZN2at6native12_GLOBAL__N_125multi_tensor_apply_kernelINS1_18TensorListMetadataILi2EEENS1_14UnaryOpFunctorIhLi2ELi1ELi1EEEJNS0_4CopyIhhEEEEEvT_T0_DpT1_.kd
    .uniform_work_group_size: 1
    .uses_dynamic_stack: false
    .vgpr_count:     29
    .vgpr_spill_count: 0
    .wavefront_size: 32
    .workgroup_processor_mode: 1
  - .args:
      - .offset:         0
        .size:           3144
        .value_kind:     by_value
      - .offset:         3144
        .size:           1
        .value_kind:     by_value
      - .offset:         3145
        .size:           1
        .value_kind:     by_value
      - .offset:         3152
        .size:           4
        .value_kind:     hidden_block_count_x
      - .offset:         3156
        .size:           4
        .value_kind:     hidden_block_count_y
      - .offset:         3160
        .size:           4
        .value_kind:     hidden_block_count_z
      - .offset:         3164
        .size:           2
        .value_kind:     hidden_group_size_x
      - .offset:         3166
        .size:           2
        .value_kind:     hidden_group_size_y
      - .offset:         3168
        .size:           2
        .value_kind:     hidden_group_size_z
      - .offset:         3170
        .size:           2
        .value_kind:     hidden_remainder_x
      - .offset:         3172
        .size:           2
        .value_kind:     hidden_remainder_y
      - .offset:         3174
        .size:           2
        .value_kind:     hidden_remainder_z
      - .offset:         3192
        .size:           8
        .value_kind:     hidden_global_offset_x
      - .offset:         3200
        .size:           8
        .value_kind:     hidden_global_offset_y
      - .offset:         3208
        .size:           8
        .value_kind:     hidden_global_offset_z
      - .offset:         3216
        .size:           2
        .value_kind:     hidden_grid_dims
    .group_segment_fixed_size: 0
    .kernarg_segment_align: 8
    .kernarg_segment_size: 3408
    .language:       OpenCL C
    .language_version:
      - 2
      - 0
    .max_flat_workgroup_size: 512
    .name:           _ZN2at6native12_GLOBAL__N_125multi_tensor_apply_kernelINS1_18TensorListMetadataILi2EEENS1_11CopyFunctorIhaLi2ELi1ELi1EEEJNS0_4CopyIhaEEEEEvT_T0_DpT1_
    .private_segment_fixed_size: 0
    .sgpr_count:     20
    .sgpr_spill_count: 0
    .symbol:         _ZN2at6native12_GLOBAL__N_125multi_tensor_apply_kernelINS1_18TensorListMetadataILi2EEENS1_11CopyFunctorIhaLi2ELi1ELi1EEEJNS0_4CopyIhaEEEEEvT_T0_DpT1_.kd
    .uniform_work_group_size: 1
    .uses_dynamic_stack: false
    .vgpr_count:     36
    .vgpr_spill_count: 0
    .wavefront_size: 32
    .workgroup_processor_mode: 1
  - .args:
      - .offset:         0
        .size:           3144
        .value_kind:     by_value
      - .offset:         3144
        .size:           1
        .value_kind:     by_value
      - .offset:         3145
        .size:           1
        .value_kind:     by_value
      - .offset:         3152
        .size:           4
        .value_kind:     hidden_block_count_x
      - .offset:         3156
        .size:           4
        .value_kind:     hidden_block_count_y
      - .offset:         3160
        .size:           4
        .value_kind:     hidden_block_count_z
      - .offset:         3164
        .size:           2
        .value_kind:     hidden_group_size_x
      - .offset:         3166
        .size:           2
        .value_kind:     hidden_group_size_y
      - .offset:         3168
        .size:           2
        .value_kind:     hidden_group_size_z
      - .offset:         3170
        .size:           2
        .value_kind:     hidden_remainder_x
      - .offset:         3172
        .size:           2
        .value_kind:     hidden_remainder_y
      - .offset:         3174
        .size:           2
        .value_kind:     hidden_remainder_z
      - .offset:         3192
        .size:           8
        .value_kind:     hidden_global_offset_x
      - .offset:         3200
        .size:           8
        .value_kind:     hidden_global_offset_y
      - .offset:         3208
        .size:           8
        .value_kind:     hidden_global_offset_z
      - .offset:         3216
        .size:           2
        .value_kind:     hidden_grid_dims
    .group_segment_fixed_size: 0
    .kernarg_segment_align: 8
    .kernarg_segment_size: 3408
    .language:       OpenCL C
    .language_version:
      - 2
      - 0
    .max_flat_workgroup_size: 512
    .name:           _ZN2at6native12_GLOBAL__N_125multi_tensor_apply_kernelINS1_18TensorListMetadataILi2EEENS1_11CopyFunctorIhlLi2ELi1ELi1EEEJNS0_4CopyIhlEEEEEvT_T0_DpT1_
    .private_segment_fixed_size: 0
    .sgpr_count:     22
    .sgpr_spill_count: 0
    .symbol:         _ZN2at6native12_GLOBAL__N_125multi_tensor_apply_kernelINS1_18TensorListMetadataILi2EEENS1_11CopyFunctorIhlLi2ELi1ELi1EEEJNS0_4CopyIhlEEEEEvT_T0_DpT1_.kd
    .uniform_work_group_size: 1
    .uses_dynamic_stack: false
    .vgpr_count:     35
    .vgpr_spill_count: 0
    .wavefront_size: 32
    .workgroup_processor_mode: 1
  - .args:
      - .offset:         0
        .size:           3144
        .value_kind:     by_value
      - .offset:         3144
        .size:           1
        .value_kind:     by_value
      - .offset:         3145
        .size:           1
        .value_kind:     by_value
      - .offset:         3152
        .size:           4
        .value_kind:     hidden_block_count_x
      - .offset:         3156
        .size:           4
        .value_kind:     hidden_block_count_y
      - .offset:         3160
        .size:           4
        .value_kind:     hidden_block_count_z
      - .offset:         3164
        .size:           2
        .value_kind:     hidden_group_size_x
      - .offset:         3166
        .size:           2
        .value_kind:     hidden_group_size_y
      - .offset:         3168
        .size:           2
        .value_kind:     hidden_group_size_z
      - .offset:         3170
        .size:           2
        .value_kind:     hidden_remainder_x
      - .offset:         3172
        .size:           2
        .value_kind:     hidden_remainder_y
      - .offset:         3174
        .size:           2
        .value_kind:     hidden_remainder_z
      - .offset:         3192
        .size:           8
        .value_kind:     hidden_global_offset_x
      - .offset:         3200
        .size:           8
        .value_kind:     hidden_global_offset_y
      - .offset:         3208
        .size:           8
        .value_kind:     hidden_global_offset_z
      - .offset:         3216
        .size:           2
        .value_kind:     hidden_grid_dims
    .group_segment_fixed_size: 0
    .kernarg_segment_align: 8
    .kernarg_segment_size: 3408
    .language:       OpenCL C
    .language_version:
      - 2
      - 0
    .max_flat_workgroup_size: 512
    .name:           _ZN2at6native12_GLOBAL__N_125multi_tensor_apply_kernelINS1_18TensorListMetadataILi2EEENS1_11CopyFunctorIhsLi2ELi1ELi1EEEJNS0_4CopyIhsEEEEEvT_T0_DpT1_
    .private_segment_fixed_size: 0
    .sgpr_count:     22
    .sgpr_spill_count: 0
    .symbol:         _ZN2at6native12_GLOBAL__N_125multi_tensor_apply_kernelINS1_18TensorListMetadataILi2EEENS1_11CopyFunctorIhsLi2ELi1ELi1EEEJNS0_4CopyIhsEEEEEvT_T0_DpT1_.kd
    .uniform_work_group_size: 1
    .uses_dynamic_stack: false
    .vgpr_count:     31
    .vgpr_spill_count: 0
    .wavefront_size: 32
    .workgroup_processor_mode: 1
  - .args:
      - .offset:         0
        .size:           3144
        .value_kind:     by_value
      - .offset:         3144
        .size:           1
        .value_kind:     by_value
      - .offset:         3145
        .size:           1
        .value_kind:     by_value
      - .offset:         3152
        .size:           4
        .value_kind:     hidden_block_count_x
      - .offset:         3156
        .size:           4
        .value_kind:     hidden_block_count_y
      - .offset:         3160
        .size:           4
        .value_kind:     hidden_block_count_z
      - .offset:         3164
        .size:           2
        .value_kind:     hidden_group_size_x
      - .offset:         3166
        .size:           2
        .value_kind:     hidden_group_size_y
      - .offset:         3168
        .size:           2
        .value_kind:     hidden_group_size_z
      - .offset:         3170
        .size:           2
        .value_kind:     hidden_remainder_x
      - .offset:         3172
        .size:           2
        .value_kind:     hidden_remainder_y
      - .offset:         3174
        .size:           2
        .value_kind:     hidden_remainder_z
      - .offset:         3192
        .size:           8
        .value_kind:     hidden_global_offset_x
      - .offset:         3200
        .size:           8
        .value_kind:     hidden_global_offset_y
      - .offset:         3208
        .size:           8
        .value_kind:     hidden_global_offset_z
      - .offset:         3216
        .size:           2
        .value_kind:     hidden_grid_dims
    .group_segment_fixed_size: 0
    .kernarg_segment_align: 8
    .kernarg_segment_size: 3408
    .language:       OpenCL C
    .language_version:
      - 2
      - 0
    .max_flat_workgroup_size: 512
    .name:           _ZN2at6native12_GLOBAL__N_125multi_tensor_apply_kernelINS1_18TensorListMetadataILi2EEENS1_11CopyFunctorIhiLi2ELi1ELi1EEEJNS0_4CopyIhiEEEEEvT_T0_DpT1_
    .private_segment_fixed_size: 0
    .sgpr_count:     22
    .sgpr_spill_count: 0
    .symbol:         _ZN2at6native12_GLOBAL__N_125multi_tensor_apply_kernelINS1_18TensorListMetadataILi2EEENS1_11CopyFunctorIhiLi2ELi1ELi1EEEJNS0_4CopyIhiEEEEEvT_T0_DpT1_.kd
    .uniform_work_group_size: 1
    .uses_dynamic_stack: false
    .vgpr_count:     33
    .vgpr_spill_count: 0
    .wavefront_size: 32
    .workgroup_processor_mode: 1
  - .args:
      - .offset:         0
        .size:           3144
        .value_kind:     by_value
      - .offset:         3144
        .size:           1
        .value_kind:     by_value
      - .offset:         3145
        .size:           1
        .value_kind:     by_value
      - .offset:         3152
        .size:           4
        .value_kind:     hidden_block_count_x
      - .offset:         3156
        .size:           4
        .value_kind:     hidden_block_count_y
      - .offset:         3160
        .size:           4
        .value_kind:     hidden_block_count_z
      - .offset:         3164
        .size:           2
        .value_kind:     hidden_group_size_x
      - .offset:         3166
        .size:           2
        .value_kind:     hidden_group_size_y
      - .offset:         3168
        .size:           2
        .value_kind:     hidden_group_size_z
      - .offset:         3170
        .size:           2
        .value_kind:     hidden_remainder_x
      - .offset:         3172
        .size:           2
        .value_kind:     hidden_remainder_y
      - .offset:         3174
        .size:           2
        .value_kind:     hidden_remainder_z
      - .offset:         3192
        .size:           8
        .value_kind:     hidden_global_offset_x
      - .offset:         3200
        .size:           8
        .value_kind:     hidden_global_offset_y
      - .offset:         3208
        .size:           8
        .value_kind:     hidden_global_offset_z
      - .offset:         3216
        .size:           2
        .value_kind:     hidden_grid_dims
    .group_segment_fixed_size: 0
    .kernarg_segment_align: 8
    .kernarg_segment_size: 3408
    .language:       OpenCL C
    .language_version:
      - 2
      - 0
    .max_flat_workgroup_size: 512
    .name:           _ZN2at6native12_GLOBAL__N_125multi_tensor_apply_kernelINS1_18TensorListMetadataILi2EEENS1_11CopyFunctorIhdLi2ELi1ELi1EEEJNS0_4CopyIhdEEEEEvT_T0_DpT1_
    .private_segment_fixed_size: 0
    .sgpr_count:     22
    .sgpr_spill_count: 0
    .symbol:         _ZN2at6native12_GLOBAL__N_125multi_tensor_apply_kernelINS1_18TensorListMetadataILi2EEENS1_11CopyFunctorIhdLi2ELi1ELi1EEEJNS0_4CopyIhdEEEEEvT_T0_DpT1_.kd
    .uniform_work_group_size: 1
    .uses_dynamic_stack: false
    .vgpr_count:     36
    .vgpr_spill_count: 0
    .wavefront_size: 32
    .workgroup_processor_mode: 1
  - .args:
      - .offset:         0
        .size:           3144
        .value_kind:     by_value
      - .offset:         3144
        .size:           1
        .value_kind:     by_value
      - .offset:         3145
        .size:           1
        .value_kind:     by_value
      - .offset:         3152
        .size:           4
        .value_kind:     hidden_block_count_x
      - .offset:         3156
        .size:           4
        .value_kind:     hidden_block_count_y
      - .offset:         3160
        .size:           4
        .value_kind:     hidden_block_count_z
      - .offset:         3164
        .size:           2
        .value_kind:     hidden_group_size_x
      - .offset:         3166
        .size:           2
        .value_kind:     hidden_group_size_y
      - .offset:         3168
        .size:           2
        .value_kind:     hidden_group_size_z
      - .offset:         3170
        .size:           2
        .value_kind:     hidden_remainder_x
      - .offset:         3172
        .size:           2
        .value_kind:     hidden_remainder_y
      - .offset:         3174
        .size:           2
        .value_kind:     hidden_remainder_z
      - .offset:         3192
        .size:           8
        .value_kind:     hidden_global_offset_x
      - .offset:         3200
        .size:           8
        .value_kind:     hidden_global_offset_y
      - .offset:         3208
        .size:           8
        .value_kind:     hidden_global_offset_z
      - .offset:         3216
        .size:           2
        .value_kind:     hidden_grid_dims
    .group_segment_fixed_size: 0
    .kernarg_segment_align: 8
    .kernarg_segment_size: 3408
    .language:       OpenCL C
    .language_version:
      - 2
      - 0
    .max_flat_workgroup_size: 512
    .name:           _ZN2at6native12_GLOBAL__N_125multi_tensor_apply_kernelINS1_18TensorListMetadataILi2EEENS1_11CopyFunctorIhfLi2ELi1ELi1EEEJNS0_4CopyIhfEEEEEvT_T0_DpT1_
    .private_segment_fixed_size: 0
    .sgpr_count:     22
    .sgpr_spill_count: 0
    .symbol:         _ZN2at6native12_GLOBAL__N_125multi_tensor_apply_kernelINS1_18TensorListMetadataILi2EEENS1_11CopyFunctorIhfLi2ELi1ELi1EEEJNS0_4CopyIhfEEEEEvT_T0_DpT1_.kd
    .uniform_work_group_size: 1
    .uses_dynamic_stack: false
    .vgpr_count:     33
    .vgpr_spill_count: 0
    .wavefront_size: 32
    .workgroup_processor_mode: 1
  - .args:
      - .offset:         0
        .size:           3144
        .value_kind:     by_value
      - .offset:         3144
        .size:           1
        .value_kind:     by_value
      - .offset:         3145
        .size:           1
        .value_kind:     by_value
      - .offset:         3152
        .size:           4
        .value_kind:     hidden_block_count_x
      - .offset:         3156
        .size:           4
        .value_kind:     hidden_block_count_y
      - .offset:         3160
        .size:           4
        .value_kind:     hidden_block_count_z
      - .offset:         3164
        .size:           2
        .value_kind:     hidden_group_size_x
      - .offset:         3166
        .size:           2
        .value_kind:     hidden_group_size_y
      - .offset:         3168
        .size:           2
        .value_kind:     hidden_group_size_z
      - .offset:         3170
        .size:           2
        .value_kind:     hidden_remainder_x
      - .offset:         3172
        .size:           2
        .value_kind:     hidden_remainder_y
      - .offset:         3174
        .size:           2
        .value_kind:     hidden_remainder_z
      - .offset:         3192
        .size:           8
        .value_kind:     hidden_global_offset_x
      - .offset:         3200
        .size:           8
        .value_kind:     hidden_global_offset_y
      - .offset:         3208
        .size:           8
        .value_kind:     hidden_global_offset_z
      - .offset:         3216
        .size:           2
        .value_kind:     hidden_grid_dims
    .group_segment_fixed_size: 0
    .kernarg_segment_align: 8
    .kernarg_segment_size: 3408
    .language:       OpenCL C
    .language_version:
      - 2
      - 0
    .max_flat_workgroup_size: 512
    .name:           _ZN2at6native12_GLOBAL__N_125multi_tensor_apply_kernelINS1_18TensorListMetadataILi2EEENS1_11CopyFunctorIhN3c107complexIdEELi2ELi1ELi1EEEJNS0_4CopyIhS8_EEEEEvT_T0_DpT1_
    .private_segment_fixed_size: 0
    .sgpr_count:     22
    .sgpr_spill_count: 0
    .symbol:         _ZN2at6native12_GLOBAL__N_125multi_tensor_apply_kernelINS1_18TensorListMetadataILi2EEENS1_11CopyFunctorIhN3c107complexIdEELi2ELi1ELi1EEEJNS0_4CopyIhS8_EEEEEvT_T0_DpT1_.kd
    .uniform_work_group_size: 1
    .uses_dynamic_stack: false
    .vgpr_count:     36
    .vgpr_spill_count: 0
    .wavefront_size: 32
    .workgroup_processor_mode: 1
  - .args:
      - .offset:         0
        .size:           3144
        .value_kind:     by_value
      - .offset:         3144
        .size:           1
        .value_kind:     by_value
      - .offset:         3145
        .size:           1
        .value_kind:     by_value
      - .offset:         3152
        .size:           4
        .value_kind:     hidden_block_count_x
      - .offset:         3156
        .size:           4
        .value_kind:     hidden_block_count_y
      - .offset:         3160
        .size:           4
        .value_kind:     hidden_block_count_z
      - .offset:         3164
        .size:           2
        .value_kind:     hidden_group_size_x
      - .offset:         3166
        .size:           2
        .value_kind:     hidden_group_size_y
      - .offset:         3168
        .size:           2
        .value_kind:     hidden_group_size_z
      - .offset:         3170
        .size:           2
        .value_kind:     hidden_remainder_x
      - .offset:         3172
        .size:           2
        .value_kind:     hidden_remainder_y
      - .offset:         3174
        .size:           2
        .value_kind:     hidden_remainder_z
      - .offset:         3192
        .size:           8
        .value_kind:     hidden_global_offset_x
      - .offset:         3200
        .size:           8
        .value_kind:     hidden_global_offset_y
      - .offset:         3208
        .size:           8
        .value_kind:     hidden_global_offset_z
      - .offset:         3216
        .size:           2
        .value_kind:     hidden_grid_dims
    .group_segment_fixed_size: 0
    .kernarg_segment_align: 8
    .kernarg_segment_size: 3408
    .language:       OpenCL C
    .language_version:
      - 2
      - 0
    .max_flat_workgroup_size: 512
    .name:           _ZN2at6native12_GLOBAL__N_125multi_tensor_apply_kernelINS1_18TensorListMetadataILi2EEENS1_11CopyFunctorIhN3c107complexIfEELi2ELi1ELi1EEEJNS0_4CopyIhS8_EEEEEvT_T0_DpT1_
    .private_segment_fixed_size: 0
    .sgpr_count:     22
    .sgpr_spill_count: 0
    .symbol:         _ZN2at6native12_GLOBAL__N_125multi_tensor_apply_kernelINS1_18TensorListMetadataILi2EEENS1_11CopyFunctorIhN3c107complexIfEELi2ELi1ELi1EEEJNS0_4CopyIhS8_EEEEEvT_T0_DpT1_.kd
    .uniform_work_group_size: 1
    .uses_dynamic_stack: false
    .vgpr_count:     33
    .vgpr_spill_count: 0
    .wavefront_size: 32
    .workgroup_processor_mode: 1
  - .args:
      - .offset:         0
        .size:           3144
        .value_kind:     by_value
      - .offset:         3144
        .size:           1
        .value_kind:     by_value
      - .offset:         3145
        .size:           1
        .value_kind:     by_value
      - .offset:         3152
        .size:           4
        .value_kind:     hidden_block_count_x
      - .offset:         3156
        .size:           4
        .value_kind:     hidden_block_count_y
      - .offset:         3160
        .size:           4
        .value_kind:     hidden_block_count_z
      - .offset:         3164
        .size:           2
        .value_kind:     hidden_group_size_x
      - .offset:         3166
        .size:           2
        .value_kind:     hidden_group_size_y
      - .offset:         3168
        .size:           2
        .value_kind:     hidden_group_size_z
      - .offset:         3170
        .size:           2
        .value_kind:     hidden_remainder_x
      - .offset:         3172
        .size:           2
        .value_kind:     hidden_remainder_y
      - .offset:         3174
        .size:           2
        .value_kind:     hidden_remainder_z
      - .offset:         3192
        .size:           8
        .value_kind:     hidden_global_offset_x
      - .offset:         3200
        .size:           8
        .value_kind:     hidden_global_offset_y
      - .offset:         3208
        .size:           8
        .value_kind:     hidden_global_offset_z
      - .offset:         3216
        .size:           2
        .value_kind:     hidden_grid_dims
    .group_segment_fixed_size: 0
    .kernarg_segment_align: 8
    .kernarg_segment_size: 3408
    .language:       OpenCL C
    .language_version:
      - 2
      - 0
    .max_flat_workgroup_size: 512
    .name:           _ZN2at6native12_GLOBAL__N_125multi_tensor_apply_kernelINS1_18TensorListMetadataILi2EEENS1_11CopyFunctorIhN3c104HalfELi2ELi1ELi1EEEJNS0_4CopyIhS7_EEEEEvT_T0_DpT1_
    .private_segment_fixed_size: 0
    .sgpr_count:     22
    .sgpr_spill_count: 0
    .symbol:         _ZN2at6native12_GLOBAL__N_125multi_tensor_apply_kernelINS1_18TensorListMetadataILi2EEENS1_11CopyFunctorIhN3c104HalfELi2ELi1ELi1EEEJNS0_4CopyIhS7_EEEEEvT_T0_DpT1_.kd
    .uniform_work_group_size: 1
    .uses_dynamic_stack: false
    .vgpr_count:     33
    .vgpr_spill_count: 0
    .wavefront_size: 32
    .workgroup_processor_mode: 1
  - .args:
      - .offset:         0
        .size:           3144
        .value_kind:     by_value
      - .offset:         3144
        .size:           1
        .value_kind:     by_value
      - .offset:         3145
        .size:           1
        .value_kind:     by_value
      - .offset:         3152
        .size:           4
        .value_kind:     hidden_block_count_x
      - .offset:         3156
        .size:           4
        .value_kind:     hidden_block_count_y
      - .offset:         3160
        .size:           4
        .value_kind:     hidden_block_count_z
      - .offset:         3164
        .size:           2
        .value_kind:     hidden_group_size_x
      - .offset:         3166
        .size:           2
        .value_kind:     hidden_group_size_y
      - .offset:         3168
        .size:           2
        .value_kind:     hidden_group_size_z
      - .offset:         3170
        .size:           2
        .value_kind:     hidden_remainder_x
      - .offset:         3172
        .size:           2
        .value_kind:     hidden_remainder_y
      - .offset:         3174
        .size:           2
        .value_kind:     hidden_remainder_z
      - .offset:         3192
        .size:           8
        .value_kind:     hidden_global_offset_x
      - .offset:         3200
        .size:           8
        .value_kind:     hidden_global_offset_y
      - .offset:         3208
        .size:           8
        .value_kind:     hidden_global_offset_z
      - .offset:         3216
        .size:           2
        .value_kind:     hidden_grid_dims
    .group_segment_fixed_size: 0
    .kernarg_segment_align: 8
    .kernarg_segment_size: 3408
    .language:       OpenCL C
    .language_version:
      - 2
      - 0
    .max_flat_workgroup_size: 512
    .name:           _ZN2at6native12_GLOBAL__N_125multi_tensor_apply_kernelINS1_18TensorListMetadataILi2EEENS1_11CopyFunctorIhN3c108BFloat16ELi2ELi1ELi1EEEJNS0_4CopyIhS7_EEEEEvT_T0_DpT1_
    .private_segment_fixed_size: 0
    .sgpr_count:     22
    .sgpr_spill_count: 0
    .symbol:         _ZN2at6native12_GLOBAL__N_125multi_tensor_apply_kernelINS1_18TensorListMetadataILi2EEENS1_11CopyFunctorIhN3c108BFloat16ELi2ELi1ELi1EEEJNS0_4CopyIhS7_EEEEEvT_T0_DpT1_.kd
    .uniform_work_group_size: 1
    .uses_dynamic_stack: false
    .vgpr_count:     33
    .vgpr_spill_count: 0
    .wavefront_size: 32
    .workgroup_processor_mode: 1
  - .args:
      - .offset:         0
        .size:           3144
        .value_kind:     by_value
      - .offset:         3144
        .size:           1
        .value_kind:     by_value
      - .offset:         3145
        .size:           1
        .value_kind:     by_value
      - .offset:         3152
        .size:           4
        .value_kind:     hidden_block_count_x
      - .offset:         3156
        .size:           4
        .value_kind:     hidden_block_count_y
      - .offset:         3160
        .size:           4
        .value_kind:     hidden_block_count_z
      - .offset:         3164
        .size:           2
        .value_kind:     hidden_group_size_x
      - .offset:         3166
        .size:           2
        .value_kind:     hidden_group_size_y
      - .offset:         3168
        .size:           2
        .value_kind:     hidden_group_size_z
      - .offset:         3170
        .size:           2
        .value_kind:     hidden_remainder_x
      - .offset:         3172
        .size:           2
        .value_kind:     hidden_remainder_y
      - .offset:         3174
        .size:           2
        .value_kind:     hidden_remainder_z
      - .offset:         3192
        .size:           8
        .value_kind:     hidden_global_offset_x
      - .offset:         3200
        .size:           8
        .value_kind:     hidden_global_offset_y
      - .offset:         3208
        .size:           8
        .value_kind:     hidden_global_offset_z
      - .offset:         3216
        .size:           2
        .value_kind:     hidden_grid_dims
    .group_segment_fixed_size: 0
    .kernarg_segment_align: 8
    .kernarg_segment_size: 3408
    .language:       OpenCL C
    .language_version:
      - 2
      - 0
    .max_flat_workgroup_size: 512
    .name:           _ZN2at6native12_GLOBAL__N_125multi_tensor_apply_kernelINS1_18TensorListMetadataILi2EEENS1_11CopyFunctorIhbLi2ELi1ELi1EEEJNS0_4CopyIhbEEEEEvT_T0_DpT1_
    .private_segment_fixed_size: 0
    .sgpr_count:     20
    .sgpr_spill_count: 0
    .symbol:         _ZN2at6native12_GLOBAL__N_125multi_tensor_apply_kernelINS1_18TensorListMetadataILi2EEENS1_11CopyFunctorIhbLi2ELi1ELi1EEEJNS0_4CopyIhbEEEEEvT_T0_DpT1_.kd
    .uniform_work_group_size: 1
    .uses_dynamic_stack: false
    .vgpr_count:     36
    .vgpr_spill_count: 0
    .wavefront_size: 32
    .workgroup_processor_mode: 1
  - .args:
      - .offset:         0
        .size:           3144
        .value_kind:     by_value
      - .offset:         3144
        .size:           1
        .value_kind:     by_value
      - .offset:         3145
        .size:           1
        .value_kind:     by_value
      - .offset:         3152
        .size:           4
        .value_kind:     hidden_block_count_x
      - .offset:         3156
        .size:           4
        .value_kind:     hidden_block_count_y
      - .offset:         3160
        .size:           4
        .value_kind:     hidden_block_count_z
      - .offset:         3164
        .size:           2
        .value_kind:     hidden_group_size_x
      - .offset:         3166
        .size:           2
        .value_kind:     hidden_group_size_y
      - .offset:         3168
        .size:           2
        .value_kind:     hidden_group_size_z
      - .offset:         3170
        .size:           2
        .value_kind:     hidden_remainder_x
      - .offset:         3172
        .size:           2
        .value_kind:     hidden_remainder_y
      - .offset:         3174
        .size:           2
        .value_kind:     hidden_remainder_z
      - .offset:         3192
        .size:           8
        .value_kind:     hidden_global_offset_x
      - .offset:         3200
        .size:           8
        .value_kind:     hidden_global_offset_y
      - .offset:         3208
        .size:           8
        .value_kind:     hidden_global_offset_z
      - .offset:         3216
        .size:           2
        .value_kind:     hidden_grid_dims
    .group_segment_fixed_size: 0
    .kernarg_segment_align: 8
    .kernarg_segment_size: 3408
    .language:       OpenCL C
    .language_version:
      - 2
      - 0
    .max_flat_workgroup_size: 512
    .name:           _ZN2at6native12_GLOBAL__N_125multi_tensor_apply_kernelINS1_18TensorListMetadataILi2EEENS1_11CopyFunctorIhN3c1013Float8_e4m3fnELi2ELi1ELi1EEEJNS0_4CopyIhS7_EEEEEvT_T0_DpT1_
    .private_segment_fixed_size: 0
    .sgpr_count:     21
    .sgpr_spill_count: 0
    .symbol:         _ZN2at6native12_GLOBAL__N_125multi_tensor_apply_kernelINS1_18TensorListMetadataILi2EEENS1_11CopyFunctorIhN3c1013Float8_e4m3fnELi2ELi1ELi1EEEJNS0_4CopyIhS7_EEEEEvT_T0_DpT1_.kd
    .uniform_work_group_size: 1
    .uses_dynamic_stack: false
    .vgpr_count:     38
    .vgpr_spill_count: 0
    .wavefront_size: 32
    .workgroup_processor_mode: 1
  - .args:
      - .offset:         0
        .size:           3144
        .value_kind:     by_value
      - .offset:         3144
        .size:           1
        .value_kind:     by_value
      - .offset:         3145
        .size:           1
        .value_kind:     by_value
      - .offset:         3152
        .size:           4
        .value_kind:     hidden_block_count_x
      - .offset:         3156
        .size:           4
        .value_kind:     hidden_block_count_y
      - .offset:         3160
        .size:           4
        .value_kind:     hidden_block_count_z
      - .offset:         3164
        .size:           2
        .value_kind:     hidden_group_size_x
      - .offset:         3166
        .size:           2
        .value_kind:     hidden_group_size_y
      - .offset:         3168
        .size:           2
        .value_kind:     hidden_group_size_z
      - .offset:         3170
        .size:           2
        .value_kind:     hidden_remainder_x
      - .offset:         3172
        .size:           2
        .value_kind:     hidden_remainder_y
      - .offset:         3174
        .size:           2
        .value_kind:     hidden_remainder_z
      - .offset:         3192
        .size:           8
        .value_kind:     hidden_global_offset_x
      - .offset:         3200
        .size:           8
        .value_kind:     hidden_global_offset_y
      - .offset:         3208
        .size:           8
        .value_kind:     hidden_global_offset_z
      - .offset:         3216
        .size:           2
        .value_kind:     hidden_grid_dims
    .group_segment_fixed_size: 0
    .kernarg_segment_align: 8
    .kernarg_segment_size: 3408
    .language:       OpenCL C
    .language_version:
      - 2
      - 0
    .max_flat_workgroup_size: 512
    .name:           _ZN2at6native12_GLOBAL__N_125multi_tensor_apply_kernelINS1_18TensorListMetadataILi2EEENS1_11CopyFunctorIhN3c1015Float8_e4m3fnuzELi2ELi1ELi1EEEJNS0_4CopyIhS7_EEEEEvT_T0_DpT1_
    .private_segment_fixed_size: 0
    .sgpr_count:     22
    .sgpr_spill_count: 0
    .symbol:         _ZN2at6native12_GLOBAL__N_125multi_tensor_apply_kernelINS1_18TensorListMetadataILi2EEENS1_11CopyFunctorIhN3c1015Float8_e4m3fnuzELi2ELi1ELi1EEEJNS0_4CopyIhS7_EEEEEvT_T0_DpT1_.kd
    .uniform_work_group_size: 1
    .uses_dynamic_stack: false
    .vgpr_count:     43
    .vgpr_spill_count: 0
    .wavefront_size: 32
    .workgroup_processor_mode: 1
  - .args:
      - .offset:         0
        .size:           3144
        .value_kind:     by_value
      - .offset:         3144
        .size:           1
        .value_kind:     by_value
      - .offset:         3145
        .size:           1
        .value_kind:     by_value
      - .offset:         3152
        .size:           4
        .value_kind:     hidden_block_count_x
      - .offset:         3156
        .size:           4
        .value_kind:     hidden_block_count_y
      - .offset:         3160
        .size:           4
        .value_kind:     hidden_block_count_z
      - .offset:         3164
        .size:           2
        .value_kind:     hidden_group_size_x
      - .offset:         3166
        .size:           2
        .value_kind:     hidden_group_size_y
      - .offset:         3168
        .size:           2
        .value_kind:     hidden_group_size_z
      - .offset:         3170
        .size:           2
        .value_kind:     hidden_remainder_x
      - .offset:         3172
        .size:           2
        .value_kind:     hidden_remainder_y
      - .offset:         3174
        .size:           2
        .value_kind:     hidden_remainder_z
      - .offset:         3192
        .size:           8
        .value_kind:     hidden_global_offset_x
      - .offset:         3200
        .size:           8
        .value_kind:     hidden_global_offset_y
      - .offset:         3208
        .size:           8
        .value_kind:     hidden_global_offset_z
      - .offset:         3216
        .size:           2
        .value_kind:     hidden_grid_dims
    .group_segment_fixed_size: 0
    .kernarg_segment_align: 8
    .kernarg_segment_size: 3408
    .language:       OpenCL C
    .language_version:
      - 2
      - 0
    .max_flat_workgroup_size: 512
    .name:           _ZN2at6native12_GLOBAL__N_125multi_tensor_apply_kernelINS1_18TensorListMetadataILi2EEENS1_11CopyFunctorIhN3c1011Float8_e5m2ELi2ELi1ELi1EEEJNS0_4CopyIhS7_EEEEEvT_T0_DpT1_
    .private_segment_fixed_size: 0
    .sgpr_count:     22
    .sgpr_spill_count: 0
    .symbol:         _ZN2at6native12_GLOBAL__N_125multi_tensor_apply_kernelINS1_18TensorListMetadataILi2EEENS1_11CopyFunctorIhN3c1011Float8_e5m2ELi2ELi1ELi1EEEJNS0_4CopyIhS7_EEEEEvT_T0_DpT1_.kd
    .uniform_work_group_size: 1
    .uses_dynamic_stack: false
    .vgpr_count:     37
    .vgpr_spill_count: 0
    .wavefront_size: 32
    .workgroup_processor_mode: 1
  - .args:
      - .offset:         0
        .size:           3144
        .value_kind:     by_value
      - .offset:         3144
        .size:           1
        .value_kind:     by_value
      - .offset:         3145
        .size:           1
        .value_kind:     by_value
      - .offset:         3152
        .size:           4
        .value_kind:     hidden_block_count_x
      - .offset:         3156
        .size:           4
        .value_kind:     hidden_block_count_y
      - .offset:         3160
        .size:           4
        .value_kind:     hidden_block_count_z
      - .offset:         3164
        .size:           2
        .value_kind:     hidden_group_size_x
      - .offset:         3166
        .size:           2
        .value_kind:     hidden_group_size_y
      - .offset:         3168
        .size:           2
        .value_kind:     hidden_group_size_z
      - .offset:         3170
        .size:           2
        .value_kind:     hidden_remainder_x
      - .offset:         3172
        .size:           2
        .value_kind:     hidden_remainder_y
      - .offset:         3174
        .size:           2
        .value_kind:     hidden_remainder_z
      - .offset:         3192
        .size:           8
        .value_kind:     hidden_global_offset_x
      - .offset:         3200
        .size:           8
        .value_kind:     hidden_global_offset_y
      - .offset:         3208
        .size:           8
        .value_kind:     hidden_global_offset_z
      - .offset:         3216
        .size:           2
        .value_kind:     hidden_grid_dims
    .group_segment_fixed_size: 0
    .kernarg_segment_align: 8
    .kernarg_segment_size: 3408
    .language:       OpenCL C
    .language_version:
      - 2
      - 0
    .max_flat_workgroup_size: 512
    .name:           _ZN2at6native12_GLOBAL__N_125multi_tensor_apply_kernelINS1_18TensorListMetadataILi2EEENS1_11CopyFunctorIhN3c1015Float8_e5m2fnuzELi2ELi1ELi1EEEJNS0_4CopyIhS7_EEEEEvT_T0_DpT1_
    .private_segment_fixed_size: 0
    .sgpr_count:     22
    .sgpr_spill_count: 0
    .symbol:         _ZN2at6native12_GLOBAL__N_125multi_tensor_apply_kernelINS1_18TensorListMetadataILi2EEENS1_11CopyFunctorIhN3c1015Float8_e5m2fnuzELi2ELi1ELi1EEEJNS0_4CopyIhS7_EEEEEvT_T0_DpT1_.kd
    .uniform_work_group_size: 1
    .uses_dynamic_stack: false
    .vgpr_count:     43
    .vgpr_spill_count: 0
    .wavefront_size: 32
    .workgroup_processor_mode: 1
  - .args:
      - .offset:         0
        .size:           3144
        .value_kind:     by_value
      - .offset:         3144
        .size:           1
        .value_kind:     by_value
      - .offset:         3145
        .size:           1
        .value_kind:     by_value
      - .offset:         3152
        .size:           4
        .value_kind:     hidden_block_count_x
      - .offset:         3156
        .size:           4
        .value_kind:     hidden_block_count_y
      - .offset:         3160
        .size:           4
        .value_kind:     hidden_block_count_z
      - .offset:         3164
        .size:           2
        .value_kind:     hidden_group_size_x
      - .offset:         3166
        .size:           2
        .value_kind:     hidden_group_size_y
      - .offset:         3168
        .size:           2
        .value_kind:     hidden_group_size_z
      - .offset:         3170
        .size:           2
        .value_kind:     hidden_remainder_x
      - .offset:         3172
        .size:           2
        .value_kind:     hidden_remainder_y
      - .offset:         3174
        .size:           2
        .value_kind:     hidden_remainder_z
      - .offset:         3192
        .size:           8
        .value_kind:     hidden_global_offset_x
      - .offset:         3200
        .size:           8
        .value_kind:     hidden_global_offset_y
      - .offset:         3208
        .size:           8
        .value_kind:     hidden_global_offset_z
      - .offset:         3216
        .size:           2
        .value_kind:     hidden_grid_dims
    .group_segment_fixed_size: 0
    .kernarg_segment_align: 8
    .kernarg_segment_size: 3408
    .language:       OpenCL C
    .language_version:
      - 2
      - 0
    .max_flat_workgroup_size: 512
    .name:           _ZN2at6native12_GLOBAL__N_125multi_tensor_apply_kernelINS1_18TensorListMetadataILi2EEENS1_11CopyFunctorIahLi2ELi1ELi1EEEJNS0_4CopyIahEEEEEvT_T0_DpT1_
    .private_segment_fixed_size: 0
    .sgpr_count:     20
    .sgpr_spill_count: 0
    .symbol:         _ZN2at6native12_GLOBAL__N_125multi_tensor_apply_kernelINS1_18TensorListMetadataILi2EEENS1_11CopyFunctorIahLi2ELi1ELi1EEEJNS0_4CopyIahEEEEEvT_T0_DpT1_.kd
    .uniform_work_group_size: 1
    .uses_dynamic_stack: false
    .vgpr_count:     36
    .vgpr_spill_count: 0
    .wavefront_size: 32
    .workgroup_processor_mode: 1
  - .args:
      - .offset:         0
        .size:           3144
        .value_kind:     by_value
      - .offset:         3144
        .size:           1
        .value_kind:     by_value
      - .offset:         3145
        .size:           1
        .value_kind:     by_value
      - .offset:         3152
        .size:           4
        .value_kind:     hidden_block_count_x
      - .offset:         3156
        .size:           4
        .value_kind:     hidden_block_count_y
      - .offset:         3160
        .size:           4
        .value_kind:     hidden_block_count_z
      - .offset:         3164
        .size:           2
        .value_kind:     hidden_group_size_x
      - .offset:         3166
        .size:           2
        .value_kind:     hidden_group_size_y
      - .offset:         3168
        .size:           2
        .value_kind:     hidden_group_size_z
      - .offset:         3170
        .size:           2
        .value_kind:     hidden_remainder_x
      - .offset:         3172
        .size:           2
        .value_kind:     hidden_remainder_y
      - .offset:         3174
        .size:           2
        .value_kind:     hidden_remainder_z
      - .offset:         3192
        .size:           8
        .value_kind:     hidden_global_offset_x
      - .offset:         3200
        .size:           8
        .value_kind:     hidden_global_offset_y
      - .offset:         3208
        .size:           8
        .value_kind:     hidden_global_offset_z
      - .offset:         3216
        .size:           2
        .value_kind:     hidden_grid_dims
    .group_segment_fixed_size: 0
    .kernarg_segment_align: 8
    .kernarg_segment_size: 3408
    .language:       OpenCL C
    .language_version:
      - 2
      - 0
    .max_flat_workgroup_size: 512
    .name:           _ZN2at6native12_GLOBAL__N_125multi_tensor_apply_kernelINS1_18TensorListMetadataILi2EEENS1_14UnaryOpFunctorIaLi2ELi1ELi1EEEJNS0_4CopyIaaEEEEEvT_T0_DpT1_
    .private_segment_fixed_size: 0
    .sgpr_count:     20
    .sgpr_spill_count: 0
    .symbol:         _ZN2at6native12_GLOBAL__N_125multi_tensor_apply_kernelINS1_18TensorListMetadataILi2EEENS1_14UnaryOpFunctorIaLi2ELi1ELi1EEEJNS0_4CopyIaaEEEEEvT_T0_DpT1_.kd
    .uniform_work_group_size: 1
    .uses_dynamic_stack: false
    .vgpr_count:     29
    .vgpr_spill_count: 0
    .wavefront_size: 32
    .workgroup_processor_mode: 1
  - .args:
      - .offset:         0
        .size:           3144
        .value_kind:     by_value
      - .offset:         3144
        .size:           1
        .value_kind:     by_value
      - .offset:         3145
        .size:           1
        .value_kind:     by_value
      - .offset:         3152
        .size:           4
        .value_kind:     hidden_block_count_x
      - .offset:         3156
        .size:           4
        .value_kind:     hidden_block_count_y
      - .offset:         3160
        .size:           4
        .value_kind:     hidden_block_count_z
      - .offset:         3164
        .size:           2
        .value_kind:     hidden_group_size_x
      - .offset:         3166
        .size:           2
        .value_kind:     hidden_group_size_y
      - .offset:         3168
        .size:           2
        .value_kind:     hidden_group_size_z
      - .offset:         3170
        .size:           2
        .value_kind:     hidden_remainder_x
      - .offset:         3172
        .size:           2
        .value_kind:     hidden_remainder_y
      - .offset:         3174
        .size:           2
        .value_kind:     hidden_remainder_z
      - .offset:         3192
        .size:           8
        .value_kind:     hidden_global_offset_x
      - .offset:         3200
        .size:           8
        .value_kind:     hidden_global_offset_y
      - .offset:         3208
        .size:           8
        .value_kind:     hidden_global_offset_z
      - .offset:         3216
        .size:           2
        .value_kind:     hidden_grid_dims
    .group_segment_fixed_size: 0
    .kernarg_segment_align: 8
    .kernarg_segment_size: 3408
    .language:       OpenCL C
    .language_version:
      - 2
      - 0
    .max_flat_workgroup_size: 512
    .name:           _ZN2at6native12_GLOBAL__N_125multi_tensor_apply_kernelINS1_18TensorListMetadataILi2EEENS1_11CopyFunctorIalLi2ELi1ELi1EEEJNS0_4CopyIalEEEEEvT_T0_DpT1_
    .private_segment_fixed_size: 0
    .sgpr_count:     22
    .sgpr_spill_count: 0
    .symbol:         _ZN2at6native12_GLOBAL__N_125multi_tensor_apply_kernelINS1_18TensorListMetadataILi2EEENS1_11CopyFunctorIalLi2ELi1ELi1EEEJNS0_4CopyIalEEEEEvT_T0_DpT1_.kd
    .uniform_work_group_size: 1
    .uses_dynamic_stack: false
    .vgpr_count:     35
    .vgpr_spill_count: 0
    .wavefront_size: 32
    .workgroup_processor_mode: 1
  - .args:
      - .offset:         0
        .size:           3144
        .value_kind:     by_value
      - .offset:         3144
        .size:           1
        .value_kind:     by_value
      - .offset:         3145
        .size:           1
        .value_kind:     by_value
      - .offset:         3152
        .size:           4
        .value_kind:     hidden_block_count_x
      - .offset:         3156
        .size:           4
        .value_kind:     hidden_block_count_y
      - .offset:         3160
        .size:           4
        .value_kind:     hidden_block_count_z
      - .offset:         3164
        .size:           2
        .value_kind:     hidden_group_size_x
      - .offset:         3166
        .size:           2
        .value_kind:     hidden_group_size_y
      - .offset:         3168
        .size:           2
        .value_kind:     hidden_group_size_z
      - .offset:         3170
        .size:           2
        .value_kind:     hidden_remainder_x
      - .offset:         3172
        .size:           2
        .value_kind:     hidden_remainder_y
      - .offset:         3174
        .size:           2
        .value_kind:     hidden_remainder_z
      - .offset:         3192
        .size:           8
        .value_kind:     hidden_global_offset_x
      - .offset:         3200
        .size:           8
        .value_kind:     hidden_global_offset_y
      - .offset:         3208
        .size:           8
        .value_kind:     hidden_global_offset_z
      - .offset:         3216
        .size:           2
        .value_kind:     hidden_grid_dims
    .group_segment_fixed_size: 0
    .kernarg_segment_align: 8
    .kernarg_segment_size: 3408
    .language:       OpenCL C
    .language_version:
      - 2
      - 0
    .max_flat_workgroup_size: 512
    .name:           _ZN2at6native12_GLOBAL__N_125multi_tensor_apply_kernelINS1_18TensorListMetadataILi2EEENS1_11CopyFunctorIasLi2ELi1ELi1EEEJNS0_4CopyIasEEEEEvT_T0_DpT1_
    .private_segment_fixed_size: 0
    .sgpr_count:     22
    .sgpr_spill_count: 0
    .symbol:         _ZN2at6native12_GLOBAL__N_125multi_tensor_apply_kernelINS1_18TensorListMetadataILi2EEENS1_11CopyFunctorIasLi2ELi1ELi1EEEJNS0_4CopyIasEEEEEvT_T0_DpT1_.kd
    .uniform_work_group_size: 1
    .uses_dynamic_stack: false
    .vgpr_count:     31
    .vgpr_spill_count: 0
    .wavefront_size: 32
    .workgroup_processor_mode: 1
  - .args:
      - .offset:         0
        .size:           3144
        .value_kind:     by_value
      - .offset:         3144
        .size:           1
        .value_kind:     by_value
      - .offset:         3145
        .size:           1
        .value_kind:     by_value
      - .offset:         3152
        .size:           4
        .value_kind:     hidden_block_count_x
      - .offset:         3156
        .size:           4
        .value_kind:     hidden_block_count_y
      - .offset:         3160
        .size:           4
        .value_kind:     hidden_block_count_z
      - .offset:         3164
        .size:           2
        .value_kind:     hidden_group_size_x
      - .offset:         3166
        .size:           2
        .value_kind:     hidden_group_size_y
      - .offset:         3168
        .size:           2
        .value_kind:     hidden_group_size_z
      - .offset:         3170
        .size:           2
        .value_kind:     hidden_remainder_x
      - .offset:         3172
        .size:           2
        .value_kind:     hidden_remainder_y
      - .offset:         3174
        .size:           2
        .value_kind:     hidden_remainder_z
      - .offset:         3192
        .size:           8
        .value_kind:     hidden_global_offset_x
      - .offset:         3200
        .size:           8
        .value_kind:     hidden_global_offset_y
      - .offset:         3208
        .size:           8
        .value_kind:     hidden_global_offset_z
      - .offset:         3216
        .size:           2
        .value_kind:     hidden_grid_dims
    .group_segment_fixed_size: 0
    .kernarg_segment_align: 8
    .kernarg_segment_size: 3408
    .language:       OpenCL C
    .language_version:
      - 2
      - 0
    .max_flat_workgroup_size: 512
    .name:           _ZN2at6native12_GLOBAL__N_125multi_tensor_apply_kernelINS1_18TensorListMetadataILi2EEENS1_11CopyFunctorIaiLi2ELi1ELi1EEEJNS0_4CopyIaiEEEEEvT_T0_DpT1_
    .private_segment_fixed_size: 0
    .sgpr_count:     22
    .sgpr_spill_count: 0
    .symbol:         _ZN2at6native12_GLOBAL__N_125multi_tensor_apply_kernelINS1_18TensorListMetadataILi2EEENS1_11CopyFunctorIaiLi2ELi1ELi1EEEJNS0_4CopyIaiEEEEEvT_T0_DpT1_.kd
    .uniform_work_group_size: 1
    .uses_dynamic_stack: false
    .vgpr_count:     33
    .vgpr_spill_count: 0
    .wavefront_size: 32
    .workgroup_processor_mode: 1
  - .args:
      - .offset:         0
        .size:           3144
        .value_kind:     by_value
      - .offset:         3144
        .size:           1
        .value_kind:     by_value
      - .offset:         3145
        .size:           1
        .value_kind:     by_value
      - .offset:         3152
        .size:           4
        .value_kind:     hidden_block_count_x
      - .offset:         3156
        .size:           4
        .value_kind:     hidden_block_count_y
      - .offset:         3160
        .size:           4
        .value_kind:     hidden_block_count_z
      - .offset:         3164
        .size:           2
        .value_kind:     hidden_group_size_x
      - .offset:         3166
        .size:           2
        .value_kind:     hidden_group_size_y
      - .offset:         3168
        .size:           2
        .value_kind:     hidden_group_size_z
      - .offset:         3170
        .size:           2
        .value_kind:     hidden_remainder_x
      - .offset:         3172
        .size:           2
        .value_kind:     hidden_remainder_y
      - .offset:         3174
        .size:           2
        .value_kind:     hidden_remainder_z
      - .offset:         3192
        .size:           8
        .value_kind:     hidden_global_offset_x
      - .offset:         3200
        .size:           8
        .value_kind:     hidden_global_offset_y
      - .offset:         3208
        .size:           8
        .value_kind:     hidden_global_offset_z
      - .offset:         3216
        .size:           2
        .value_kind:     hidden_grid_dims
    .group_segment_fixed_size: 0
    .kernarg_segment_align: 8
    .kernarg_segment_size: 3408
    .language:       OpenCL C
    .language_version:
      - 2
      - 0
    .max_flat_workgroup_size: 512
    .name:           _ZN2at6native12_GLOBAL__N_125multi_tensor_apply_kernelINS1_18TensorListMetadataILi2EEENS1_11CopyFunctorIadLi2ELi1ELi1EEEJNS0_4CopyIadEEEEEvT_T0_DpT1_
    .private_segment_fixed_size: 0
    .sgpr_count:     22
    .sgpr_spill_count: 0
    .symbol:         _ZN2at6native12_GLOBAL__N_125multi_tensor_apply_kernelINS1_18TensorListMetadataILi2EEENS1_11CopyFunctorIadLi2ELi1ELi1EEEJNS0_4CopyIadEEEEEvT_T0_DpT1_.kd
    .uniform_work_group_size: 1
    .uses_dynamic_stack: false
    .vgpr_count:     36
    .vgpr_spill_count: 0
    .wavefront_size: 32
    .workgroup_processor_mode: 1
  - .args:
      - .offset:         0
        .size:           3144
        .value_kind:     by_value
      - .offset:         3144
        .size:           1
        .value_kind:     by_value
      - .offset:         3145
        .size:           1
        .value_kind:     by_value
      - .offset:         3152
        .size:           4
        .value_kind:     hidden_block_count_x
      - .offset:         3156
        .size:           4
        .value_kind:     hidden_block_count_y
      - .offset:         3160
        .size:           4
        .value_kind:     hidden_block_count_z
      - .offset:         3164
        .size:           2
        .value_kind:     hidden_group_size_x
      - .offset:         3166
        .size:           2
        .value_kind:     hidden_group_size_y
      - .offset:         3168
        .size:           2
        .value_kind:     hidden_group_size_z
      - .offset:         3170
        .size:           2
        .value_kind:     hidden_remainder_x
      - .offset:         3172
        .size:           2
        .value_kind:     hidden_remainder_y
      - .offset:         3174
        .size:           2
        .value_kind:     hidden_remainder_z
      - .offset:         3192
        .size:           8
        .value_kind:     hidden_global_offset_x
      - .offset:         3200
        .size:           8
        .value_kind:     hidden_global_offset_y
      - .offset:         3208
        .size:           8
        .value_kind:     hidden_global_offset_z
      - .offset:         3216
        .size:           2
        .value_kind:     hidden_grid_dims
    .group_segment_fixed_size: 0
    .kernarg_segment_align: 8
    .kernarg_segment_size: 3408
    .language:       OpenCL C
    .language_version:
      - 2
      - 0
    .max_flat_workgroup_size: 512
    .name:           _ZN2at6native12_GLOBAL__N_125multi_tensor_apply_kernelINS1_18TensorListMetadataILi2EEENS1_11CopyFunctorIafLi2ELi1ELi1EEEJNS0_4CopyIafEEEEEvT_T0_DpT1_
    .private_segment_fixed_size: 0
    .sgpr_count:     22
    .sgpr_spill_count: 0
    .symbol:         _ZN2at6native12_GLOBAL__N_125multi_tensor_apply_kernelINS1_18TensorListMetadataILi2EEENS1_11CopyFunctorIafLi2ELi1ELi1EEEJNS0_4CopyIafEEEEEvT_T0_DpT1_.kd
    .uniform_work_group_size: 1
    .uses_dynamic_stack: false
    .vgpr_count:     33
    .vgpr_spill_count: 0
    .wavefront_size: 32
    .workgroup_processor_mode: 1
  - .args:
      - .offset:         0
        .size:           3144
        .value_kind:     by_value
      - .offset:         3144
        .size:           1
        .value_kind:     by_value
      - .offset:         3145
        .size:           1
        .value_kind:     by_value
      - .offset:         3152
        .size:           4
        .value_kind:     hidden_block_count_x
      - .offset:         3156
        .size:           4
        .value_kind:     hidden_block_count_y
      - .offset:         3160
        .size:           4
        .value_kind:     hidden_block_count_z
      - .offset:         3164
        .size:           2
        .value_kind:     hidden_group_size_x
      - .offset:         3166
        .size:           2
        .value_kind:     hidden_group_size_y
      - .offset:         3168
        .size:           2
        .value_kind:     hidden_group_size_z
      - .offset:         3170
        .size:           2
        .value_kind:     hidden_remainder_x
      - .offset:         3172
        .size:           2
        .value_kind:     hidden_remainder_y
      - .offset:         3174
        .size:           2
        .value_kind:     hidden_remainder_z
      - .offset:         3192
        .size:           8
        .value_kind:     hidden_global_offset_x
      - .offset:         3200
        .size:           8
        .value_kind:     hidden_global_offset_y
      - .offset:         3208
        .size:           8
        .value_kind:     hidden_global_offset_z
      - .offset:         3216
        .size:           2
        .value_kind:     hidden_grid_dims
    .group_segment_fixed_size: 0
    .kernarg_segment_align: 8
    .kernarg_segment_size: 3408
    .language:       OpenCL C
    .language_version:
      - 2
      - 0
    .max_flat_workgroup_size: 512
    .name:           _ZN2at6native12_GLOBAL__N_125multi_tensor_apply_kernelINS1_18TensorListMetadataILi2EEENS1_11CopyFunctorIaN3c107complexIdEELi2ELi1ELi1EEEJNS0_4CopyIaS8_EEEEEvT_T0_DpT1_
    .private_segment_fixed_size: 0
    .sgpr_count:     22
    .sgpr_spill_count: 0
    .symbol:         _ZN2at6native12_GLOBAL__N_125multi_tensor_apply_kernelINS1_18TensorListMetadataILi2EEENS1_11CopyFunctorIaN3c107complexIdEELi2ELi1ELi1EEEJNS0_4CopyIaS8_EEEEEvT_T0_DpT1_.kd
    .uniform_work_group_size: 1
    .uses_dynamic_stack: false
    .vgpr_count:     36
    .vgpr_spill_count: 0
    .wavefront_size: 32
    .workgroup_processor_mode: 1
  - .args:
      - .offset:         0
        .size:           3144
        .value_kind:     by_value
      - .offset:         3144
        .size:           1
        .value_kind:     by_value
      - .offset:         3145
        .size:           1
        .value_kind:     by_value
      - .offset:         3152
        .size:           4
        .value_kind:     hidden_block_count_x
      - .offset:         3156
        .size:           4
        .value_kind:     hidden_block_count_y
      - .offset:         3160
        .size:           4
        .value_kind:     hidden_block_count_z
      - .offset:         3164
        .size:           2
        .value_kind:     hidden_group_size_x
      - .offset:         3166
        .size:           2
        .value_kind:     hidden_group_size_y
      - .offset:         3168
        .size:           2
        .value_kind:     hidden_group_size_z
      - .offset:         3170
        .size:           2
        .value_kind:     hidden_remainder_x
      - .offset:         3172
        .size:           2
        .value_kind:     hidden_remainder_y
      - .offset:         3174
        .size:           2
        .value_kind:     hidden_remainder_z
      - .offset:         3192
        .size:           8
        .value_kind:     hidden_global_offset_x
      - .offset:         3200
        .size:           8
        .value_kind:     hidden_global_offset_y
      - .offset:         3208
        .size:           8
        .value_kind:     hidden_global_offset_z
      - .offset:         3216
        .size:           2
        .value_kind:     hidden_grid_dims
    .group_segment_fixed_size: 0
    .kernarg_segment_align: 8
    .kernarg_segment_size: 3408
    .language:       OpenCL C
    .language_version:
      - 2
      - 0
    .max_flat_workgroup_size: 512
    .name:           _ZN2at6native12_GLOBAL__N_125multi_tensor_apply_kernelINS1_18TensorListMetadataILi2EEENS1_11CopyFunctorIaN3c107complexIfEELi2ELi1ELi1EEEJNS0_4CopyIaS8_EEEEEvT_T0_DpT1_
    .private_segment_fixed_size: 0
    .sgpr_count:     22
    .sgpr_spill_count: 0
    .symbol:         _ZN2at6native12_GLOBAL__N_125multi_tensor_apply_kernelINS1_18TensorListMetadataILi2EEENS1_11CopyFunctorIaN3c107complexIfEELi2ELi1ELi1EEEJNS0_4CopyIaS8_EEEEEvT_T0_DpT1_.kd
    .uniform_work_group_size: 1
    .uses_dynamic_stack: false
    .vgpr_count:     33
    .vgpr_spill_count: 0
    .wavefront_size: 32
    .workgroup_processor_mode: 1
  - .args:
      - .offset:         0
        .size:           3144
        .value_kind:     by_value
      - .offset:         3144
        .size:           1
        .value_kind:     by_value
      - .offset:         3145
        .size:           1
        .value_kind:     by_value
      - .offset:         3152
        .size:           4
        .value_kind:     hidden_block_count_x
      - .offset:         3156
        .size:           4
        .value_kind:     hidden_block_count_y
      - .offset:         3160
        .size:           4
        .value_kind:     hidden_block_count_z
      - .offset:         3164
        .size:           2
        .value_kind:     hidden_group_size_x
      - .offset:         3166
        .size:           2
        .value_kind:     hidden_group_size_y
      - .offset:         3168
        .size:           2
        .value_kind:     hidden_group_size_z
      - .offset:         3170
        .size:           2
        .value_kind:     hidden_remainder_x
      - .offset:         3172
        .size:           2
        .value_kind:     hidden_remainder_y
      - .offset:         3174
        .size:           2
        .value_kind:     hidden_remainder_z
      - .offset:         3192
        .size:           8
        .value_kind:     hidden_global_offset_x
      - .offset:         3200
        .size:           8
        .value_kind:     hidden_global_offset_y
      - .offset:         3208
        .size:           8
        .value_kind:     hidden_global_offset_z
      - .offset:         3216
        .size:           2
        .value_kind:     hidden_grid_dims
    .group_segment_fixed_size: 0
    .kernarg_segment_align: 8
    .kernarg_segment_size: 3408
    .language:       OpenCL C
    .language_version:
      - 2
      - 0
    .max_flat_workgroup_size: 512
    .name:           _ZN2at6native12_GLOBAL__N_125multi_tensor_apply_kernelINS1_18TensorListMetadataILi2EEENS1_11CopyFunctorIaN3c104HalfELi2ELi1ELi1EEEJNS0_4CopyIaS7_EEEEEvT_T0_DpT1_
    .private_segment_fixed_size: 0
    .sgpr_count:     22
    .sgpr_spill_count: 0
    .symbol:         _ZN2at6native12_GLOBAL__N_125multi_tensor_apply_kernelINS1_18TensorListMetadataILi2EEENS1_11CopyFunctorIaN3c104HalfELi2ELi1ELi1EEEJNS0_4CopyIaS7_EEEEEvT_T0_DpT1_.kd
    .uniform_work_group_size: 1
    .uses_dynamic_stack: false
    .vgpr_count:     33
    .vgpr_spill_count: 0
    .wavefront_size: 32
    .workgroup_processor_mode: 1
  - .args:
      - .offset:         0
        .size:           3144
        .value_kind:     by_value
      - .offset:         3144
        .size:           1
        .value_kind:     by_value
      - .offset:         3145
        .size:           1
        .value_kind:     by_value
      - .offset:         3152
        .size:           4
        .value_kind:     hidden_block_count_x
      - .offset:         3156
        .size:           4
        .value_kind:     hidden_block_count_y
      - .offset:         3160
        .size:           4
        .value_kind:     hidden_block_count_z
      - .offset:         3164
        .size:           2
        .value_kind:     hidden_group_size_x
      - .offset:         3166
        .size:           2
        .value_kind:     hidden_group_size_y
      - .offset:         3168
        .size:           2
        .value_kind:     hidden_group_size_z
      - .offset:         3170
        .size:           2
        .value_kind:     hidden_remainder_x
      - .offset:         3172
        .size:           2
        .value_kind:     hidden_remainder_y
      - .offset:         3174
        .size:           2
        .value_kind:     hidden_remainder_z
      - .offset:         3192
        .size:           8
        .value_kind:     hidden_global_offset_x
      - .offset:         3200
        .size:           8
        .value_kind:     hidden_global_offset_y
      - .offset:         3208
        .size:           8
        .value_kind:     hidden_global_offset_z
      - .offset:         3216
        .size:           2
        .value_kind:     hidden_grid_dims
    .group_segment_fixed_size: 0
    .kernarg_segment_align: 8
    .kernarg_segment_size: 3408
    .language:       OpenCL C
    .language_version:
      - 2
      - 0
    .max_flat_workgroup_size: 512
    .name:           _ZN2at6native12_GLOBAL__N_125multi_tensor_apply_kernelINS1_18TensorListMetadataILi2EEENS1_11CopyFunctorIaN3c108BFloat16ELi2ELi1ELi1EEEJNS0_4CopyIaS7_EEEEEvT_T0_DpT1_
    .private_segment_fixed_size: 0
    .sgpr_count:     22
    .sgpr_spill_count: 0
    .symbol:         _ZN2at6native12_GLOBAL__N_125multi_tensor_apply_kernelINS1_18TensorListMetadataILi2EEENS1_11CopyFunctorIaN3c108BFloat16ELi2ELi1ELi1EEEJNS0_4CopyIaS7_EEEEEvT_T0_DpT1_.kd
    .uniform_work_group_size: 1
    .uses_dynamic_stack: false
    .vgpr_count:     33
    .vgpr_spill_count: 0
    .wavefront_size: 32
    .workgroup_processor_mode: 1
  - .args:
      - .offset:         0
        .size:           3144
        .value_kind:     by_value
      - .offset:         3144
        .size:           1
        .value_kind:     by_value
      - .offset:         3145
        .size:           1
        .value_kind:     by_value
      - .offset:         3152
        .size:           4
        .value_kind:     hidden_block_count_x
      - .offset:         3156
        .size:           4
        .value_kind:     hidden_block_count_y
      - .offset:         3160
        .size:           4
        .value_kind:     hidden_block_count_z
      - .offset:         3164
        .size:           2
        .value_kind:     hidden_group_size_x
      - .offset:         3166
        .size:           2
        .value_kind:     hidden_group_size_y
      - .offset:         3168
        .size:           2
        .value_kind:     hidden_group_size_z
      - .offset:         3170
        .size:           2
        .value_kind:     hidden_remainder_x
      - .offset:         3172
        .size:           2
        .value_kind:     hidden_remainder_y
      - .offset:         3174
        .size:           2
        .value_kind:     hidden_remainder_z
      - .offset:         3192
        .size:           8
        .value_kind:     hidden_global_offset_x
      - .offset:         3200
        .size:           8
        .value_kind:     hidden_global_offset_y
      - .offset:         3208
        .size:           8
        .value_kind:     hidden_global_offset_z
      - .offset:         3216
        .size:           2
        .value_kind:     hidden_grid_dims
    .group_segment_fixed_size: 0
    .kernarg_segment_align: 8
    .kernarg_segment_size: 3408
    .language:       OpenCL C
    .language_version:
      - 2
      - 0
    .max_flat_workgroup_size: 512
    .name:           _ZN2at6native12_GLOBAL__N_125multi_tensor_apply_kernelINS1_18TensorListMetadataILi2EEENS1_11CopyFunctorIabLi2ELi1ELi1EEEJNS0_4CopyIabEEEEEvT_T0_DpT1_
    .private_segment_fixed_size: 0
    .sgpr_count:     20
    .sgpr_spill_count: 0
    .symbol:         _ZN2at6native12_GLOBAL__N_125multi_tensor_apply_kernelINS1_18TensorListMetadataILi2EEENS1_11CopyFunctorIabLi2ELi1ELi1EEEJNS0_4CopyIabEEEEEvT_T0_DpT1_.kd
    .uniform_work_group_size: 1
    .uses_dynamic_stack: false
    .vgpr_count:     36
    .vgpr_spill_count: 0
    .wavefront_size: 32
    .workgroup_processor_mode: 1
  - .args:
      - .offset:         0
        .size:           3144
        .value_kind:     by_value
      - .offset:         3144
        .size:           1
        .value_kind:     by_value
      - .offset:         3145
        .size:           1
        .value_kind:     by_value
      - .offset:         3152
        .size:           4
        .value_kind:     hidden_block_count_x
      - .offset:         3156
        .size:           4
        .value_kind:     hidden_block_count_y
      - .offset:         3160
        .size:           4
        .value_kind:     hidden_block_count_z
      - .offset:         3164
        .size:           2
        .value_kind:     hidden_group_size_x
      - .offset:         3166
        .size:           2
        .value_kind:     hidden_group_size_y
      - .offset:         3168
        .size:           2
        .value_kind:     hidden_group_size_z
      - .offset:         3170
        .size:           2
        .value_kind:     hidden_remainder_x
      - .offset:         3172
        .size:           2
        .value_kind:     hidden_remainder_y
      - .offset:         3174
        .size:           2
        .value_kind:     hidden_remainder_z
      - .offset:         3192
        .size:           8
        .value_kind:     hidden_global_offset_x
      - .offset:         3200
        .size:           8
        .value_kind:     hidden_global_offset_y
      - .offset:         3208
        .size:           8
        .value_kind:     hidden_global_offset_z
      - .offset:         3216
        .size:           2
        .value_kind:     hidden_grid_dims
    .group_segment_fixed_size: 0
    .kernarg_segment_align: 8
    .kernarg_segment_size: 3408
    .language:       OpenCL C
    .language_version:
      - 2
      - 0
    .max_flat_workgroup_size: 512
    .name:           _ZN2at6native12_GLOBAL__N_125multi_tensor_apply_kernelINS1_18TensorListMetadataILi2EEENS1_11CopyFunctorIaN3c1013Float8_e4m3fnELi2ELi1ELi1EEEJNS0_4CopyIaS7_EEEEEvT_T0_DpT1_
    .private_segment_fixed_size: 0
    .sgpr_count:     21
    .sgpr_spill_count: 0
    .symbol:         _ZN2at6native12_GLOBAL__N_125multi_tensor_apply_kernelINS1_18TensorListMetadataILi2EEENS1_11CopyFunctorIaN3c1013Float8_e4m3fnELi2ELi1ELi1EEEJNS0_4CopyIaS7_EEEEEvT_T0_DpT1_.kd
    .uniform_work_group_size: 1
    .uses_dynamic_stack: false
    .vgpr_count:     38
    .vgpr_spill_count: 0
    .wavefront_size: 32
    .workgroup_processor_mode: 1
  - .args:
      - .offset:         0
        .size:           3144
        .value_kind:     by_value
      - .offset:         3144
        .size:           1
        .value_kind:     by_value
      - .offset:         3145
        .size:           1
        .value_kind:     by_value
      - .offset:         3152
        .size:           4
        .value_kind:     hidden_block_count_x
      - .offset:         3156
        .size:           4
        .value_kind:     hidden_block_count_y
      - .offset:         3160
        .size:           4
        .value_kind:     hidden_block_count_z
      - .offset:         3164
        .size:           2
        .value_kind:     hidden_group_size_x
      - .offset:         3166
        .size:           2
        .value_kind:     hidden_group_size_y
      - .offset:         3168
        .size:           2
        .value_kind:     hidden_group_size_z
      - .offset:         3170
        .size:           2
        .value_kind:     hidden_remainder_x
      - .offset:         3172
        .size:           2
        .value_kind:     hidden_remainder_y
      - .offset:         3174
        .size:           2
        .value_kind:     hidden_remainder_z
      - .offset:         3192
        .size:           8
        .value_kind:     hidden_global_offset_x
      - .offset:         3200
        .size:           8
        .value_kind:     hidden_global_offset_y
      - .offset:         3208
        .size:           8
        .value_kind:     hidden_global_offset_z
      - .offset:         3216
        .size:           2
        .value_kind:     hidden_grid_dims
    .group_segment_fixed_size: 0
    .kernarg_segment_align: 8
    .kernarg_segment_size: 3408
    .language:       OpenCL C
    .language_version:
      - 2
      - 0
    .max_flat_workgroup_size: 512
    .name:           _ZN2at6native12_GLOBAL__N_125multi_tensor_apply_kernelINS1_18TensorListMetadataILi2EEENS1_11CopyFunctorIaN3c1015Float8_e4m3fnuzELi2ELi1ELi1EEEJNS0_4CopyIaS7_EEEEEvT_T0_DpT1_
    .private_segment_fixed_size: 0
    .sgpr_count:     22
    .sgpr_spill_count: 0
    .symbol:         _ZN2at6native12_GLOBAL__N_125multi_tensor_apply_kernelINS1_18TensorListMetadataILi2EEENS1_11CopyFunctorIaN3c1015Float8_e4m3fnuzELi2ELi1ELi1EEEJNS0_4CopyIaS7_EEEEEvT_T0_DpT1_.kd
    .uniform_work_group_size: 1
    .uses_dynamic_stack: false
    .vgpr_count:     43
    .vgpr_spill_count: 0
    .wavefront_size: 32
    .workgroup_processor_mode: 1
  - .args:
      - .offset:         0
        .size:           3144
        .value_kind:     by_value
      - .offset:         3144
        .size:           1
        .value_kind:     by_value
      - .offset:         3145
        .size:           1
        .value_kind:     by_value
      - .offset:         3152
        .size:           4
        .value_kind:     hidden_block_count_x
      - .offset:         3156
        .size:           4
        .value_kind:     hidden_block_count_y
      - .offset:         3160
        .size:           4
        .value_kind:     hidden_block_count_z
      - .offset:         3164
        .size:           2
        .value_kind:     hidden_group_size_x
      - .offset:         3166
        .size:           2
        .value_kind:     hidden_group_size_y
      - .offset:         3168
        .size:           2
        .value_kind:     hidden_group_size_z
      - .offset:         3170
        .size:           2
        .value_kind:     hidden_remainder_x
      - .offset:         3172
        .size:           2
        .value_kind:     hidden_remainder_y
      - .offset:         3174
        .size:           2
        .value_kind:     hidden_remainder_z
      - .offset:         3192
        .size:           8
        .value_kind:     hidden_global_offset_x
      - .offset:         3200
        .size:           8
        .value_kind:     hidden_global_offset_y
      - .offset:         3208
        .size:           8
        .value_kind:     hidden_global_offset_z
      - .offset:         3216
        .size:           2
        .value_kind:     hidden_grid_dims
    .group_segment_fixed_size: 0
    .kernarg_segment_align: 8
    .kernarg_segment_size: 3408
    .language:       OpenCL C
    .language_version:
      - 2
      - 0
    .max_flat_workgroup_size: 512
    .name:           _ZN2at6native12_GLOBAL__N_125multi_tensor_apply_kernelINS1_18TensorListMetadataILi2EEENS1_11CopyFunctorIaN3c1011Float8_e5m2ELi2ELi1ELi1EEEJNS0_4CopyIaS7_EEEEEvT_T0_DpT1_
    .private_segment_fixed_size: 0
    .sgpr_count:     22
    .sgpr_spill_count: 0
    .symbol:         _ZN2at6native12_GLOBAL__N_125multi_tensor_apply_kernelINS1_18TensorListMetadataILi2EEENS1_11CopyFunctorIaN3c1011Float8_e5m2ELi2ELi1ELi1EEEJNS0_4CopyIaS7_EEEEEvT_T0_DpT1_.kd
    .uniform_work_group_size: 1
    .uses_dynamic_stack: false
    .vgpr_count:     37
    .vgpr_spill_count: 0
    .wavefront_size: 32
    .workgroup_processor_mode: 1
  - .args:
      - .offset:         0
        .size:           3144
        .value_kind:     by_value
      - .offset:         3144
        .size:           1
        .value_kind:     by_value
      - .offset:         3145
        .size:           1
        .value_kind:     by_value
      - .offset:         3152
        .size:           4
        .value_kind:     hidden_block_count_x
      - .offset:         3156
        .size:           4
        .value_kind:     hidden_block_count_y
      - .offset:         3160
        .size:           4
        .value_kind:     hidden_block_count_z
      - .offset:         3164
        .size:           2
        .value_kind:     hidden_group_size_x
      - .offset:         3166
        .size:           2
        .value_kind:     hidden_group_size_y
      - .offset:         3168
        .size:           2
        .value_kind:     hidden_group_size_z
      - .offset:         3170
        .size:           2
        .value_kind:     hidden_remainder_x
      - .offset:         3172
        .size:           2
        .value_kind:     hidden_remainder_y
      - .offset:         3174
        .size:           2
        .value_kind:     hidden_remainder_z
      - .offset:         3192
        .size:           8
        .value_kind:     hidden_global_offset_x
      - .offset:         3200
        .size:           8
        .value_kind:     hidden_global_offset_y
      - .offset:         3208
        .size:           8
        .value_kind:     hidden_global_offset_z
      - .offset:         3216
        .size:           2
        .value_kind:     hidden_grid_dims
    .group_segment_fixed_size: 0
    .kernarg_segment_align: 8
    .kernarg_segment_size: 3408
    .language:       OpenCL C
    .language_version:
      - 2
      - 0
    .max_flat_workgroup_size: 512
    .name:           _ZN2at6native12_GLOBAL__N_125multi_tensor_apply_kernelINS1_18TensorListMetadataILi2EEENS1_11CopyFunctorIaN3c1015Float8_e5m2fnuzELi2ELi1ELi1EEEJNS0_4CopyIaS7_EEEEEvT_T0_DpT1_
    .private_segment_fixed_size: 0
    .sgpr_count:     22
    .sgpr_spill_count: 0
    .symbol:         _ZN2at6native12_GLOBAL__N_125multi_tensor_apply_kernelINS1_18TensorListMetadataILi2EEENS1_11CopyFunctorIaN3c1015Float8_e5m2fnuzELi2ELi1ELi1EEEJNS0_4CopyIaS7_EEEEEvT_T0_DpT1_.kd
    .uniform_work_group_size: 1
    .uses_dynamic_stack: false
    .vgpr_count:     43
    .vgpr_spill_count: 0
    .wavefront_size: 32
    .workgroup_processor_mode: 1
  - .args:
      - .offset:         0
        .size:           3144
        .value_kind:     by_value
      - .offset:         3144
        .size:           1
        .value_kind:     by_value
      - .offset:         3145
        .size:           1
        .value_kind:     by_value
      - .offset:         3152
        .size:           4
        .value_kind:     hidden_block_count_x
      - .offset:         3156
        .size:           4
        .value_kind:     hidden_block_count_y
      - .offset:         3160
        .size:           4
        .value_kind:     hidden_block_count_z
      - .offset:         3164
        .size:           2
        .value_kind:     hidden_group_size_x
      - .offset:         3166
        .size:           2
        .value_kind:     hidden_group_size_y
      - .offset:         3168
        .size:           2
        .value_kind:     hidden_group_size_z
      - .offset:         3170
        .size:           2
        .value_kind:     hidden_remainder_x
      - .offset:         3172
        .size:           2
        .value_kind:     hidden_remainder_y
      - .offset:         3174
        .size:           2
        .value_kind:     hidden_remainder_z
      - .offset:         3192
        .size:           8
        .value_kind:     hidden_global_offset_x
      - .offset:         3200
        .size:           8
        .value_kind:     hidden_global_offset_y
      - .offset:         3208
        .size:           8
        .value_kind:     hidden_global_offset_z
      - .offset:         3216
        .size:           2
        .value_kind:     hidden_grid_dims
    .group_segment_fixed_size: 0
    .kernarg_segment_align: 8
    .kernarg_segment_size: 3408
    .language:       OpenCL C
    .language_version:
      - 2
      - 0
    .max_flat_workgroup_size: 512
    .name:           _ZN2at6native12_GLOBAL__N_125multi_tensor_apply_kernelINS1_18TensorListMetadataILi2EEENS1_11CopyFunctorIihLi2ELi1ELi1EEEJNS0_4CopyIihEEEEEvT_T0_DpT1_
    .private_segment_fixed_size: 0
    .sgpr_count:     23
    .sgpr_spill_count: 0
    .symbol:         _ZN2at6native12_GLOBAL__N_125multi_tensor_apply_kernelINS1_18TensorListMetadataILi2EEENS1_11CopyFunctorIihLi2ELi1ELi1EEEJNS0_4CopyIihEEEEEvT_T0_DpT1_.kd
    .uniform_work_group_size: 1
    .uses_dynamic_stack: false
    .vgpr_count:     32
    .vgpr_spill_count: 0
    .wavefront_size: 32
    .workgroup_processor_mode: 1
  - .args:
      - .offset:         0
        .size:           3144
        .value_kind:     by_value
      - .offset:         3144
        .size:           1
        .value_kind:     by_value
      - .offset:         3145
        .size:           1
        .value_kind:     by_value
      - .offset:         3152
        .size:           4
        .value_kind:     hidden_block_count_x
      - .offset:         3156
        .size:           4
        .value_kind:     hidden_block_count_y
      - .offset:         3160
        .size:           4
        .value_kind:     hidden_block_count_z
      - .offset:         3164
        .size:           2
        .value_kind:     hidden_group_size_x
      - .offset:         3166
        .size:           2
        .value_kind:     hidden_group_size_y
      - .offset:         3168
        .size:           2
        .value_kind:     hidden_group_size_z
      - .offset:         3170
        .size:           2
        .value_kind:     hidden_remainder_x
      - .offset:         3172
        .size:           2
        .value_kind:     hidden_remainder_y
      - .offset:         3174
        .size:           2
        .value_kind:     hidden_remainder_z
      - .offset:         3192
        .size:           8
        .value_kind:     hidden_global_offset_x
      - .offset:         3200
        .size:           8
        .value_kind:     hidden_global_offset_y
      - .offset:         3208
        .size:           8
        .value_kind:     hidden_global_offset_z
      - .offset:         3216
        .size:           2
        .value_kind:     hidden_grid_dims
    .group_segment_fixed_size: 0
    .kernarg_segment_align: 8
    .kernarg_segment_size: 3408
    .language:       OpenCL C
    .language_version:
      - 2
      - 0
    .max_flat_workgroup_size: 512
    .name:           _ZN2at6native12_GLOBAL__N_125multi_tensor_apply_kernelINS1_18TensorListMetadataILi2EEENS1_11CopyFunctorIiaLi2ELi1ELi1EEEJNS0_4CopyIiaEEEEEvT_T0_DpT1_
    .private_segment_fixed_size: 0
    .sgpr_count:     23
    .sgpr_spill_count: 0
    .symbol:         _ZN2at6native12_GLOBAL__N_125multi_tensor_apply_kernelINS1_18TensorListMetadataILi2EEENS1_11CopyFunctorIiaLi2ELi1ELi1EEEJNS0_4CopyIiaEEEEEvT_T0_DpT1_.kd
    .uniform_work_group_size: 1
    .uses_dynamic_stack: false
    .vgpr_count:     32
    .vgpr_spill_count: 0
    .wavefront_size: 32
    .workgroup_processor_mode: 1
  - .args:
      - .offset:         0
        .size:           3144
        .value_kind:     by_value
      - .offset:         3144
        .size:           1
        .value_kind:     by_value
      - .offset:         3145
        .size:           1
        .value_kind:     by_value
      - .offset:         3152
        .size:           4
        .value_kind:     hidden_block_count_x
      - .offset:         3156
        .size:           4
        .value_kind:     hidden_block_count_y
      - .offset:         3160
        .size:           4
        .value_kind:     hidden_block_count_z
      - .offset:         3164
        .size:           2
        .value_kind:     hidden_group_size_x
      - .offset:         3166
        .size:           2
        .value_kind:     hidden_group_size_y
      - .offset:         3168
        .size:           2
        .value_kind:     hidden_group_size_z
      - .offset:         3170
        .size:           2
        .value_kind:     hidden_remainder_x
      - .offset:         3172
        .size:           2
        .value_kind:     hidden_remainder_y
      - .offset:         3174
        .size:           2
        .value_kind:     hidden_remainder_z
      - .offset:         3192
        .size:           8
        .value_kind:     hidden_global_offset_x
      - .offset:         3200
        .size:           8
        .value_kind:     hidden_global_offset_y
      - .offset:         3208
        .size:           8
        .value_kind:     hidden_global_offset_z
      - .offset:         3216
        .size:           2
        .value_kind:     hidden_grid_dims
    .group_segment_fixed_size: 0
    .kernarg_segment_align: 8
    .kernarg_segment_size: 3408
    .language:       OpenCL C
    .language_version:
      - 2
      - 0
    .max_flat_workgroup_size: 512
    .name:           _ZN2at6native12_GLOBAL__N_125multi_tensor_apply_kernelINS1_18TensorListMetadataILi2EEENS1_11CopyFunctorIilLi2ELi1ELi1EEEJNS0_4CopyIilEEEEEvT_T0_DpT1_
    .private_segment_fixed_size: 0
    .sgpr_count:     22
    .sgpr_spill_count: 0
    .symbol:         _ZN2at6native12_GLOBAL__N_125multi_tensor_apply_kernelINS1_18TensorListMetadataILi2EEENS1_11CopyFunctorIilLi2ELi1ELi1EEEJNS0_4CopyIilEEEEEvT_T0_DpT1_.kd
    .uniform_work_group_size: 1
    .uses_dynamic_stack: false
    .vgpr_count:     33
    .vgpr_spill_count: 0
    .wavefront_size: 32
    .workgroup_processor_mode: 1
  - .args:
      - .offset:         0
        .size:           3144
        .value_kind:     by_value
      - .offset:         3144
        .size:           1
        .value_kind:     by_value
      - .offset:         3145
        .size:           1
        .value_kind:     by_value
      - .offset:         3152
        .size:           4
        .value_kind:     hidden_block_count_x
      - .offset:         3156
        .size:           4
        .value_kind:     hidden_block_count_y
      - .offset:         3160
        .size:           4
        .value_kind:     hidden_block_count_z
      - .offset:         3164
        .size:           2
        .value_kind:     hidden_group_size_x
      - .offset:         3166
        .size:           2
        .value_kind:     hidden_group_size_y
      - .offset:         3168
        .size:           2
        .value_kind:     hidden_group_size_z
      - .offset:         3170
        .size:           2
        .value_kind:     hidden_remainder_x
      - .offset:         3172
        .size:           2
        .value_kind:     hidden_remainder_y
      - .offset:         3174
        .size:           2
        .value_kind:     hidden_remainder_z
      - .offset:         3192
        .size:           8
        .value_kind:     hidden_global_offset_x
      - .offset:         3200
        .size:           8
        .value_kind:     hidden_global_offset_y
      - .offset:         3208
        .size:           8
        .value_kind:     hidden_global_offset_z
      - .offset:         3216
        .size:           2
        .value_kind:     hidden_grid_dims
    .group_segment_fixed_size: 0
    .kernarg_segment_align: 8
    .kernarg_segment_size: 3408
    .language:       OpenCL C
    .language_version:
      - 2
      - 0
    .max_flat_workgroup_size: 512
    .name:           _ZN2at6native12_GLOBAL__N_125multi_tensor_apply_kernelINS1_18TensorListMetadataILi2EEENS1_11CopyFunctorIisLi2ELi1ELi1EEEJNS0_4CopyIisEEEEEvT_T0_DpT1_
    .private_segment_fixed_size: 0
    .sgpr_count:     22
    .sgpr_spill_count: 0
    .symbol:         _ZN2at6native12_GLOBAL__N_125multi_tensor_apply_kernelINS1_18TensorListMetadataILi2EEENS1_11CopyFunctorIisLi2ELi1ELi1EEEJNS0_4CopyIisEEEEEvT_T0_DpT1_.kd
    .uniform_work_group_size: 1
    .uses_dynamic_stack: false
    .vgpr_count:     29
    .vgpr_spill_count: 0
    .wavefront_size: 32
    .workgroup_processor_mode: 1
  - .args:
      - .offset:         0
        .size:           3144
        .value_kind:     by_value
      - .offset:         3144
        .size:           1
        .value_kind:     by_value
      - .offset:         3145
        .size:           1
        .value_kind:     by_value
      - .offset:         3152
        .size:           4
        .value_kind:     hidden_block_count_x
      - .offset:         3156
        .size:           4
        .value_kind:     hidden_block_count_y
      - .offset:         3160
        .size:           4
        .value_kind:     hidden_block_count_z
      - .offset:         3164
        .size:           2
        .value_kind:     hidden_group_size_x
      - .offset:         3166
        .size:           2
        .value_kind:     hidden_group_size_y
      - .offset:         3168
        .size:           2
        .value_kind:     hidden_group_size_z
      - .offset:         3170
        .size:           2
        .value_kind:     hidden_remainder_x
      - .offset:         3172
        .size:           2
        .value_kind:     hidden_remainder_y
      - .offset:         3174
        .size:           2
        .value_kind:     hidden_remainder_z
      - .offset:         3192
        .size:           8
        .value_kind:     hidden_global_offset_x
      - .offset:         3200
        .size:           8
        .value_kind:     hidden_global_offset_y
      - .offset:         3208
        .size:           8
        .value_kind:     hidden_global_offset_z
      - .offset:         3216
        .size:           2
        .value_kind:     hidden_grid_dims
    .group_segment_fixed_size: 0
    .kernarg_segment_align: 8
    .kernarg_segment_size: 3408
    .language:       OpenCL C
    .language_version:
      - 2
      - 0
    .max_flat_workgroup_size: 512
    .name:           _ZN2at6native12_GLOBAL__N_125multi_tensor_apply_kernelINS1_18TensorListMetadataILi2EEENS1_14UnaryOpFunctorIiLi2ELi1ELi1EEEJNS0_4CopyIiiEEEEEvT_T0_DpT1_
    .private_segment_fixed_size: 0
    .sgpr_count:     24
    .sgpr_spill_count: 0
    .symbol:         _ZN2at6native12_GLOBAL__N_125multi_tensor_apply_kernelINS1_18TensorListMetadataILi2EEENS1_14UnaryOpFunctorIiLi2ELi1ELi1EEEJNS0_4CopyIiiEEEEEvT_T0_DpT1_.kd
    .uniform_work_group_size: 1
    .uses_dynamic_stack: false
    .vgpr_count:     29
    .vgpr_spill_count: 0
    .wavefront_size: 32
    .workgroup_processor_mode: 1
  - .args:
      - .offset:         0
        .size:           3144
        .value_kind:     by_value
      - .offset:         3144
        .size:           1
        .value_kind:     by_value
      - .offset:         3145
        .size:           1
        .value_kind:     by_value
      - .offset:         3152
        .size:           4
        .value_kind:     hidden_block_count_x
      - .offset:         3156
        .size:           4
        .value_kind:     hidden_block_count_y
      - .offset:         3160
        .size:           4
        .value_kind:     hidden_block_count_z
      - .offset:         3164
        .size:           2
        .value_kind:     hidden_group_size_x
      - .offset:         3166
        .size:           2
        .value_kind:     hidden_group_size_y
      - .offset:         3168
        .size:           2
        .value_kind:     hidden_group_size_z
      - .offset:         3170
        .size:           2
        .value_kind:     hidden_remainder_x
      - .offset:         3172
        .size:           2
        .value_kind:     hidden_remainder_y
      - .offset:         3174
        .size:           2
        .value_kind:     hidden_remainder_z
      - .offset:         3192
        .size:           8
        .value_kind:     hidden_global_offset_x
      - .offset:         3200
        .size:           8
        .value_kind:     hidden_global_offset_y
      - .offset:         3208
        .size:           8
        .value_kind:     hidden_global_offset_z
      - .offset:         3216
        .size:           2
        .value_kind:     hidden_grid_dims
    .group_segment_fixed_size: 0
    .kernarg_segment_align: 8
    .kernarg_segment_size: 3408
    .language:       OpenCL C
    .language_version:
      - 2
      - 0
    .max_flat_workgroup_size: 512
    .name:           _ZN2at6native12_GLOBAL__N_125multi_tensor_apply_kernelINS1_18TensorListMetadataILi2EEENS1_11CopyFunctorIidLi2ELi1ELi1EEEJNS0_4CopyIidEEEEEvT_T0_DpT1_
    .private_segment_fixed_size: 0
    .sgpr_count:     22
    .sgpr_spill_count: 0
    .symbol:         _ZN2at6native12_GLOBAL__N_125multi_tensor_apply_kernelINS1_18TensorListMetadataILi2EEENS1_11CopyFunctorIidLi2ELi1ELi1EEEJNS0_4CopyIidEEEEEvT_T0_DpT1_.kd
    .uniform_work_group_size: 1
    .uses_dynamic_stack: false
    .vgpr_count:     33
    .vgpr_spill_count: 0
    .wavefront_size: 32
    .workgroup_processor_mode: 1
  - .args:
      - .offset:         0
        .size:           3144
        .value_kind:     by_value
      - .offset:         3144
        .size:           1
        .value_kind:     by_value
      - .offset:         3145
        .size:           1
        .value_kind:     by_value
      - .offset:         3152
        .size:           4
        .value_kind:     hidden_block_count_x
      - .offset:         3156
        .size:           4
        .value_kind:     hidden_block_count_y
      - .offset:         3160
        .size:           4
        .value_kind:     hidden_block_count_z
      - .offset:         3164
        .size:           2
        .value_kind:     hidden_group_size_x
      - .offset:         3166
        .size:           2
        .value_kind:     hidden_group_size_y
      - .offset:         3168
        .size:           2
        .value_kind:     hidden_group_size_z
      - .offset:         3170
        .size:           2
        .value_kind:     hidden_remainder_x
      - .offset:         3172
        .size:           2
        .value_kind:     hidden_remainder_y
      - .offset:         3174
        .size:           2
        .value_kind:     hidden_remainder_z
      - .offset:         3192
        .size:           8
        .value_kind:     hidden_global_offset_x
      - .offset:         3200
        .size:           8
        .value_kind:     hidden_global_offset_y
      - .offset:         3208
        .size:           8
        .value_kind:     hidden_global_offset_z
      - .offset:         3216
        .size:           2
        .value_kind:     hidden_grid_dims
    .group_segment_fixed_size: 0
    .kernarg_segment_align: 8
    .kernarg_segment_size: 3408
    .language:       OpenCL C
    .language_version:
      - 2
      - 0
    .max_flat_workgroup_size: 512
    .name:           _ZN2at6native12_GLOBAL__N_125multi_tensor_apply_kernelINS1_18TensorListMetadataILi2EEENS1_11CopyFunctorIifLi2ELi1ELi1EEEJNS0_4CopyIifEEEEEvT_T0_DpT1_
    .private_segment_fixed_size: 0
    .sgpr_count:     24
    .sgpr_spill_count: 0
    .symbol:         _ZN2at6native12_GLOBAL__N_125multi_tensor_apply_kernelINS1_18TensorListMetadataILi2EEENS1_11CopyFunctorIifLi2ELi1ELi1EEEJNS0_4CopyIifEEEEEvT_T0_DpT1_.kd
    .uniform_work_group_size: 1
    .uses_dynamic_stack: false
    .vgpr_count:     31
    .vgpr_spill_count: 0
    .wavefront_size: 32
    .workgroup_processor_mode: 1
  - .args:
      - .offset:         0
        .size:           3144
        .value_kind:     by_value
      - .offset:         3144
        .size:           1
        .value_kind:     by_value
      - .offset:         3145
        .size:           1
        .value_kind:     by_value
      - .offset:         3152
        .size:           4
        .value_kind:     hidden_block_count_x
      - .offset:         3156
        .size:           4
        .value_kind:     hidden_block_count_y
      - .offset:         3160
        .size:           4
        .value_kind:     hidden_block_count_z
      - .offset:         3164
        .size:           2
        .value_kind:     hidden_group_size_x
      - .offset:         3166
        .size:           2
        .value_kind:     hidden_group_size_y
      - .offset:         3168
        .size:           2
        .value_kind:     hidden_group_size_z
      - .offset:         3170
        .size:           2
        .value_kind:     hidden_remainder_x
      - .offset:         3172
        .size:           2
        .value_kind:     hidden_remainder_y
      - .offset:         3174
        .size:           2
        .value_kind:     hidden_remainder_z
      - .offset:         3192
        .size:           8
        .value_kind:     hidden_global_offset_x
      - .offset:         3200
        .size:           8
        .value_kind:     hidden_global_offset_y
      - .offset:         3208
        .size:           8
        .value_kind:     hidden_global_offset_z
      - .offset:         3216
        .size:           2
        .value_kind:     hidden_grid_dims
    .group_segment_fixed_size: 0
    .kernarg_segment_align: 8
    .kernarg_segment_size: 3408
    .language:       OpenCL C
    .language_version:
      - 2
      - 0
    .max_flat_workgroup_size: 512
    .name:           _ZN2at6native12_GLOBAL__N_125multi_tensor_apply_kernelINS1_18TensorListMetadataILi2EEENS1_11CopyFunctorIiN3c107complexIdEELi2ELi1ELi1EEEJNS0_4CopyIiS8_EEEEEvT_T0_DpT1_
    .private_segment_fixed_size: 0
    .sgpr_count:     22
    .sgpr_spill_count: 0
    .symbol:         _ZN2at6native12_GLOBAL__N_125multi_tensor_apply_kernelINS1_18TensorListMetadataILi2EEENS1_11CopyFunctorIiN3c107complexIdEELi2ELi1ELi1EEEJNS0_4CopyIiS8_EEEEEvT_T0_DpT1_.kd
    .uniform_work_group_size: 1
    .uses_dynamic_stack: false
    .vgpr_count:     33
    .vgpr_spill_count: 0
    .wavefront_size: 32
    .workgroup_processor_mode: 1
  - .args:
      - .offset:         0
        .size:           3144
        .value_kind:     by_value
      - .offset:         3144
        .size:           1
        .value_kind:     by_value
      - .offset:         3145
        .size:           1
        .value_kind:     by_value
      - .offset:         3152
        .size:           4
        .value_kind:     hidden_block_count_x
      - .offset:         3156
        .size:           4
        .value_kind:     hidden_block_count_y
      - .offset:         3160
        .size:           4
        .value_kind:     hidden_block_count_z
      - .offset:         3164
        .size:           2
        .value_kind:     hidden_group_size_x
      - .offset:         3166
        .size:           2
        .value_kind:     hidden_group_size_y
      - .offset:         3168
        .size:           2
        .value_kind:     hidden_group_size_z
      - .offset:         3170
        .size:           2
        .value_kind:     hidden_remainder_x
      - .offset:         3172
        .size:           2
        .value_kind:     hidden_remainder_y
      - .offset:         3174
        .size:           2
        .value_kind:     hidden_remainder_z
      - .offset:         3192
        .size:           8
        .value_kind:     hidden_global_offset_x
      - .offset:         3200
        .size:           8
        .value_kind:     hidden_global_offset_y
      - .offset:         3208
        .size:           8
        .value_kind:     hidden_global_offset_z
      - .offset:         3216
        .size:           2
        .value_kind:     hidden_grid_dims
    .group_segment_fixed_size: 0
    .kernarg_segment_align: 8
    .kernarg_segment_size: 3408
    .language:       OpenCL C
    .language_version:
      - 2
      - 0
    .max_flat_workgroup_size: 512
    .name:           _ZN2at6native12_GLOBAL__N_125multi_tensor_apply_kernelINS1_18TensorListMetadataILi2EEENS1_11CopyFunctorIiN3c107complexIfEELi2ELi1ELi1EEEJNS0_4CopyIiS8_EEEEEvT_T0_DpT1_
    .private_segment_fixed_size: 0
    .sgpr_count:     22
    .sgpr_spill_count: 0
    .symbol:         _ZN2at6native12_GLOBAL__N_125multi_tensor_apply_kernelINS1_18TensorListMetadataILi2EEENS1_11CopyFunctorIiN3c107complexIfEELi2ELi1ELi1EEEJNS0_4CopyIiS8_EEEEEvT_T0_DpT1_.kd
    .uniform_work_group_size: 1
    .uses_dynamic_stack: false
    .vgpr_count:     31
    .vgpr_spill_count: 0
    .wavefront_size: 32
    .workgroup_processor_mode: 1
  - .args:
      - .offset:         0
        .size:           3144
        .value_kind:     by_value
      - .offset:         3144
        .size:           1
        .value_kind:     by_value
      - .offset:         3145
        .size:           1
        .value_kind:     by_value
      - .offset:         3152
        .size:           4
        .value_kind:     hidden_block_count_x
      - .offset:         3156
        .size:           4
        .value_kind:     hidden_block_count_y
      - .offset:         3160
        .size:           4
        .value_kind:     hidden_block_count_z
      - .offset:         3164
        .size:           2
        .value_kind:     hidden_group_size_x
      - .offset:         3166
        .size:           2
        .value_kind:     hidden_group_size_y
      - .offset:         3168
        .size:           2
        .value_kind:     hidden_group_size_z
      - .offset:         3170
        .size:           2
        .value_kind:     hidden_remainder_x
      - .offset:         3172
        .size:           2
        .value_kind:     hidden_remainder_y
      - .offset:         3174
        .size:           2
        .value_kind:     hidden_remainder_z
      - .offset:         3192
        .size:           8
        .value_kind:     hidden_global_offset_x
      - .offset:         3200
        .size:           8
        .value_kind:     hidden_global_offset_y
      - .offset:         3208
        .size:           8
        .value_kind:     hidden_global_offset_z
      - .offset:         3216
        .size:           2
        .value_kind:     hidden_grid_dims
    .group_segment_fixed_size: 0
    .kernarg_segment_align: 8
    .kernarg_segment_size: 3408
    .language:       OpenCL C
    .language_version:
      - 2
      - 0
    .max_flat_workgroup_size: 512
    .name:           _ZN2at6native12_GLOBAL__N_125multi_tensor_apply_kernelINS1_18TensorListMetadataILi2EEENS1_11CopyFunctorIiN3c104HalfELi2ELi1ELi1EEEJNS0_4CopyIiS7_EEEEEvT_T0_DpT1_
    .private_segment_fixed_size: 0
    .sgpr_count:     22
    .sgpr_spill_count: 0
    .symbol:         _ZN2at6native12_GLOBAL__N_125multi_tensor_apply_kernelINS1_18TensorListMetadataILi2EEENS1_11CopyFunctorIiN3c104HalfELi2ELi1ELi1EEEJNS0_4CopyIiS7_EEEEEvT_T0_DpT1_.kd
    .uniform_work_group_size: 1
    .uses_dynamic_stack: false
    .vgpr_count:     31
    .vgpr_spill_count: 0
    .wavefront_size: 32
    .workgroup_processor_mode: 1
  - .args:
      - .offset:         0
        .size:           3144
        .value_kind:     by_value
      - .offset:         3144
        .size:           1
        .value_kind:     by_value
      - .offset:         3145
        .size:           1
        .value_kind:     by_value
      - .offset:         3152
        .size:           4
        .value_kind:     hidden_block_count_x
      - .offset:         3156
        .size:           4
        .value_kind:     hidden_block_count_y
      - .offset:         3160
        .size:           4
        .value_kind:     hidden_block_count_z
      - .offset:         3164
        .size:           2
        .value_kind:     hidden_group_size_x
      - .offset:         3166
        .size:           2
        .value_kind:     hidden_group_size_y
      - .offset:         3168
        .size:           2
        .value_kind:     hidden_group_size_z
      - .offset:         3170
        .size:           2
        .value_kind:     hidden_remainder_x
      - .offset:         3172
        .size:           2
        .value_kind:     hidden_remainder_y
      - .offset:         3174
        .size:           2
        .value_kind:     hidden_remainder_z
      - .offset:         3192
        .size:           8
        .value_kind:     hidden_global_offset_x
      - .offset:         3200
        .size:           8
        .value_kind:     hidden_global_offset_y
      - .offset:         3208
        .size:           8
        .value_kind:     hidden_global_offset_z
      - .offset:         3216
        .size:           2
        .value_kind:     hidden_grid_dims
    .group_segment_fixed_size: 0
    .kernarg_segment_align: 8
    .kernarg_segment_size: 3408
    .language:       OpenCL C
    .language_version:
      - 2
      - 0
    .max_flat_workgroup_size: 512
    .name:           _ZN2at6native12_GLOBAL__N_125multi_tensor_apply_kernelINS1_18TensorListMetadataILi2EEENS1_11CopyFunctorIiN3c108BFloat16ELi2ELi1ELi1EEEJNS0_4CopyIiS7_EEEEEvT_T0_DpT1_
    .private_segment_fixed_size: 0
    .sgpr_count:     22
    .sgpr_spill_count: 0
    .symbol:         _ZN2at6native12_GLOBAL__N_125multi_tensor_apply_kernelINS1_18TensorListMetadataILi2EEENS1_11CopyFunctorIiN3c108BFloat16ELi2ELi1ELi1EEEJNS0_4CopyIiS7_EEEEEvT_T0_DpT1_.kd
    .uniform_work_group_size: 1
    .uses_dynamic_stack: false
    .vgpr_count:     31
    .vgpr_spill_count: 0
    .wavefront_size: 32
    .workgroup_processor_mode: 1
  - .args:
      - .offset:         0
        .size:           3144
        .value_kind:     by_value
      - .offset:         3144
        .size:           1
        .value_kind:     by_value
      - .offset:         3145
        .size:           1
        .value_kind:     by_value
      - .offset:         3152
        .size:           4
        .value_kind:     hidden_block_count_x
      - .offset:         3156
        .size:           4
        .value_kind:     hidden_block_count_y
      - .offset:         3160
        .size:           4
        .value_kind:     hidden_block_count_z
      - .offset:         3164
        .size:           2
        .value_kind:     hidden_group_size_x
      - .offset:         3166
        .size:           2
        .value_kind:     hidden_group_size_y
      - .offset:         3168
        .size:           2
        .value_kind:     hidden_group_size_z
      - .offset:         3170
        .size:           2
        .value_kind:     hidden_remainder_x
      - .offset:         3172
        .size:           2
        .value_kind:     hidden_remainder_y
      - .offset:         3174
        .size:           2
        .value_kind:     hidden_remainder_z
      - .offset:         3192
        .size:           8
        .value_kind:     hidden_global_offset_x
      - .offset:         3200
        .size:           8
        .value_kind:     hidden_global_offset_y
      - .offset:         3208
        .size:           8
        .value_kind:     hidden_global_offset_z
      - .offset:         3216
        .size:           2
        .value_kind:     hidden_grid_dims
    .group_segment_fixed_size: 0
    .kernarg_segment_align: 8
    .kernarg_segment_size: 3408
    .language:       OpenCL C
    .language_version:
      - 2
      - 0
    .max_flat_workgroup_size: 512
    .name:           _ZN2at6native12_GLOBAL__N_125multi_tensor_apply_kernelINS1_18TensorListMetadataILi2EEENS1_11CopyFunctorIibLi2ELi1ELi1EEEJNS0_4CopyIibEEEEEvT_T0_DpT1_
    .private_segment_fixed_size: 0
    .sgpr_count:     23
    .sgpr_spill_count: 0
    .symbol:         _ZN2at6native12_GLOBAL__N_125multi_tensor_apply_kernelINS1_18TensorListMetadataILi2EEENS1_11CopyFunctorIibLi2ELi1ELi1EEEJNS0_4CopyIibEEEEEvT_T0_DpT1_.kd
    .uniform_work_group_size: 1
    .uses_dynamic_stack: false
    .vgpr_count:     32
    .vgpr_spill_count: 0
    .wavefront_size: 32
    .workgroup_processor_mode: 1
  - .args:
      - .offset:         0
        .size:           3144
        .value_kind:     by_value
      - .offset:         3144
        .size:           1
        .value_kind:     by_value
      - .offset:         3145
        .size:           1
        .value_kind:     by_value
      - .offset:         3152
        .size:           4
        .value_kind:     hidden_block_count_x
      - .offset:         3156
        .size:           4
        .value_kind:     hidden_block_count_y
      - .offset:         3160
        .size:           4
        .value_kind:     hidden_block_count_z
      - .offset:         3164
        .size:           2
        .value_kind:     hidden_group_size_x
      - .offset:         3166
        .size:           2
        .value_kind:     hidden_group_size_y
      - .offset:         3168
        .size:           2
        .value_kind:     hidden_group_size_z
      - .offset:         3170
        .size:           2
        .value_kind:     hidden_remainder_x
      - .offset:         3172
        .size:           2
        .value_kind:     hidden_remainder_y
      - .offset:         3174
        .size:           2
        .value_kind:     hidden_remainder_z
      - .offset:         3192
        .size:           8
        .value_kind:     hidden_global_offset_x
      - .offset:         3200
        .size:           8
        .value_kind:     hidden_global_offset_y
      - .offset:         3208
        .size:           8
        .value_kind:     hidden_global_offset_z
      - .offset:         3216
        .size:           2
        .value_kind:     hidden_grid_dims
    .group_segment_fixed_size: 0
    .kernarg_segment_align: 8
    .kernarg_segment_size: 3408
    .language:       OpenCL C
    .language_version:
      - 2
      - 0
    .max_flat_workgroup_size: 512
    .name:           _ZN2at6native12_GLOBAL__N_125multi_tensor_apply_kernelINS1_18TensorListMetadataILi2EEENS1_11CopyFunctorIiN3c1013Float8_e4m3fnELi2ELi1ELi1EEEJNS0_4CopyIiS7_EEEEEvT_T0_DpT1_
    .private_segment_fixed_size: 0
    .sgpr_count:     23
    .sgpr_spill_count: 0
    .symbol:         _ZN2at6native12_GLOBAL__N_125multi_tensor_apply_kernelINS1_18TensorListMetadataILi2EEENS1_11CopyFunctorIiN3c1013Float8_e4m3fnELi2ELi1ELi1EEEJNS0_4CopyIiS7_EEEEEvT_T0_DpT1_.kd
    .uniform_work_group_size: 1
    .uses_dynamic_stack: false
    .vgpr_count:     33
    .vgpr_spill_count: 0
    .wavefront_size: 32
    .workgroup_processor_mode: 1
  - .args:
      - .offset:         0
        .size:           3144
        .value_kind:     by_value
      - .offset:         3144
        .size:           1
        .value_kind:     by_value
      - .offset:         3145
        .size:           1
        .value_kind:     by_value
      - .offset:         3152
        .size:           4
        .value_kind:     hidden_block_count_x
      - .offset:         3156
        .size:           4
        .value_kind:     hidden_block_count_y
      - .offset:         3160
        .size:           4
        .value_kind:     hidden_block_count_z
      - .offset:         3164
        .size:           2
        .value_kind:     hidden_group_size_x
      - .offset:         3166
        .size:           2
        .value_kind:     hidden_group_size_y
      - .offset:         3168
        .size:           2
        .value_kind:     hidden_group_size_z
      - .offset:         3170
        .size:           2
        .value_kind:     hidden_remainder_x
      - .offset:         3172
        .size:           2
        .value_kind:     hidden_remainder_y
      - .offset:         3174
        .size:           2
        .value_kind:     hidden_remainder_z
      - .offset:         3192
        .size:           8
        .value_kind:     hidden_global_offset_x
      - .offset:         3200
        .size:           8
        .value_kind:     hidden_global_offset_y
      - .offset:         3208
        .size:           8
        .value_kind:     hidden_global_offset_z
      - .offset:         3216
        .size:           2
        .value_kind:     hidden_grid_dims
    .group_segment_fixed_size: 0
    .kernarg_segment_align: 8
    .kernarg_segment_size: 3408
    .language:       OpenCL C
    .language_version:
      - 2
      - 0
    .max_flat_workgroup_size: 512
    .name:           _ZN2at6native12_GLOBAL__N_125multi_tensor_apply_kernelINS1_18TensorListMetadataILi2EEENS1_11CopyFunctorIiN3c1015Float8_e4m3fnuzELi2ELi1ELi1EEEJNS0_4CopyIiS7_EEEEEvT_T0_DpT1_
    .private_segment_fixed_size: 0
    .sgpr_count:     23
    .sgpr_spill_count: 0
    .symbol:         _ZN2at6native12_GLOBAL__N_125multi_tensor_apply_kernelINS1_18TensorListMetadataILi2EEENS1_11CopyFunctorIiN3c1015Float8_e4m3fnuzELi2ELi1ELi1EEEJNS0_4CopyIiS7_EEEEEvT_T0_DpT1_.kd
    .uniform_work_group_size: 1
    .uses_dynamic_stack: false
    .vgpr_count:     39
    .vgpr_spill_count: 0
    .wavefront_size: 32
    .workgroup_processor_mode: 1
  - .args:
      - .offset:         0
        .size:           3144
        .value_kind:     by_value
      - .offset:         3144
        .size:           1
        .value_kind:     by_value
      - .offset:         3145
        .size:           1
        .value_kind:     by_value
      - .offset:         3152
        .size:           4
        .value_kind:     hidden_block_count_x
      - .offset:         3156
        .size:           4
        .value_kind:     hidden_block_count_y
      - .offset:         3160
        .size:           4
        .value_kind:     hidden_block_count_z
      - .offset:         3164
        .size:           2
        .value_kind:     hidden_group_size_x
      - .offset:         3166
        .size:           2
        .value_kind:     hidden_group_size_y
      - .offset:         3168
        .size:           2
        .value_kind:     hidden_group_size_z
      - .offset:         3170
        .size:           2
        .value_kind:     hidden_remainder_x
      - .offset:         3172
        .size:           2
        .value_kind:     hidden_remainder_y
      - .offset:         3174
        .size:           2
        .value_kind:     hidden_remainder_z
      - .offset:         3192
        .size:           8
        .value_kind:     hidden_global_offset_x
      - .offset:         3200
        .size:           8
        .value_kind:     hidden_global_offset_y
      - .offset:         3208
        .size:           8
        .value_kind:     hidden_global_offset_z
      - .offset:         3216
        .size:           2
        .value_kind:     hidden_grid_dims
    .group_segment_fixed_size: 0
    .kernarg_segment_align: 8
    .kernarg_segment_size: 3408
    .language:       OpenCL C
    .language_version:
      - 2
      - 0
    .max_flat_workgroup_size: 512
    .name:           _ZN2at6native12_GLOBAL__N_125multi_tensor_apply_kernelINS1_18TensorListMetadataILi2EEENS1_11CopyFunctorIiN3c1011Float8_e5m2ELi2ELi1ELi1EEEJNS0_4CopyIiS7_EEEEEvT_T0_DpT1_
    .private_segment_fixed_size: 0
    .sgpr_count:     24
    .sgpr_spill_count: 0
    .symbol:         _ZN2at6native12_GLOBAL__N_125multi_tensor_apply_kernelINS1_18TensorListMetadataILi2EEENS1_11CopyFunctorIiN3c1011Float8_e5m2ELi2ELi1ELi1EEEJNS0_4CopyIiS7_EEEEEvT_T0_DpT1_.kd
    .uniform_work_group_size: 1
    .uses_dynamic_stack: false
    .vgpr_count:     33
    .vgpr_spill_count: 0
    .wavefront_size: 32
    .workgroup_processor_mode: 1
  - .args:
      - .offset:         0
        .size:           3144
        .value_kind:     by_value
      - .offset:         3144
        .size:           1
        .value_kind:     by_value
      - .offset:         3145
        .size:           1
        .value_kind:     by_value
      - .offset:         3152
        .size:           4
        .value_kind:     hidden_block_count_x
      - .offset:         3156
        .size:           4
        .value_kind:     hidden_block_count_y
      - .offset:         3160
        .size:           4
        .value_kind:     hidden_block_count_z
      - .offset:         3164
        .size:           2
        .value_kind:     hidden_group_size_x
      - .offset:         3166
        .size:           2
        .value_kind:     hidden_group_size_y
      - .offset:         3168
        .size:           2
        .value_kind:     hidden_group_size_z
      - .offset:         3170
        .size:           2
        .value_kind:     hidden_remainder_x
      - .offset:         3172
        .size:           2
        .value_kind:     hidden_remainder_y
      - .offset:         3174
        .size:           2
        .value_kind:     hidden_remainder_z
      - .offset:         3192
        .size:           8
        .value_kind:     hidden_global_offset_x
      - .offset:         3200
        .size:           8
        .value_kind:     hidden_global_offset_y
      - .offset:         3208
        .size:           8
        .value_kind:     hidden_global_offset_z
      - .offset:         3216
        .size:           2
        .value_kind:     hidden_grid_dims
    .group_segment_fixed_size: 0
    .kernarg_segment_align: 8
    .kernarg_segment_size: 3408
    .language:       OpenCL C
    .language_version:
      - 2
      - 0
    .max_flat_workgroup_size: 512
    .name:           _ZN2at6native12_GLOBAL__N_125multi_tensor_apply_kernelINS1_18TensorListMetadataILi2EEENS1_11CopyFunctorIiN3c1015Float8_e5m2fnuzELi2ELi1ELi1EEEJNS0_4CopyIiS7_EEEEEvT_T0_DpT1_
    .private_segment_fixed_size: 0
    .sgpr_count:     23
    .sgpr_spill_count: 0
    .symbol:         _ZN2at6native12_GLOBAL__N_125multi_tensor_apply_kernelINS1_18TensorListMetadataILi2EEENS1_11CopyFunctorIiN3c1015Float8_e5m2fnuzELi2ELi1ELi1EEEJNS0_4CopyIiS7_EEEEEvT_T0_DpT1_.kd
    .uniform_work_group_size: 1
    .uses_dynamic_stack: false
    .vgpr_count:     39
    .vgpr_spill_count: 0
    .wavefront_size: 32
    .workgroup_processor_mode: 1
  - .args:
      - .offset:         0
        .size:           3144
        .value_kind:     by_value
      - .offset:         3144
        .size:           1
        .value_kind:     by_value
      - .offset:         3145
        .size:           1
        .value_kind:     by_value
      - .offset:         3152
        .size:           4
        .value_kind:     hidden_block_count_x
      - .offset:         3156
        .size:           4
        .value_kind:     hidden_block_count_y
      - .offset:         3160
        .size:           4
        .value_kind:     hidden_block_count_z
      - .offset:         3164
        .size:           2
        .value_kind:     hidden_group_size_x
      - .offset:         3166
        .size:           2
        .value_kind:     hidden_group_size_y
      - .offset:         3168
        .size:           2
        .value_kind:     hidden_group_size_z
      - .offset:         3170
        .size:           2
        .value_kind:     hidden_remainder_x
      - .offset:         3172
        .size:           2
        .value_kind:     hidden_remainder_y
      - .offset:         3174
        .size:           2
        .value_kind:     hidden_remainder_z
      - .offset:         3192
        .size:           8
        .value_kind:     hidden_global_offset_x
      - .offset:         3200
        .size:           8
        .value_kind:     hidden_global_offset_y
      - .offset:         3208
        .size:           8
        .value_kind:     hidden_global_offset_z
      - .offset:         3216
        .size:           2
        .value_kind:     hidden_grid_dims
    .group_segment_fixed_size: 0
    .kernarg_segment_align: 8
    .kernarg_segment_size: 3408
    .language:       OpenCL C
    .language_version:
      - 2
      - 0
    .max_flat_workgroup_size: 512
    .name:           _ZN2at6native12_GLOBAL__N_125multi_tensor_apply_kernelINS1_18TensorListMetadataILi2EEENS1_11CopyFunctorIlhLi2ELi1ELi1EEEJNS0_4CopyIlhEEEEEvT_T0_DpT1_
    .private_segment_fixed_size: 0
    .sgpr_count:     23
    .sgpr_spill_count: 0
    .symbol:         _ZN2at6native12_GLOBAL__N_125multi_tensor_apply_kernelINS1_18TensorListMetadataILi2EEENS1_11CopyFunctorIlhLi2ELi1ELi1EEEJNS0_4CopyIlhEEEEEvT_T0_DpT1_.kd
    .uniform_work_group_size: 1
    .uses_dynamic_stack: false
    .vgpr_count:     34
    .vgpr_spill_count: 0
    .wavefront_size: 32
    .workgroup_processor_mode: 1
  - .args:
      - .offset:         0
        .size:           3144
        .value_kind:     by_value
      - .offset:         3144
        .size:           1
        .value_kind:     by_value
      - .offset:         3145
        .size:           1
        .value_kind:     by_value
      - .offset:         3152
        .size:           4
        .value_kind:     hidden_block_count_x
      - .offset:         3156
        .size:           4
        .value_kind:     hidden_block_count_y
      - .offset:         3160
        .size:           4
        .value_kind:     hidden_block_count_z
      - .offset:         3164
        .size:           2
        .value_kind:     hidden_group_size_x
      - .offset:         3166
        .size:           2
        .value_kind:     hidden_group_size_y
      - .offset:         3168
        .size:           2
        .value_kind:     hidden_group_size_z
      - .offset:         3170
        .size:           2
        .value_kind:     hidden_remainder_x
      - .offset:         3172
        .size:           2
        .value_kind:     hidden_remainder_y
      - .offset:         3174
        .size:           2
        .value_kind:     hidden_remainder_z
      - .offset:         3192
        .size:           8
        .value_kind:     hidden_global_offset_x
      - .offset:         3200
        .size:           8
        .value_kind:     hidden_global_offset_y
      - .offset:         3208
        .size:           8
        .value_kind:     hidden_global_offset_z
      - .offset:         3216
        .size:           2
        .value_kind:     hidden_grid_dims
    .group_segment_fixed_size: 0
    .kernarg_segment_align: 8
    .kernarg_segment_size: 3408
    .language:       OpenCL C
    .language_version:
      - 2
      - 0
    .max_flat_workgroup_size: 512
    .name:           _ZN2at6native12_GLOBAL__N_125multi_tensor_apply_kernelINS1_18TensorListMetadataILi2EEENS1_11CopyFunctorIlaLi2ELi1ELi1EEEJNS0_4CopyIlaEEEEEvT_T0_DpT1_
    .private_segment_fixed_size: 0
    .sgpr_count:     23
    .sgpr_spill_count: 0
    .symbol:         _ZN2at6native12_GLOBAL__N_125multi_tensor_apply_kernelINS1_18TensorListMetadataILi2EEENS1_11CopyFunctorIlaLi2ELi1ELi1EEEJNS0_4CopyIlaEEEEEvT_T0_DpT1_.kd
    .uniform_work_group_size: 1
    .uses_dynamic_stack: false
    .vgpr_count:     32
    .vgpr_spill_count: 0
    .wavefront_size: 32
    .workgroup_processor_mode: 1
  - .args:
      - .offset:         0
        .size:           3144
        .value_kind:     by_value
      - .offset:         3144
        .size:           1
        .value_kind:     by_value
      - .offset:         3145
        .size:           1
        .value_kind:     by_value
      - .offset:         3152
        .size:           4
        .value_kind:     hidden_block_count_x
      - .offset:         3156
        .size:           4
        .value_kind:     hidden_block_count_y
      - .offset:         3160
        .size:           4
        .value_kind:     hidden_block_count_z
      - .offset:         3164
        .size:           2
        .value_kind:     hidden_group_size_x
      - .offset:         3166
        .size:           2
        .value_kind:     hidden_group_size_y
      - .offset:         3168
        .size:           2
        .value_kind:     hidden_group_size_z
      - .offset:         3170
        .size:           2
        .value_kind:     hidden_remainder_x
      - .offset:         3172
        .size:           2
        .value_kind:     hidden_remainder_y
      - .offset:         3174
        .size:           2
        .value_kind:     hidden_remainder_z
      - .offset:         3192
        .size:           8
        .value_kind:     hidden_global_offset_x
      - .offset:         3200
        .size:           8
        .value_kind:     hidden_global_offset_y
      - .offset:         3208
        .size:           8
        .value_kind:     hidden_global_offset_z
      - .offset:         3216
        .size:           2
        .value_kind:     hidden_grid_dims
    .group_segment_fixed_size: 0
    .kernarg_segment_align: 8
    .kernarg_segment_size: 3408
    .language:       OpenCL C
    .language_version:
      - 2
      - 0
    .max_flat_workgroup_size: 512
    .name:           _ZN2at6native12_GLOBAL__N_125multi_tensor_apply_kernelINS1_18TensorListMetadataILi2EEENS1_14UnaryOpFunctorIlLi2ELi1ELi1EEEJNS0_4CopyIllEEEEEvT_T0_DpT1_
    .private_segment_fixed_size: 0
    .sgpr_count:     24
    .sgpr_spill_count: 0
    .symbol:         _ZN2at6native12_GLOBAL__N_125multi_tensor_apply_kernelINS1_18TensorListMetadataILi2EEENS1_14UnaryOpFunctorIlLi2ELi1ELi1EEEJNS0_4CopyIllEEEEEvT_T0_DpT1_.kd
    .uniform_work_group_size: 1
    .uses_dynamic_stack: false
    .vgpr_count:     33
    .vgpr_spill_count: 0
    .wavefront_size: 32
    .workgroup_processor_mode: 1
  - .args:
      - .offset:         0
        .size:           3144
        .value_kind:     by_value
      - .offset:         3144
        .size:           1
        .value_kind:     by_value
      - .offset:         3145
        .size:           1
        .value_kind:     by_value
      - .offset:         3152
        .size:           4
        .value_kind:     hidden_block_count_x
      - .offset:         3156
        .size:           4
        .value_kind:     hidden_block_count_y
      - .offset:         3160
        .size:           4
        .value_kind:     hidden_block_count_z
      - .offset:         3164
        .size:           2
        .value_kind:     hidden_group_size_x
      - .offset:         3166
        .size:           2
        .value_kind:     hidden_group_size_y
      - .offset:         3168
        .size:           2
        .value_kind:     hidden_group_size_z
      - .offset:         3170
        .size:           2
        .value_kind:     hidden_remainder_x
      - .offset:         3172
        .size:           2
        .value_kind:     hidden_remainder_y
      - .offset:         3174
        .size:           2
        .value_kind:     hidden_remainder_z
      - .offset:         3192
        .size:           8
        .value_kind:     hidden_global_offset_x
      - .offset:         3200
        .size:           8
        .value_kind:     hidden_global_offset_y
      - .offset:         3208
        .size:           8
        .value_kind:     hidden_global_offset_z
      - .offset:         3216
        .size:           2
        .value_kind:     hidden_grid_dims
    .group_segment_fixed_size: 0
    .kernarg_segment_align: 8
    .kernarg_segment_size: 3408
    .language:       OpenCL C
    .language_version:
      - 2
      - 0
    .max_flat_workgroup_size: 512
    .name:           _ZN2at6native12_GLOBAL__N_125multi_tensor_apply_kernelINS1_18TensorListMetadataILi2EEENS1_11CopyFunctorIlsLi2ELi1ELi1EEEJNS0_4CopyIlsEEEEEvT_T0_DpT1_
    .private_segment_fixed_size: 0
    .sgpr_count:     22
    .sgpr_spill_count: 0
    .symbol:         _ZN2at6native12_GLOBAL__N_125multi_tensor_apply_kernelINS1_18TensorListMetadataILi2EEENS1_11CopyFunctorIlsLi2ELi1ELi1EEEJNS0_4CopyIlsEEEEEvT_T0_DpT1_.kd
    .uniform_work_group_size: 1
    .uses_dynamic_stack: false
    .vgpr_count:     29
    .vgpr_spill_count: 0
    .wavefront_size: 32
    .workgroup_processor_mode: 1
  - .args:
      - .offset:         0
        .size:           3144
        .value_kind:     by_value
      - .offset:         3144
        .size:           1
        .value_kind:     by_value
      - .offset:         3145
        .size:           1
        .value_kind:     by_value
      - .offset:         3152
        .size:           4
        .value_kind:     hidden_block_count_x
      - .offset:         3156
        .size:           4
        .value_kind:     hidden_block_count_y
      - .offset:         3160
        .size:           4
        .value_kind:     hidden_block_count_z
      - .offset:         3164
        .size:           2
        .value_kind:     hidden_group_size_x
      - .offset:         3166
        .size:           2
        .value_kind:     hidden_group_size_y
      - .offset:         3168
        .size:           2
        .value_kind:     hidden_group_size_z
      - .offset:         3170
        .size:           2
        .value_kind:     hidden_remainder_x
      - .offset:         3172
        .size:           2
        .value_kind:     hidden_remainder_y
      - .offset:         3174
        .size:           2
        .value_kind:     hidden_remainder_z
      - .offset:         3192
        .size:           8
        .value_kind:     hidden_global_offset_x
      - .offset:         3200
        .size:           8
        .value_kind:     hidden_global_offset_y
      - .offset:         3208
        .size:           8
        .value_kind:     hidden_global_offset_z
      - .offset:         3216
        .size:           2
        .value_kind:     hidden_grid_dims
    .group_segment_fixed_size: 0
    .kernarg_segment_align: 8
    .kernarg_segment_size: 3408
    .language:       OpenCL C
    .language_version:
      - 2
      - 0
    .max_flat_workgroup_size: 512
    .name:           _ZN2at6native12_GLOBAL__N_125multi_tensor_apply_kernelINS1_18TensorListMetadataILi2EEENS1_11CopyFunctorIliLi2ELi1ELi1EEEJNS0_4CopyIliEEEEEvT_T0_DpT1_
    .private_segment_fixed_size: 0
    .sgpr_count:     22
    .sgpr_spill_count: 0
    .symbol:         _ZN2at6native12_GLOBAL__N_125multi_tensor_apply_kernelINS1_18TensorListMetadataILi2EEENS1_11CopyFunctorIliLi2ELi1ELi1EEEJNS0_4CopyIliEEEEEvT_T0_DpT1_.kd
    .uniform_work_group_size: 1
    .uses_dynamic_stack: false
    .vgpr_count:     32
    .vgpr_spill_count: 0
    .wavefront_size: 32
    .workgroup_processor_mode: 1
  - .args:
      - .offset:         0
        .size:           3144
        .value_kind:     by_value
      - .offset:         3144
        .size:           1
        .value_kind:     by_value
      - .offset:         3145
        .size:           1
        .value_kind:     by_value
      - .offset:         3152
        .size:           4
        .value_kind:     hidden_block_count_x
      - .offset:         3156
        .size:           4
        .value_kind:     hidden_block_count_y
      - .offset:         3160
        .size:           4
        .value_kind:     hidden_block_count_z
      - .offset:         3164
        .size:           2
        .value_kind:     hidden_group_size_x
      - .offset:         3166
        .size:           2
        .value_kind:     hidden_group_size_y
      - .offset:         3168
        .size:           2
        .value_kind:     hidden_group_size_z
      - .offset:         3170
        .size:           2
        .value_kind:     hidden_remainder_x
      - .offset:         3172
        .size:           2
        .value_kind:     hidden_remainder_y
      - .offset:         3174
        .size:           2
        .value_kind:     hidden_remainder_z
      - .offset:         3192
        .size:           8
        .value_kind:     hidden_global_offset_x
      - .offset:         3200
        .size:           8
        .value_kind:     hidden_global_offset_y
      - .offset:         3208
        .size:           8
        .value_kind:     hidden_global_offset_z
      - .offset:         3216
        .size:           2
        .value_kind:     hidden_grid_dims
    .group_segment_fixed_size: 0
    .kernarg_segment_align: 8
    .kernarg_segment_size: 3408
    .language:       OpenCL C
    .language_version:
      - 2
      - 0
    .max_flat_workgroup_size: 512
    .name:           _ZN2at6native12_GLOBAL__N_125multi_tensor_apply_kernelINS1_18TensorListMetadataILi2EEENS1_11CopyFunctorIldLi2ELi1ELi1EEEJNS0_4CopyIldEEEEEvT_T0_DpT1_
    .private_segment_fixed_size: 0
    .sgpr_count:     24
    .sgpr_spill_count: 0
    .symbol:         _ZN2at6native12_GLOBAL__N_125multi_tensor_apply_kernelINS1_18TensorListMetadataILi2EEENS1_11CopyFunctorIldLi2ELi1ELi1EEEJNS0_4CopyIldEEEEEvT_T0_DpT1_.kd
    .uniform_work_group_size: 1
    .uses_dynamic_stack: false
    .vgpr_count:     37
    .vgpr_spill_count: 0
    .wavefront_size: 32
    .workgroup_processor_mode: 1
  - .args:
      - .offset:         0
        .size:           3144
        .value_kind:     by_value
      - .offset:         3144
        .size:           1
        .value_kind:     by_value
      - .offset:         3145
        .size:           1
        .value_kind:     by_value
      - .offset:         3152
        .size:           4
        .value_kind:     hidden_block_count_x
      - .offset:         3156
        .size:           4
        .value_kind:     hidden_block_count_y
      - .offset:         3160
        .size:           4
        .value_kind:     hidden_block_count_z
      - .offset:         3164
        .size:           2
        .value_kind:     hidden_group_size_x
      - .offset:         3166
        .size:           2
        .value_kind:     hidden_group_size_y
      - .offset:         3168
        .size:           2
        .value_kind:     hidden_group_size_z
      - .offset:         3170
        .size:           2
        .value_kind:     hidden_remainder_x
      - .offset:         3172
        .size:           2
        .value_kind:     hidden_remainder_y
      - .offset:         3174
        .size:           2
        .value_kind:     hidden_remainder_z
      - .offset:         3192
        .size:           8
        .value_kind:     hidden_global_offset_x
      - .offset:         3200
        .size:           8
        .value_kind:     hidden_global_offset_y
      - .offset:         3208
        .size:           8
        .value_kind:     hidden_global_offset_z
      - .offset:         3216
        .size:           2
        .value_kind:     hidden_grid_dims
    .group_segment_fixed_size: 0
    .kernarg_segment_align: 8
    .kernarg_segment_size: 3408
    .language:       OpenCL C
    .language_version:
      - 2
      - 0
    .max_flat_workgroup_size: 512
    .name:           _ZN2at6native12_GLOBAL__N_125multi_tensor_apply_kernelINS1_18TensorListMetadataILi2EEENS1_11CopyFunctorIlfLi2ELi1ELi1EEEJNS0_4CopyIlfEEEEEvT_T0_DpT1_
    .private_segment_fixed_size: 0
    .sgpr_count:     22
    .sgpr_spill_count: 0
    .symbol:         _ZN2at6native12_GLOBAL__N_125multi_tensor_apply_kernelINS1_18TensorListMetadataILi2EEENS1_11CopyFunctorIlfLi2ELi1ELi1EEEJNS0_4CopyIlfEEEEEvT_T0_DpT1_.kd
    .uniform_work_group_size: 1
    .uses_dynamic_stack: false
    .vgpr_count:     31
    .vgpr_spill_count: 0
    .wavefront_size: 32
    .workgroup_processor_mode: 1
  - .args:
      - .offset:         0
        .size:           3144
        .value_kind:     by_value
      - .offset:         3144
        .size:           1
        .value_kind:     by_value
      - .offset:         3145
        .size:           1
        .value_kind:     by_value
      - .offset:         3152
        .size:           4
        .value_kind:     hidden_block_count_x
      - .offset:         3156
        .size:           4
        .value_kind:     hidden_block_count_y
      - .offset:         3160
        .size:           4
        .value_kind:     hidden_block_count_z
      - .offset:         3164
        .size:           2
        .value_kind:     hidden_group_size_x
      - .offset:         3166
        .size:           2
        .value_kind:     hidden_group_size_y
      - .offset:         3168
        .size:           2
        .value_kind:     hidden_group_size_z
      - .offset:         3170
        .size:           2
        .value_kind:     hidden_remainder_x
      - .offset:         3172
        .size:           2
        .value_kind:     hidden_remainder_y
      - .offset:         3174
        .size:           2
        .value_kind:     hidden_remainder_z
      - .offset:         3192
        .size:           8
        .value_kind:     hidden_global_offset_x
      - .offset:         3200
        .size:           8
        .value_kind:     hidden_global_offset_y
      - .offset:         3208
        .size:           8
        .value_kind:     hidden_global_offset_z
      - .offset:         3216
        .size:           2
        .value_kind:     hidden_grid_dims
    .group_segment_fixed_size: 0
    .kernarg_segment_align: 8
    .kernarg_segment_size: 3408
    .language:       OpenCL C
    .language_version:
      - 2
      - 0
    .max_flat_workgroup_size: 512
    .name:           _ZN2at6native12_GLOBAL__N_125multi_tensor_apply_kernelINS1_18TensorListMetadataILi2EEENS1_11CopyFunctorIlN3c107complexIdEELi2ELi1ELi1EEEJNS0_4CopyIlS8_EEEEEvT_T0_DpT1_
    .private_segment_fixed_size: 0
    .sgpr_count:     22
    .sgpr_spill_count: 0
    .symbol:         _ZN2at6native12_GLOBAL__N_125multi_tensor_apply_kernelINS1_18TensorListMetadataILi2EEENS1_11CopyFunctorIlN3c107complexIdEELi2ELi1ELi1EEEJNS0_4CopyIlS8_EEEEEvT_T0_DpT1_.kd
    .uniform_work_group_size: 1
    .uses_dynamic_stack: false
    .vgpr_count:     35
    .vgpr_spill_count: 0
    .wavefront_size: 32
    .workgroup_processor_mode: 1
  - .args:
      - .offset:         0
        .size:           3144
        .value_kind:     by_value
      - .offset:         3144
        .size:           1
        .value_kind:     by_value
      - .offset:         3145
        .size:           1
        .value_kind:     by_value
      - .offset:         3152
        .size:           4
        .value_kind:     hidden_block_count_x
      - .offset:         3156
        .size:           4
        .value_kind:     hidden_block_count_y
      - .offset:         3160
        .size:           4
        .value_kind:     hidden_block_count_z
      - .offset:         3164
        .size:           2
        .value_kind:     hidden_group_size_x
      - .offset:         3166
        .size:           2
        .value_kind:     hidden_group_size_y
      - .offset:         3168
        .size:           2
        .value_kind:     hidden_group_size_z
      - .offset:         3170
        .size:           2
        .value_kind:     hidden_remainder_x
      - .offset:         3172
        .size:           2
        .value_kind:     hidden_remainder_y
      - .offset:         3174
        .size:           2
        .value_kind:     hidden_remainder_z
      - .offset:         3192
        .size:           8
        .value_kind:     hidden_global_offset_x
      - .offset:         3200
        .size:           8
        .value_kind:     hidden_global_offset_y
      - .offset:         3208
        .size:           8
        .value_kind:     hidden_global_offset_z
      - .offset:         3216
        .size:           2
        .value_kind:     hidden_grid_dims
    .group_segment_fixed_size: 0
    .kernarg_segment_align: 8
    .kernarg_segment_size: 3408
    .language:       OpenCL C
    .language_version:
      - 2
      - 0
    .max_flat_workgroup_size: 512
    .name:           _ZN2at6native12_GLOBAL__N_125multi_tensor_apply_kernelINS1_18TensorListMetadataILi2EEENS1_11CopyFunctorIlN3c107complexIfEELi2ELi1ELi1EEEJNS0_4CopyIlS8_EEEEEvT_T0_DpT1_
    .private_segment_fixed_size: 0
    .sgpr_count:     24
    .sgpr_spill_count: 0
    .symbol:         _ZN2at6native12_GLOBAL__N_125multi_tensor_apply_kernelINS1_18TensorListMetadataILi2EEENS1_11CopyFunctorIlN3c107complexIfEELi2ELi1ELi1EEEJNS0_4CopyIlS8_EEEEEvT_T0_DpT1_.kd
    .uniform_work_group_size: 1
    .uses_dynamic_stack: false
    .vgpr_count:     33
    .vgpr_spill_count: 0
    .wavefront_size: 32
    .workgroup_processor_mode: 1
  - .args:
      - .offset:         0
        .size:           3144
        .value_kind:     by_value
      - .offset:         3144
        .size:           1
        .value_kind:     by_value
      - .offset:         3145
        .size:           1
        .value_kind:     by_value
      - .offset:         3152
        .size:           4
        .value_kind:     hidden_block_count_x
      - .offset:         3156
        .size:           4
        .value_kind:     hidden_block_count_y
      - .offset:         3160
        .size:           4
        .value_kind:     hidden_block_count_z
      - .offset:         3164
        .size:           2
        .value_kind:     hidden_group_size_x
      - .offset:         3166
        .size:           2
        .value_kind:     hidden_group_size_y
      - .offset:         3168
        .size:           2
        .value_kind:     hidden_group_size_z
      - .offset:         3170
        .size:           2
        .value_kind:     hidden_remainder_x
      - .offset:         3172
        .size:           2
        .value_kind:     hidden_remainder_y
      - .offset:         3174
        .size:           2
        .value_kind:     hidden_remainder_z
      - .offset:         3192
        .size:           8
        .value_kind:     hidden_global_offset_x
      - .offset:         3200
        .size:           8
        .value_kind:     hidden_global_offset_y
      - .offset:         3208
        .size:           8
        .value_kind:     hidden_global_offset_z
      - .offset:         3216
        .size:           2
        .value_kind:     hidden_grid_dims
    .group_segment_fixed_size: 0
    .kernarg_segment_align: 8
    .kernarg_segment_size: 3408
    .language:       OpenCL C
    .language_version:
      - 2
      - 0
    .max_flat_workgroup_size: 512
    .name:           _ZN2at6native12_GLOBAL__N_125multi_tensor_apply_kernelINS1_18TensorListMetadataILi2EEENS1_11CopyFunctorIlN3c104HalfELi2ELi1ELi1EEEJNS0_4CopyIlS7_EEEEEvT_T0_DpT1_
    .private_segment_fixed_size: 0
    .sgpr_count:     22
    .sgpr_spill_count: 0
    .symbol:         _ZN2at6native12_GLOBAL__N_125multi_tensor_apply_kernelINS1_18TensorListMetadataILi2EEENS1_11CopyFunctorIlN3c104HalfELi2ELi1ELi1EEEJNS0_4CopyIlS7_EEEEEvT_T0_DpT1_.kd
    .uniform_work_group_size: 1
    .uses_dynamic_stack: false
    .vgpr_count:     31
    .vgpr_spill_count: 0
    .wavefront_size: 32
    .workgroup_processor_mode: 1
  - .args:
      - .offset:         0
        .size:           3144
        .value_kind:     by_value
      - .offset:         3144
        .size:           1
        .value_kind:     by_value
      - .offset:         3145
        .size:           1
        .value_kind:     by_value
      - .offset:         3152
        .size:           4
        .value_kind:     hidden_block_count_x
      - .offset:         3156
        .size:           4
        .value_kind:     hidden_block_count_y
      - .offset:         3160
        .size:           4
        .value_kind:     hidden_block_count_z
      - .offset:         3164
        .size:           2
        .value_kind:     hidden_group_size_x
      - .offset:         3166
        .size:           2
        .value_kind:     hidden_group_size_y
      - .offset:         3168
        .size:           2
        .value_kind:     hidden_group_size_z
      - .offset:         3170
        .size:           2
        .value_kind:     hidden_remainder_x
      - .offset:         3172
        .size:           2
        .value_kind:     hidden_remainder_y
      - .offset:         3174
        .size:           2
        .value_kind:     hidden_remainder_z
      - .offset:         3192
        .size:           8
        .value_kind:     hidden_global_offset_x
      - .offset:         3200
        .size:           8
        .value_kind:     hidden_global_offset_y
      - .offset:         3208
        .size:           8
        .value_kind:     hidden_global_offset_z
      - .offset:         3216
        .size:           2
        .value_kind:     hidden_grid_dims
    .group_segment_fixed_size: 0
    .kernarg_segment_align: 8
    .kernarg_segment_size: 3408
    .language:       OpenCL C
    .language_version:
      - 2
      - 0
    .max_flat_workgroup_size: 512
    .name:           _ZN2at6native12_GLOBAL__N_125multi_tensor_apply_kernelINS1_18TensorListMetadataILi2EEENS1_11CopyFunctorIlN3c108BFloat16ELi2ELi1ELi1EEEJNS0_4CopyIlS7_EEEEEvT_T0_DpT1_
    .private_segment_fixed_size: 0
    .sgpr_count:     22
    .sgpr_spill_count: 0
    .symbol:         _ZN2at6native12_GLOBAL__N_125multi_tensor_apply_kernelINS1_18TensorListMetadataILi2EEENS1_11CopyFunctorIlN3c108BFloat16ELi2ELi1ELi1EEEJNS0_4CopyIlS7_EEEEEvT_T0_DpT1_.kd
    .uniform_work_group_size: 1
    .uses_dynamic_stack: false
    .vgpr_count:     31
    .vgpr_spill_count: 0
    .wavefront_size: 32
    .workgroup_processor_mode: 1
  - .args:
      - .offset:         0
        .size:           3144
        .value_kind:     by_value
      - .offset:         3144
        .size:           1
        .value_kind:     by_value
      - .offset:         3145
        .size:           1
        .value_kind:     by_value
      - .offset:         3152
        .size:           4
        .value_kind:     hidden_block_count_x
      - .offset:         3156
        .size:           4
        .value_kind:     hidden_block_count_y
      - .offset:         3160
        .size:           4
        .value_kind:     hidden_block_count_z
      - .offset:         3164
        .size:           2
        .value_kind:     hidden_group_size_x
      - .offset:         3166
        .size:           2
        .value_kind:     hidden_group_size_y
      - .offset:         3168
        .size:           2
        .value_kind:     hidden_group_size_z
      - .offset:         3170
        .size:           2
        .value_kind:     hidden_remainder_x
      - .offset:         3172
        .size:           2
        .value_kind:     hidden_remainder_y
      - .offset:         3174
        .size:           2
        .value_kind:     hidden_remainder_z
      - .offset:         3192
        .size:           8
        .value_kind:     hidden_global_offset_x
      - .offset:         3200
        .size:           8
        .value_kind:     hidden_global_offset_y
      - .offset:         3208
        .size:           8
        .value_kind:     hidden_global_offset_z
      - .offset:         3216
        .size:           2
        .value_kind:     hidden_grid_dims
    .group_segment_fixed_size: 0
    .kernarg_segment_align: 8
    .kernarg_segment_size: 3408
    .language:       OpenCL C
    .language_version:
      - 2
      - 0
    .max_flat_workgroup_size: 512
    .name:           _ZN2at6native12_GLOBAL__N_125multi_tensor_apply_kernelINS1_18TensorListMetadataILi2EEENS1_11CopyFunctorIlbLi2ELi1ELi1EEEJNS0_4CopyIlbEEEEEvT_T0_DpT1_
    .private_segment_fixed_size: 0
    .sgpr_count:     23
    .sgpr_spill_count: 0
    .symbol:         _ZN2at6native12_GLOBAL__N_125multi_tensor_apply_kernelINS1_18TensorListMetadataILi2EEENS1_11CopyFunctorIlbLi2ELi1ELi1EEEJNS0_4CopyIlbEEEEEvT_T0_DpT1_.kd
    .uniform_work_group_size: 1
    .uses_dynamic_stack: false
    .vgpr_count:     34
    .vgpr_spill_count: 0
    .wavefront_size: 32
    .workgroup_processor_mode: 1
  - .args:
      - .offset:         0
        .size:           3144
        .value_kind:     by_value
      - .offset:         3144
        .size:           1
        .value_kind:     by_value
      - .offset:         3145
        .size:           1
        .value_kind:     by_value
      - .offset:         3152
        .size:           4
        .value_kind:     hidden_block_count_x
      - .offset:         3156
        .size:           4
        .value_kind:     hidden_block_count_y
      - .offset:         3160
        .size:           4
        .value_kind:     hidden_block_count_z
      - .offset:         3164
        .size:           2
        .value_kind:     hidden_group_size_x
      - .offset:         3166
        .size:           2
        .value_kind:     hidden_group_size_y
      - .offset:         3168
        .size:           2
        .value_kind:     hidden_group_size_z
      - .offset:         3170
        .size:           2
        .value_kind:     hidden_remainder_x
      - .offset:         3172
        .size:           2
        .value_kind:     hidden_remainder_y
      - .offset:         3174
        .size:           2
        .value_kind:     hidden_remainder_z
      - .offset:         3192
        .size:           8
        .value_kind:     hidden_global_offset_x
      - .offset:         3200
        .size:           8
        .value_kind:     hidden_global_offset_y
      - .offset:         3208
        .size:           8
        .value_kind:     hidden_global_offset_z
      - .offset:         3216
        .size:           2
        .value_kind:     hidden_grid_dims
    .group_segment_fixed_size: 0
    .kernarg_segment_align: 8
    .kernarg_segment_size: 3408
    .language:       OpenCL C
    .language_version:
      - 2
      - 0
    .max_flat_workgroup_size: 512
    .name:           _ZN2at6native12_GLOBAL__N_125multi_tensor_apply_kernelINS1_18TensorListMetadataILi2EEENS1_11CopyFunctorIlN3c1013Float8_e4m3fnELi2ELi1ELi1EEEJNS0_4CopyIlS7_EEEEEvT_T0_DpT1_
    .private_segment_fixed_size: 0
    .sgpr_count:     23
    .sgpr_spill_count: 0
    .symbol:         _ZN2at6native12_GLOBAL__N_125multi_tensor_apply_kernelINS1_18TensorListMetadataILi2EEENS1_11CopyFunctorIlN3c1013Float8_e4m3fnELi2ELi1ELi1EEEJNS0_4CopyIlS7_EEEEEvT_T0_DpT1_.kd
    .uniform_work_group_size: 1
    .uses_dynamic_stack: false
    .vgpr_count:     34
    .vgpr_spill_count: 0
    .wavefront_size: 32
    .workgroup_processor_mode: 1
  - .args:
      - .offset:         0
        .size:           3144
        .value_kind:     by_value
      - .offset:         3144
        .size:           1
        .value_kind:     by_value
      - .offset:         3145
        .size:           1
        .value_kind:     by_value
      - .offset:         3152
        .size:           4
        .value_kind:     hidden_block_count_x
      - .offset:         3156
        .size:           4
        .value_kind:     hidden_block_count_y
      - .offset:         3160
        .size:           4
        .value_kind:     hidden_block_count_z
      - .offset:         3164
        .size:           2
        .value_kind:     hidden_group_size_x
      - .offset:         3166
        .size:           2
        .value_kind:     hidden_group_size_y
      - .offset:         3168
        .size:           2
        .value_kind:     hidden_group_size_z
      - .offset:         3170
        .size:           2
        .value_kind:     hidden_remainder_x
      - .offset:         3172
        .size:           2
        .value_kind:     hidden_remainder_y
      - .offset:         3174
        .size:           2
        .value_kind:     hidden_remainder_z
      - .offset:         3192
        .size:           8
        .value_kind:     hidden_global_offset_x
      - .offset:         3200
        .size:           8
        .value_kind:     hidden_global_offset_y
      - .offset:         3208
        .size:           8
        .value_kind:     hidden_global_offset_z
      - .offset:         3216
        .size:           2
        .value_kind:     hidden_grid_dims
    .group_segment_fixed_size: 0
    .kernarg_segment_align: 8
    .kernarg_segment_size: 3408
    .language:       OpenCL C
    .language_version:
      - 2
      - 0
    .max_flat_workgroup_size: 512
    .name:           _ZN2at6native12_GLOBAL__N_125multi_tensor_apply_kernelINS1_18TensorListMetadataILi2EEENS1_11CopyFunctorIlN3c1015Float8_e4m3fnuzELi2ELi1ELi1EEEJNS0_4CopyIlS7_EEEEEvT_T0_DpT1_
    .private_segment_fixed_size: 0
    .sgpr_count:     24
    .sgpr_spill_count: 0
    .symbol:         _ZN2at6native12_GLOBAL__N_125multi_tensor_apply_kernelINS1_18TensorListMetadataILi2EEENS1_11CopyFunctorIlN3c1015Float8_e4m3fnuzELi2ELi1ELi1EEEJNS0_4CopyIlS7_EEEEEvT_T0_DpT1_.kd
    .uniform_work_group_size: 1
    .uses_dynamic_stack: false
    .vgpr_count:     42
    .vgpr_spill_count: 0
    .wavefront_size: 32
    .workgroup_processor_mode: 1
  - .args:
      - .offset:         0
        .size:           3144
        .value_kind:     by_value
      - .offset:         3144
        .size:           1
        .value_kind:     by_value
      - .offset:         3145
        .size:           1
        .value_kind:     by_value
      - .offset:         3152
        .size:           4
        .value_kind:     hidden_block_count_x
      - .offset:         3156
        .size:           4
        .value_kind:     hidden_block_count_y
      - .offset:         3160
        .size:           4
        .value_kind:     hidden_block_count_z
      - .offset:         3164
        .size:           2
        .value_kind:     hidden_group_size_x
      - .offset:         3166
        .size:           2
        .value_kind:     hidden_group_size_y
      - .offset:         3168
        .size:           2
        .value_kind:     hidden_group_size_z
      - .offset:         3170
        .size:           2
        .value_kind:     hidden_remainder_x
      - .offset:         3172
        .size:           2
        .value_kind:     hidden_remainder_y
      - .offset:         3174
        .size:           2
        .value_kind:     hidden_remainder_z
      - .offset:         3192
        .size:           8
        .value_kind:     hidden_global_offset_x
      - .offset:         3200
        .size:           8
        .value_kind:     hidden_global_offset_y
      - .offset:         3208
        .size:           8
        .value_kind:     hidden_global_offset_z
      - .offset:         3216
        .size:           2
        .value_kind:     hidden_grid_dims
    .group_segment_fixed_size: 0
    .kernarg_segment_align: 8
    .kernarg_segment_size: 3408
    .language:       OpenCL C
    .language_version:
      - 2
      - 0
    .max_flat_workgroup_size: 512
    .name:           _ZN2at6native12_GLOBAL__N_125multi_tensor_apply_kernelINS1_18TensorListMetadataILi2EEENS1_11CopyFunctorIlN3c1011Float8_e5m2ELi2ELi1ELi1EEEJNS0_4CopyIlS7_EEEEEvT_T0_DpT1_
    .private_segment_fixed_size: 0
    .sgpr_count:     24
    .sgpr_spill_count: 0
    .symbol:         _ZN2at6native12_GLOBAL__N_125multi_tensor_apply_kernelINS1_18TensorListMetadataILi2EEENS1_11CopyFunctorIlN3c1011Float8_e5m2ELi2ELi1ELi1EEEJNS0_4CopyIlS7_EEEEEvT_T0_DpT1_.kd
    .uniform_work_group_size: 1
    .uses_dynamic_stack: false
    .vgpr_count:     33
    .vgpr_spill_count: 0
    .wavefront_size: 32
    .workgroup_processor_mode: 1
  - .args:
      - .offset:         0
        .size:           3144
        .value_kind:     by_value
      - .offset:         3144
        .size:           1
        .value_kind:     by_value
      - .offset:         3145
        .size:           1
        .value_kind:     by_value
      - .offset:         3152
        .size:           4
        .value_kind:     hidden_block_count_x
      - .offset:         3156
        .size:           4
        .value_kind:     hidden_block_count_y
      - .offset:         3160
        .size:           4
        .value_kind:     hidden_block_count_z
      - .offset:         3164
        .size:           2
        .value_kind:     hidden_group_size_x
      - .offset:         3166
        .size:           2
        .value_kind:     hidden_group_size_y
      - .offset:         3168
        .size:           2
        .value_kind:     hidden_group_size_z
      - .offset:         3170
        .size:           2
        .value_kind:     hidden_remainder_x
      - .offset:         3172
        .size:           2
        .value_kind:     hidden_remainder_y
      - .offset:         3174
        .size:           2
        .value_kind:     hidden_remainder_z
      - .offset:         3192
        .size:           8
        .value_kind:     hidden_global_offset_x
      - .offset:         3200
        .size:           8
        .value_kind:     hidden_global_offset_y
      - .offset:         3208
        .size:           8
        .value_kind:     hidden_global_offset_z
      - .offset:         3216
        .size:           2
        .value_kind:     hidden_grid_dims
    .group_segment_fixed_size: 0
    .kernarg_segment_align: 8
    .kernarg_segment_size: 3408
    .language:       OpenCL C
    .language_version:
      - 2
      - 0
    .max_flat_workgroup_size: 512
    .name:           _ZN2at6native12_GLOBAL__N_125multi_tensor_apply_kernelINS1_18TensorListMetadataILi2EEENS1_11CopyFunctorIlN3c1015Float8_e5m2fnuzELi2ELi1ELi1EEEJNS0_4CopyIlS7_EEEEEvT_T0_DpT1_
    .private_segment_fixed_size: 0
    .sgpr_count:     24
    .sgpr_spill_count: 0
    .symbol:         _ZN2at6native12_GLOBAL__N_125multi_tensor_apply_kernelINS1_18TensorListMetadataILi2EEENS1_11CopyFunctorIlN3c1015Float8_e5m2fnuzELi2ELi1ELi1EEEJNS0_4CopyIlS7_EEEEEvT_T0_DpT1_.kd
    .uniform_work_group_size: 1
    .uses_dynamic_stack: false
    .vgpr_count:     42
    .vgpr_spill_count: 0
    .wavefront_size: 32
    .workgroup_processor_mode: 1
  - .args:
      - .offset:         0
        .size:           3144
        .value_kind:     by_value
      - .offset:         3144
        .size:           1
        .value_kind:     by_value
      - .offset:         3145
        .size:           1
        .value_kind:     by_value
      - .offset:         3152
        .size:           4
        .value_kind:     hidden_block_count_x
      - .offset:         3156
        .size:           4
        .value_kind:     hidden_block_count_y
      - .offset:         3160
        .size:           4
        .value_kind:     hidden_block_count_z
      - .offset:         3164
        .size:           2
        .value_kind:     hidden_group_size_x
      - .offset:         3166
        .size:           2
        .value_kind:     hidden_group_size_y
      - .offset:         3168
        .size:           2
        .value_kind:     hidden_group_size_z
      - .offset:         3170
        .size:           2
        .value_kind:     hidden_remainder_x
      - .offset:         3172
        .size:           2
        .value_kind:     hidden_remainder_y
      - .offset:         3174
        .size:           2
        .value_kind:     hidden_remainder_z
      - .offset:         3192
        .size:           8
        .value_kind:     hidden_global_offset_x
      - .offset:         3200
        .size:           8
        .value_kind:     hidden_global_offset_y
      - .offset:         3208
        .size:           8
        .value_kind:     hidden_global_offset_z
      - .offset:         3216
        .size:           2
        .value_kind:     hidden_grid_dims
    .group_segment_fixed_size: 0
    .kernarg_segment_align: 8
    .kernarg_segment_size: 3408
    .language:       OpenCL C
    .language_version:
      - 2
      - 0
    .max_flat_workgroup_size: 512
    .name:           _ZN2at6native12_GLOBAL__N_125multi_tensor_apply_kernelINS1_18TensorListMetadataILi2EEENS1_11CopyFunctorIshLi2ELi1ELi1EEEJNS0_4CopyIshEEEEEvT_T0_DpT1_
    .private_segment_fixed_size: 0
    .sgpr_count:     22
    .sgpr_spill_count: 0
    .symbol:         _ZN2at6native12_GLOBAL__N_125multi_tensor_apply_kernelINS1_18TensorListMetadataILi2EEENS1_11CopyFunctorIshLi2ELi1ELi1EEEJNS0_4CopyIshEEEEEvT_T0_DpT1_.kd
    .uniform_work_group_size: 1
    .uses_dynamic_stack: false
    .vgpr_count:     32
    .vgpr_spill_count: 0
    .wavefront_size: 32
    .workgroup_processor_mode: 1
  - .args:
      - .offset:         0
        .size:           3144
        .value_kind:     by_value
      - .offset:         3144
        .size:           1
        .value_kind:     by_value
      - .offset:         3145
        .size:           1
        .value_kind:     by_value
      - .offset:         3152
        .size:           4
        .value_kind:     hidden_block_count_x
      - .offset:         3156
        .size:           4
        .value_kind:     hidden_block_count_y
      - .offset:         3160
        .size:           4
        .value_kind:     hidden_block_count_z
      - .offset:         3164
        .size:           2
        .value_kind:     hidden_group_size_x
      - .offset:         3166
        .size:           2
        .value_kind:     hidden_group_size_y
      - .offset:         3168
        .size:           2
        .value_kind:     hidden_group_size_z
      - .offset:         3170
        .size:           2
        .value_kind:     hidden_remainder_x
      - .offset:         3172
        .size:           2
        .value_kind:     hidden_remainder_y
      - .offset:         3174
        .size:           2
        .value_kind:     hidden_remainder_z
      - .offset:         3192
        .size:           8
        .value_kind:     hidden_global_offset_x
      - .offset:         3200
        .size:           8
        .value_kind:     hidden_global_offset_y
      - .offset:         3208
        .size:           8
        .value_kind:     hidden_global_offset_z
      - .offset:         3216
        .size:           2
        .value_kind:     hidden_grid_dims
    .group_segment_fixed_size: 0
    .kernarg_segment_align: 8
    .kernarg_segment_size: 3408
    .language:       OpenCL C
    .language_version:
      - 2
      - 0
    .max_flat_workgroup_size: 512
    .name:           _ZN2at6native12_GLOBAL__N_125multi_tensor_apply_kernelINS1_18TensorListMetadataILi2EEENS1_11CopyFunctorIsaLi2ELi1ELi1EEEJNS0_4CopyIsaEEEEEvT_T0_DpT1_
    .private_segment_fixed_size: 0
    .sgpr_count:     22
    .sgpr_spill_count: 0
    .symbol:         _ZN2at6native12_GLOBAL__N_125multi_tensor_apply_kernelINS1_18TensorListMetadataILi2EEENS1_11CopyFunctorIsaLi2ELi1ELi1EEEJNS0_4CopyIsaEEEEEvT_T0_DpT1_.kd
    .uniform_work_group_size: 1
    .uses_dynamic_stack: false
    .vgpr_count:     32
    .vgpr_spill_count: 0
    .wavefront_size: 32
    .workgroup_processor_mode: 1
  - .args:
      - .offset:         0
        .size:           3144
        .value_kind:     by_value
      - .offset:         3144
        .size:           1
        .value_kind:     by_value
      - .offset:         3145
        .size:           1
        .value_kind:     by_value
      - .offset:         3152
        .size:           4
        .value_kind:     hidden_block_count_x
      - .offset:         3156
        .size:           4
        .value_kind:     hidden_block_count_y
      - .offset:         3160
        .size:           4
        .value_kind:     hidden_block_count_z
      - .offset:         3164
        .size:           2
        .value_kind:     hidden_group_size_x
      - .offset:         3166
        .size:           2
        .value_kind:     hidden_group_size_y
      - .offset:         3168
        .size:           2
        .value_kind:     hidden_group_size_z
      - .offset:         3170
        .size:           2
        .value_kind:     hidden_remainder_x
      - .offset:         3172
        .size:           2
        .value_kind:     hidden_remainder_y
      - .offset:         3174
        .size:           2
        .value_kind:     hidden_remainder_z
      - .offset:         3192
        .size:           8
        .value_kind:     hidden_global_offset_x
      - .offset:         3200
        .size:           8
        .value_kind:     hidden_global_offset_y
      - .offset:         3208
        .size:           8
        .value_kind:     hidden_global_offset_z
      - .offset:         3216
        .size:           2
        .value_kind:     hidden_grid_dims
    .group_segment_fixed_size: 0
    .kernarg_segment_align: 8
    .kernarg_segment_size: 3408
    .language:       OpenCL C
    .language_version:
      - 2
      - 0
    .max_flat_workgroup_size: 512
    .name:           _ZN2at6native12_GLOBAL__N_125multi_tensor_apply_kernelINS1_18TensorListMetadataILi2EEENS1_11CopyFunctorIslLi2ELi1ELi1EEEJNS0_4CopyIslEEEEEvT_T0_DpT1_
    .private_segment_fixed_size: 0
    .sgpr_count:     22
    .sgpr_spill_count: 0
    .symbol:         _ZN2at6native12_GLOBAL__N_125multi_tensor_apply_kernelINS1_18TensorListMetadataILi2EEENS1_11CopyFunctorIslLi2ELi1ELi1EEEJNS0_4CopyIslEEEEEvT_T0_DpT1_.kd
    .uniform_work_group_size: 1
    .uses_dynamic_stack: false
    .vgpr_count:     33
    .vgpr_spill_count: 0
    .wavefront_size: 32
    .workgroup_processor_mode: 1
  - .args:
      - .offset:         0
        .size:           3144
        .value_kind:     by_value
      - .offset:         3144
        .size:           1
        .value_kind:     by_value
      - .offset:         3145
        .size:           1
        .value_kind:     by_value
      - .offset:         3152
        .size:           4
        .value_kind:     hidden_block_count_x
      - .offset:         3156
        .size:           4
        .value_kind:     hidden_block_count_y
      - .offset:         3160
        .size:           4
        .value_kind:     hidden_block_count_z
      - .offset:         3164
        .size:           2
        .value_kind:     hidden_group_size_x
      - .offset:         3166
        .size:           2
        .value_kind:     hidden_group_size_y
      - .offset:         3168
        .size:           2
        .value_kind:     hidden_group_size_z
      - .offset:         3170
        .size:           2
        .value_kind:     hidden_remainder_x
      - .offset:         3172
        .size:           2
        .value_kind:     hidden_remainder_y
      - .offset:         3174
        .size:           2
        .value_kind:     hidden_remainder_z
      - .offset:         3192
        .size:           8
        .value_kind:     hidden_global_offset_x
      - .offset:         3200
        .size:           8
        .value_kind:     hidden_global_offset_y
      - .offset:         3208
        .size:           8
        .value_kind:     hidden_global_offset_z
      - .offset:         3216
        .size:           2
        .value_kind:     hidden_grid_dims
    .group_segment_fixed_size: 0
    .kernarg_segment_align: 8
    .kernarg_segment_size: 3408
    .language:       OpenCL C
    .language_version:
      - 2
      - 0
    .max_flat_workgroup_size: 512
    .name:           _ZN2at6native12_GLOBAL__N_125multi_tensor_apply_kernelINS1_18TensorListMetadataILi2EEENS1_14UnaryOpFunctorIsLi2ELi1ELi1EEEJNS0_4CopyIssEEEEEvT_T0_DpT1_
    .private_segment_fixed_size: 0
    .sgpr_count:     20
    .sgpr_spill_count: 0
    .symbol:         _ZN2at6native12_GLOBAL__N_125multi_tensor_apply_kernelINS1_18TensorListMetadataILi2EEENS1_14UnaryOpFunctorIsLi2ELi1ELi1EEEJNS0_4CopyIssEEEEEvT_T0_DpT1_.kd
    .uniform_work_group_size: 1
    .uses_dynamic_stack: false
    .vgpr_count:     29
    .vgpr_spill_count: 0
    .wavefront_size: 32
    .workgroup_processor_mode: 1
  - .args:
      - .offset:         0
        .size:           3144
        .value_kind:     by_value
      - .offset:         3144
        .size:           1
        .value_kind:     by_value
      - .offset:         3145
        .size:           1
        .value_kind:     by_value
      - .offset:         3152
        .size:           4
        .value_kind:     hidden_block_count_x
      - .offset:         3156
        .size:           4
        .value_kind:     hidden_block_count_y
      - .offset:         3160
        .size:           4
        .value_kind:     hidden_block_count_z
      - .offset:         3164
        .size:           2
        .value_kind:     hidden_group_size_x
      - .offset:         3166
        .size:           2
        .value_kind:     hidden_group_size_y
      - .offset:         3168
        .size:           2
        .value_kind:     hidden_group_size_z
      - .offset:         3170
        .size:           2
        .value_kind:     hidden_remainder_x
      - .offset:         3172
        .size:           2
        .value_kind:     hidden_remainder_y
      - .offset:         3174
        .size:           2
        .value_kind:     hidden_remainder_z
      - .offset:         3192
        .size:           8
        .value_kind:     hidden_global_offset_x
      - .offset:         3200
        .size:           8
        .value_kind:     hidden_global_offset_y
      - .offset:         3208
        .size:           8
        .value_kind:     hidden_global_offset_z
      - .offset:         3216
        .size:           2
        .value_kind:     hidden_grid_dims
    .group_segment_fixed_size: 0
    .kernarg_segment_align: 8
    .kernarg_segment_size: 3408
    .language:       OpenCL C
    .language_version:
      - 2
      - 0
    .max_flat_workgroup_size: 512
    .name:           _ZN2at6native12_GLOBAL__N_125multi_tensor_apply_kernelINS1_18TensorListMetadataILi2EEENS1_11CopyFunctorIsiLi2ELi1ELi1EEEJNS0_4CopyIsiEEEEEvT_T0_DpT1_
    .private_segment_fixed_size: 0
    .sgpr_count:     22
    .sgpr_spill_count: 0
    .symbol:         _ZN2at6native12_GLOBAL__N_125multi_tensor_apply_kernelINS1_18TensorListMetadataILi2EEENS1_11CopyFunctorIsiLi2ELi1ELi1EEEJNS0_4CopyIsiEEEEEvT_T0_DpT1_.kd
    .uniform_work_group_size: 1
    .uses_dynamic_stack: false
    .vgpr_count:     31
    .vgpr_spill_count: 0
    .wavefront_size: 32
    .workgroup_processor_mode: 1
  - .args:
      - .offset:         0
        .size:           3144
        .value_kind:     by_value
      - .offset:         3144
        .size:           1
        .value_kind:     by_value
      - .offset:         3145
        .size:           1
        .value_kind:     by_value
      - .offset:         3152
        .size:           4
        .value_kind:     hidden_block_count_x
      - .offset:         3156
        .size:           4
        .value_kind:     hidden_block_count_y
      - .offset:         3160
        .size:           4
        .value_kind:     hidden_block_count_z
      - .offset:         3164
        .size:           2
        .value_kind:     hidden_group_size_x
      - .offset:         3166
        .size:           2
        .value_kind:     hidden_group_size_y
      - .offset:         3168
        .size:           2
        .value_kind:     hidden_group_size_z
      - .offset:         3170
        .size:           2
        .value_kind:     hidden_remainder_x
      - .offset:         3172
        .size:           2
        .value_kind:     hidden_remainder_y
      - .offset:         3174
        .size:           2
        .value_kind:     hidden_remainder_z
      - .offset:         3192
        .size:           8
        .value_kind:     hidden_global_offset_x
      - .offset:         3200
        .size:           8
        .value_kind:     hidden_global_offset_y
      - .offset:         3208
        .size:           8
        .value_kind:     hidden_global_offset_z
      - .offset:         3216
        .size:           2
        .value_kind:     hidden_grid_dims
    .group_segment_fixed_size: 0
    .kernarg_segment_align: 8
    .kernarg_segment_size: 3408
    .language:       OpenCL C
    .language_version:
      - 2
      - 0
    .max_flat_workgroup_size: 512
    .name:           _ZN2at6native12_GLOBAL__N_125multi_tensor_apply_kernelINS1_18TensorListMetadataILi2EEENS1_11CopyFunctorIsdLi2ELi1ELi1EEEJNS0_4CopyIsdEEEEEvT_T0_DpT1_
    .private_segment_fixed_size: 0
    .sgpr_count:     22
    .sgpr_spill_count: 0
    .symbol:         _ZN2at6native12_GLOBAL__N_125multi_tensor_apply_kernelINS1_18TensorListMetadataILi2EEENS1_11CopyFunctorIsdLi2ELi1ELi1EEEJNS0_4CopyIsdEEEEEvT_T0_DpT1_.kd
    .uniform_work_group_size: 1
    .uses_dynamic_stack: false
    .vgpr_count:     33
    .vgpr_spill_count: 0
    .wavefront_size: 32
    .workgroup_processor_mode: 1
  - .args:
      - .offset:         0
        .size:           3144
        .value_kind:     by_value
      - .offset:         3144
        .size:           1
        .value_kind:     by_value
      - .offset:         3145
        .size:           1
        .value_kind:     by_value
      - .offset:         3152
        .size:           4
        .value_kind:     hidden_block_count_x
      - .offset:         3156
        .size:           4
        .value_kind:     hidden_block_count_y
      - .offset:         3160
        .size:           4
        .value_kind:     hidden_block_count_z
      - .offset:         3164
        .size:           2
        .value_kind:     hidden_group_size_x
      - .offset:         3166
        .size:           2
        .value_kind:     hidden_group_size_y
      - .offset:         3168
        .size:           2
        .value_kind:     hidden_group_size_z
      - .offset:         3170
        .size:           2
        .value_kind:     hidden_remainder_x
      - .offset:         3172
        .size:           2
        .value_kind:     hidden_remainder_y
      - .offset:         3174
        .size:           2
        .value_kind:     hidden_remainder_z
      - .offset:         3192
        .size:           8
        .value_kind:     hidden_global_offset_x
      - .offset:         3200
        .size:           8
        .value_kind:     hidden_global_offset_y
      - .offset:         3208
        .size:           8
        .value_kind:     hidden_global_offset_z
      - .offset:         3216
        .size:           2
        .value_kind:     hidden_grid_dims
    .group_segment_fixed_size: 0
    .kernarg_segment_align: 8
    .kernarg_segment_size: 3408
    .language:       OpenCL C
    .language_version:
      - 2
      - 0
    .max_flat_workgroup_size: 512
    .name:           _ZN2at6native12_GLOBAL__N_125multi_tensor_apply_kernelINS1_18TensorListMetadataILi2EEENS1_11CopyFunctorIsfLi2ELi1ELi1EEEJNS0_4CopyIsfEEEEEvT_T0_DpT1_
    .private_segment_fixed_size: 0
    .sgpr_count:     22
    .sgpr_spill_count: 0
    .symbol:         _ZN2at6native12_GLOBAL__N_125multi_tensor_apply_kernelINS1_18TensorListMetadataILi2EEENS1_11CopyFunctorIsfLi2ELi1ELi1EEEJNS0_4CopyIsfEEEEEvT_T0_DpT1_.kd
    .uniform_work_group_size: 1
    .uses_dynamic_stack: false
    .vgpr_count:     31
    .vgpr_spill_count: 0
    .wavefront_size: 32
    .workgroup_processor_mode: 1
  - .args:
      - .offset:         0
        .size:           3144
        .value_kind:     by_value
      - .offset:         3144
        .size:           1
        .value_kind:     by_value
      - .offset:         3145
        .size:           1
        .value_kind:     by_value
      - .offset:         3152
        .size:           4
        .value_kind:     hidden_block_count_x
      - .offset:         3156
        .size:           4
        .value_kind:     hidden_block_count_y
      - .offset:         3160
        .size:           4
        .value_kind:     hidden_block_count_z
      - .offset:         3164
        .size:           2
        .value_kind:     hidden_group_size_x
      - .offset:         3166
        .size:           2
        .value_kind:     hidden_group_size_y
      - .offset:         3168
        .size:           2
        .value_kind:     hidden_group_size_z
      - .offset:         3170
        .size:           2
        .value_kind:     hidden_remainder_x
      - .offset:         3172
        .size:           2
        .value_kind:     hidden_remainder_y
      - .offset:         3174
        .size:           2
        .value_kind:     hidden_remainder_z
      - .offset:         3192
        .size:           8
        .value_kind:     hidden_global_offset_x
      - .offset:         3200
        .size:           8
        .value_kind:     hidden_global_offset_y
      - .offset:         3208
        .size:           8
        .value_kind:     hidden_global_offset_z
      - .offset:         3216
        .size:           2
        .value_kind:     hidden_grid_dims
    .group_segment_fixed_size: 0
    .kernarg_segment_align: 8
    .kernarg_segment_size: 3408
    .language:       OpenCL C
    .language_version:
      - 2
      - 0
    .max_flat_workgroup_size: 512
    .name:           _ZN2at6native12_GLOBAL__N_125multi_tensor_apply_kernelINS1_18TensorListMetadataILi2EEENS1_11CopyFunctorIsN3c107complexIdEELi2ELi1ELi1EEEJNS0_4CopyIsS8_EEEEEvT_T0_DpT1_
    .private_segment_fixed_size: 0
    .sgpr_count:     22
    .sgpr_spill_count: 0
    .symbol:         _ZN2at6native12_GLOBAL__N_125multi_tensor_apply_kernelINS1_18TensorListMetadataILi2EEENS1_11CopyFunctorIsN3c107complexIdEELi2ELi1ELi1EEEJNS0_4CopyIsS8_EEEEEvT_T0_DpT1_.kd
    .uniform_work_group_size: 1
    .uses_dynamic_stack: false
    .vgpr_count:     33
    .vgpr_spill_count: 0
    .wavefront_size: 32
    .workgroup_processor_mode: 1
  - .args:
      - .offset:         0
        .size:           3144
        .value_kind:     by_value
      - .offset:         3144
        .size:           1
        .value_kind:     by_value
      - .offset:         3145
        .size:           1
        .value_kind:     by_value
      - .offset:         3152
        .size:           4
        .value_kind:     hidden_block_count_x
      - .offset:         3156
        .size:           4
        .value_kind:     hidden_block_count_y
      - .offset:         3160
        .size:           4
        .value_kind:     hidden_block_count_z
      - .offset:         3164
        .size:           2
        .value_kind:     hidden_group_size_x
      - .offset:         3166
        .size:           2
        .value_kind:     hidden_group_size_y
      - .offset:         3168
        .size:           2
        .value_kind:     hidden_group_size_z
      - .offset:         3170
        .size:           2
        .value_kind:     hidden_remainder_x
      - .offset:         3172
        .size:           2
        .value_kind:     hidden_remainder_y
      - .offset:         3174
        .size:           2
        .value_kind:     hidden_remainder_z
      - .offset:         3192
        .size:           8
        .value_kind:     hidden_global_offset_x
      - .offset:         3200
        .size:           8
        .value_kind:     hidden_global_offset_y
      - .offset:         3208
        .size:           8
        .value_kind:     hidden_global_offset_z
      - .offset:         3216
        .size:           2
        .value_kind:     hidden_grid_dims
    .group_segment_fixed_size: 0
    .kernarg_segment_align: 8
    .kernarg_segment_size: 3408
    .language:       OpenCL C
    .language_version:
      - 2
      - 0
    .max_flat_workgroup_size: 512
    .name:           _ZN2at6native12_GLOBAL__N_125multi_tensor_apply_kernelINS1_18TensorListMetadataILi2EEENS1_11CopyFunctorIsN3c107complexIfEELi2ELi1ELi1EEEJNS0_4CopyIsS8_EEEEEvT_T0_DpT1_
    .private_segment_fixed_size: 0
    .sgpr_count:     22
    .sgpr_spill_count: 0
    .symbol:         _ZN2at6native12_GLOBAL__N_125multi_tensor_apply_kernelINS1_18TensorListMetadataILi2EEENS1_11CopyFunctorIsN3c107complexIfEELi2ELi1ELi1EEEJNS0_4CopyIsS8_EEEEEvT_T0_DpT1_.kd
    .uniform_work_group_size: 1
    .uses_dynamic_stack: false
    .vgpr_count:     31
    .vgpr_spill_count: 0
    .wavefront_size: 32
    .workgroup_processor_mode: 1
  - .args:
      - .offset:         0
        .size:           3144
        .value_kind:     by_value
      - .offset:         3144
        .size:           1
        .value_kind:     by_value
      - .offset:         3145
        .size:           1
        .value_kind:     by_value
      - .offset:         3152
        .size:           4
        .value_kind:     hidden_block_count_x
      - .offset:         3156
        .size:           4
        .value_kind:     hidden_block_count_y
      - .offset:         3160
        .size:           4
        .value_kind:     hidden_block_count_z
      - .offset:         3164
        .size:           2
        .value_kind:     hidden_group_size_x
      - .offset:         3166
        .size:           2
        .value_kind:     hidden_group_size_y
      - .offset:         3168
        .size:           2
        .value_kind:     hidden_group_size_z
      - .offset:         3170
        .size:           2
        .value_kind:     hidden_remainder_x
      - .offset:         3172
        .size:           2
        .value_kind:     hidden_remainder_y
      - .offset:         3174
        .size:           2
        .value_kind:     hidden_remainder_z
      - .offset:         3192
        .size:           8
        .value_kind:     hidden_global_offset_x
      - .offset:         3200
        .size:           8
        .value_kind:     hidden_global_offset_y
      - .offset:         3208
        .size:           8
        .value_kind:     hidden_global_offset_z
      - .offset:         3216
        .size:           2
        .value_kind:     hidden_grid_dims
    .group_segment_fixed_size: 0
    .kernarg_segment_align: 8
    .kernarg_segment_size: 3408
    .language:       OpenCL C
    .language_version:
      - 2
      - 0
    .max_flat_workgroup_size: 512
    .name:           _ZN2at6native12_GLOBAL__N_125multi_tensor_apply_kernelINS1_18TensorListMetadataILi2EEENS1_11CopyFunctorIsN3c104HalfELi2ELi1ELi1EEEJNS0_4CopyIsS7_EEEEEvT_T0_DpT1_
    .private_segment_fixed_size: 0
    .sgpr_count:     18
    .sgpr_spill_count: 0
    .symbol:         _ZN2at6native12_GLOBAL__N_125multi_tensor_apply_kernelINS1_18TensorListMetadataILi2EEENS1_11CopyFunctorIsN3c104HalfELi2ELi1ELi1EEEJNS0_4CopyIsS7_EEEEEvT_T0_DpT1_.kd
    .uniform_work_group_size: 1
    .uses_dynamic_stack: false
    .vgpr_count:     31
    .vgpr_spill_count: 0
    .wavefront_size: 32
    .workgroup_processor_mode: 1
  - .args:
      - .offset:         0
        .size:           3144
        .value_kind:     by_value
      - .offset:         3144
        .size:           1
        .value_kind:     by_value
      - .offset:         3145
        .size:           1
        .value_kind:     by_value
      - .offset:         3152
        .size:           4
        .value_kind:     hidden_block_count_x
      - .offset:         3156
        .size:           4
        .value_kind:     hidden_block_count_y
      - .offset:         3160
        .size:           4
        .value_kind:     hidden_block_count_z
      - .offset:         3164
        .size:           2
        .value_kind:     hidden_group_size_x
      - .offset:         3166
        .size:           2
        .value_kind:     hidden_group_size_y
      - .offset:         3168
        .size:           2
        .value_kind:     hidden_group_size_z
      - .offset:         3170
        .size:           2
        .value_kind:     hidden_remainder_x
      - .offset:         3172
        .size:           2
        .value_kind:     hidden_remainder_y
      - .offset:         3174
        .size:           2
        .value_kind:     hidden_remainder_z
      - .offset:         3192
        .size:           8
        .value_kind:     hidden_global_offset_x
      - .offset:         3200
        .size:           8
        .value_kind:     hidden_global_offset_y
      - .offset:         3208
        .size:           8
        .value_kind:     hidden_global_offset_z
      - .offset:         3216
        .size:           2
        .value_kind:     hidden_grid_dims
    .group_segment_fixed_size: 0
    .kernarg_segment_align: 8
    .kernarg_segment_size: 3408
    .language:       OpenCL C
    .language_version:
      - 2
      - 0
    .max_flat_workgroup_size: 512
    .name:           _ZN2at6native12_GLOBAL__N_125multi_tensor_apply_kernelINS1_18TensorListMetadataILi2EEENS1_11CopyFunctorIsN3c108BFloat16ELi2ELi1ELi1EEEJNS0_4CopyIsS7_EEEEEvT_T0_DpT1_
    .private_segment_fixed_size: 0
    .sgpr_count:     18
    .sgpr_spill_count: 0
    .symbol:         _ZN2at6native12_GLOBAL__N_125multi_tensor_apply_kernelINS1_18TensorListMetadataILi2EEENS1_11CopyFunctorIsN3c108BFloat16ELi2ELi1ELi1EEEJNS0_4CopyIsS7_EEEEEvT_T0_DpT1_.kd
    .uniform_work_group_size: 1
    .uses_dynamic_stack: false
    .vgpr_count:     31
    .vgpr_spill_count: 0
    .wavefront_size: 32
    .workgroup_processor_mode: 1
  - .args:
      - .offset:         0
        .size:           3144
        .value_kind:     by_value
      - .offset:         3144
        .size:           1
        .value_kind:     by_value
      - .offset:         3145
        .size:           1
        .value_kind:     by_value
      - .offset:         3152
        .size:           4
        .value_kind:     hidden_block_count_x
      - .offset:         3156
        .size:           4
        .value_kind:     hidden_block_count_y
      - .offset:         3160
        .size:           4
        .value_kind:     hidden_block_count_z
      - .offset:         3164
        .size:           2
        .value_kind:     hidden_group_size_x
      - .offset:         3166
        .size:           2
        .value_kind:     hidden_group_size_y
      - .offset:         3168
        .size:           2
        .value_kind:     hidden_group_size_z
      - .offset:         3170
        .size:           2
        .value_kind:     hidden_remainder_x
      - .offset:         3172
        .size:           2
        .value_kind:     hidden_remainder_y
      - .offset:         3174
        .size:           2
        .value_kind:     hidden_remainder_z
      - .offset:         3192
        .size:           8
        .value_kind:     hidden_global_offset_x
      - .offset:         3200
        .size:           8
        .value_kind:     hidden_global_offset_y
      - .offset:         3208
        .size:           8
        .value_kind:     hidden_global_offset_z
      - .offset:         3216
        .size:           2
        .value_kind:     hidden_grid_dims
    .group_segment_fixed_size: 0
    .kernarg_segment_align: 8
    .kernarg_segment_size: 3408
    .language:       OpenCL C
    .language_version:
      - 2
      - 0
    .max_flat_workgroup_size: 512
    .name:           _ZN2at6native12_GLOBAL__N_125multi_tensor_apply_kernelINS1_18TensorListMetadataILi2EEENS1_11CopyFunctorIsbLi2ELi1ELi1EEEJNS0_4CopyIsbEEEEEvT_T0_DpT1_
    .private_segment_fixed_size: 0
    .sgpr_count:     22
    .sgpr_spill_count: 0
    .symbol:         _ZN2at6native12_GLOBAL__N_125multi_tensor_apply_kernelINS1_18TensorListMetadataILi2EEENS1_11CopyFunctorIsbLi2ELi1ELi1EEEJNS0_4CopyIsbEEEEEvT_T0_DpT1_.kd
    .uniform_work_group_size: 1
    .uses_dynamic_stack: false
    .vgpr_count:     32
    .vgpr_spill_count: 0
    .wavefront_size: 32
    .workgroup_processor_mode: 1
  - .args:
      - .offset:         0
        .size:           3144
        .value_kind:     by_value
      - .offset:         3144
        .size:           1
        .value_kind:     by_value
      - .offset:         3145
        .size:           1
        .value_kind:     by_value
      - .offset:         3152
        .size:           4
        .value_kind:     hidden_block_count_x
      - .offset:         3156
        .size:           4
        .value_kind:     hidden_block_count_y
      - .offset:         3160
        .size:           4
        .value_kind:     hidden_block_count_z
      - .offset:         3164
        .size:           2
        .value_kind:     hidden_group_size_x
      - .offset:         3166
        .size:           2
        .value_kind:     hidden_group_size_y
      - .offset:         3168
        .size:           2
        .value_kind:     hidden_group_size_z
      - .offset:         3170
        .size:           2
        .value_kind:     hidden_remainder_x
      - .offset:         3172
        .size:           2
        .value_kind:     hidden_remainder_y
      - .offset:         3174
        .size:           2
        .value_kind:     hidden_remainder_z
      - .offset:         3192
        .size:           8
        .value_kind:     hidden_global_offset_x
      - .offset:         3200
        .size:           8
        .value_kind:     hidden_global_offset_y
      - .offset:         3208
        .size:           8
        .value_kind:     hidden_global_offset_z
      - .offset:         3216
        .size:           2
        .value_kind:     hidden_grid_dims
    .group_segment_fixed_size: 0
    .kernarg_segment_align: 8
    .kernarg_segment_size: 3408
    .language:       OpenCL C
    .language_version:
      - 2
      - 0
    .max_flat_workgroup_size: 512
    .name:           _ZN2at6native12_GLOBAL__N_125multi_tensor_apply_kernelINS1_18TensorListMetadataILi2EEENS1_11CopyFunctorIsN3c1013Float8_e4m3fnELi2ELi1ELi1EEEJNS0_4CopyIsS7_EEEEEvT_T0_DpT1_
    .private_segment_fixed_size: 0
    .sgpr_count:     23
    .sgpr_spill_count: 0
    .symbol:         _ZN2at6native12_GLOBAL__N_125multi_tensor_apply_kernelINS1_18TensorListMetadataILi2EEENS1_11CopyFunctorIsN3c1013Float8_e4m3fnELi2ELi1ELi1EEEJNS0_4CopyIsS7_EEEEEvT_T0_DpT1_.kd
    .uniform_work_group_size: 1
    .uses_dynamic_stack: false
    .vgpr_count:     33
    .vgpr_spill_count: 0
    .wavefront_size: 32
    .workgroup_processor_mode: 1
  - .args:
      - .offset:         0
        .size:           3144
        .value_kind:     by_value
      - .offset:         3144
        .size:           1
        .value_kind:     by_value
      - .offset:         3145
        .size:           1
        .value_kind:     by_value
      - .offset:         3152
        .size:           4
        .value_kind:     hidden_block_count_x
      - .offset:         3156
        .size:           4
        .value_kind:     hidden_block_count_y
      - .offset:         3160
        .size:           4
        .value_kind:     hidden_block_count_z
      - .offset:         3164
        .size:           2
        .value_kind:     hidden_group_size_x
      - .offset:         3166
        .size:           2
        .value_kind:     hidden_group_size_y
      - .offset:         3168
        .size:           2
        .value_kind:     hidden_group_size_z
      - .offset:         3170
        .size:           2
        .value_kind:     hidden_remainder_x
      - .offset:         3172
        .size:           2
        .value_kind:     hidden_remainder_y
      - .offset:         3174
        .size:           2
        .value_kind:     hidden_remainder_z
      - .offset:         3192
        .size:           8
        .value_kind:     hidden_global_offset_x
      - .offset:         3200
        .size:           8
        .value_kind:     hidden_global_offset_y
      - .offset:         3208
        .size:           8
        .value_kind:     hidden_global_offset_z
      - .offset:         3216
        .size:           2
        .value_kind:     hidden_grid_dims
    .group_segment_fixed_size: 0
    .kernarg_segment_align: 8
    .kernarg_segment_size: 3408
    .language:       OpenCL C
    .language_version:
      - 2
      - 0
    .max_flat_workgroup_size: 512
    .name:           _ZN2at6native12_GLOBAL__N_125multi_tensor_apply_kernelINS1_18TensorListMetadataILi2EEENS1_11CopyFunctorIsN3c1015Float8_e4m3fnuzELi2ELi1ELi1EEEJNS0_4CopyIsS7_EEEEEvT_T0_DpT1_
    .private_segment_fixed_size: 0
    .sgpr_count:     23
    .sgpr_spill_count: 0
    .symbol:         _ZN2at6native12_GLOBAL__N_125multi_tensor_apply_kernelINS1_18TensorListMetadataILi2EEENS1_11CopyFunctorIsN3c1015Float8_e4m3fnuzELi2ELi1ELi1EEEJNS0_4CopyIsS7_EEEEEvT_T0_DpT1_.kd
    .uniform_work_group_size: 1
    .uses_dynamic_stack: false
    .vgpr_count:     39
    .vgpr_spill_count: 0
    .wavefront_size: 32
    .workgroup_processor_mode: 1
  - .args:
      - .offset:         0
        .size:           3144
        .value_kind:     by_value
      - .offset:         3144
        .size:           1
        .value_kind:     by_value
      - .offset:         3145
        .size:           1
        .value_kind:     by_value
      - .offset:         3152
        .size:           4
        .value_kind:     hidden_block_count_x
      - .offset:         3156
        .size:           4
        .value_kind:     hidden_block_count_y
      - .offset:         3160
        .size:           4
        .value_kind:     hidden_block_count_z
      - .offset:         3164
        .size:           2
        .value_kind:     hidden_group_size_x
      - .offset:         3166
        .size:           2
        .value_kind:     hidden_group_size_y
      - .offset:         3168
        .size:           2
        .value_kind:     hidden_group_size_z
      - .offset:         3170
        .size:           2
        .value_kind:     hidden_remainder_x
      - .offset:         3172
        .size:           2
        .value_kind:     hidden_remainder_y
      - .offset:         3174
        .size:           2
        .value_kind:     hidden_remainder_z
      - .offset:         3192
        .size:           8
        .value_kind:     hidden_global_offset_x
      - .offset:         3200
        .size:           8
        .value_kind:     hidden_global_offset_y
      - .offset:         3208
        .size:           8
        .value_kind:     hidden_global_offset_z
      - .offset:         3216
        .size:           2
        .value_kind:     hidden_grid_dims
    .group_segment_fixed_size: 0
    .kernarg_segment_align: 8
    .kernarg_segment_size: 3408
    .language:       OpenCL C
    .language_version:
      - 2
      - 0
    .max_flat_workgroup_size: 512
    .name:           _ZN2at6native12_GLOBAL__N_125multi_tensor_apply_kernelINS1_18TensorListMetadataILi2EEENS1_11CopyFunctorIsN3c1011Float8_e5m2ELi2ELi1ELi1EEEJNS0_4CopyIsS7_EEEEEvT_T0_DpT1_
    .private_segment_fixed_size: 0
    .sgpr_count:     24
    .sgpr_spill_count: 0
    .symbol:         _ZN2at6native12_GLOBAL__N_125multi_tensor_apply_kernelINS1_18TensorListMetadataILi2EEENS1_11CopyFunctorIsN3c1011Float8_e5m2ELi2ELi1ELi1EEEJNS0_4CopyIsS7_EEEEEvT_T0_DpT1_.kd
    .uniform_work_group_size: 1
    .uses_dynamic_stack: false
    .vgpr_count:     33
    .vgpr_spill_count: 0
    .wavefront_size: 32
    .workgroup_processor_mode: 1
  - .args:
      - .offset:         0
        .size:           3144
        .value_kind:     by_value
      - .offset:         3144
        .size:           1
        .value_kind:     by_value
      - .offset:         3145
        .size:           1
        .value_kind:     by_value
      - .offset:         3152
        .size:           4
        .value_kind:     hidden_block_count_x
      - .offset:         3156
        .size:           4
        .value_kind:     hidden_block_count_y
      - .offset:         3160
        .size:           4
        .value_kind:     hidden_block_count_z
      - .offset:         3164
        .size:           2
        .value_kind:     hidden_group_size_x
      - .offset:         3166
        .size:           2
        .value_kind:     hidden_group_size_y
      - .offset:         3168
        .size:           2
        .value_kind:     hidden_group_size_z
      - .offset:         3170
        .size:           2
        .value_kind:     hidden_remainder_x
      - .offset:         3172
        .size:           2
        .value_kind:     hidden_remainder_y
      - .offset:         3174
        .size:           2
        .value_kind:     hidden_remainder_z
      - .offset:         3192
        .size:           8
        .value_kind:     hidden_global_offset_x
      - .offset:         3200
        .size:           8
        .value_kind:     hidden_global_offset_y
      - .offset:         3208
        .size:           8
        .value_kind:     hidden_global_offset_z
      - .offset:         3216
        .size:           2
        .value_kind:     hidden_grid_dims
    .group_segment_fixed_size: 0
    .kernarg_segment_align: 8
    .kernarg_segment_size: 3408
    .language:       OpenCL C
    .language_version:
      - 2
      - 0
    .max_flat_workgroup_size: 512
    .name:           _ZN2at6native12_GLOBAL__N_125multi_tensor_apply_kernelINS1_18TensorListMetadataILi2EEENS1_11CopyFunctorIsN3c1015Float8_e5m2fnuzELi2ELi1ELi1EEEJNS0_4CopyIsS7_EEEEEvT_T0_DpT1_
    .private_segment_fixed_size: 0
    .sgpr_count:     23
    .sgpr_spill_count: 0
    .symbol:         _ZN2at6native12_GLOBAL__N_125multi_tensor_apply_kernelINS1_18TensorListMetadataILi2EEENS1_11CopyFunctorIsN3c1015Float8_e5m2fnuzELi2ELi1ELi1EEEJNS0_4CopyIsS7_EEEEEvT_T0_DpT1_.kd
    .uniform_work_group_size: 1
    .uses_dynamic_stack: false
    .vgpr_count:     39
    .vgpr_spill_count: 0
    .wavefront_size: 32
    .workgroup_processor_mode: 1
  - .args:
      - .offset:         0
        .size:           3144
        .value_kind:     by_value
      - .offset:         3144
        .size:           1
        .value_kind:     by_value
      - .offset:         3145
        .size:           1
        .value_kind:     by_value
      - .offset:         3152
        .size:           4
        .value_kind:     hidden_block_count_x
      - .offset:         3156
        .size:           4
        .value_kind:     hidden_block_count_y
      - .offset:         3160
        .size:           4
        .value_kind:     hidden_block_count_z
      - .offset:         3164
        .size:           2
        .value_kind:     hidden_group_size_x
      - .offset:         3166
        .size:           2
        .value_kind:     hidden_group_size_y
      - .offset:         3168
        .size:           2
        .value_kind:     hidden_group_size_z
      - .offset:         3170
        .size:           2
        .value_kind:     hidden_remainder_x
      - .offset:         3172
        .size:           2
        .value_kind:     hidden_remainder_y
      - .offset:         3174
        .size:           2
        .value_kind:     hidden_remainder_z
      - .offset:         3192
        .size:           8
        .value_kind:     hidden_global_offset_x
      - .offset:         3200
        .size:           8
        .value_kind:     hidden_global_offset_y
      - .offset:         3208
        .size:           8
        .value_kind:     hidden_global_offset_z
      - .offset:         3216
        .size:           2
        .value_kind:     hidden_grid_dims
    .group_segment_fixed_size: 0
    .kernarg_segment_align: 8
    .kernarg_segment_size: 3408
    .language:       OpenCL C
    .language_version:
      - 2
      - 0
    .max_flat_workgroup_size: 512
    .name:           _ZN2at6native12_GLOBAL__N_125multi_tensor_apply_kernelINS1_18TensorListMetadataILi2EEENS1_11CopyFunctorIdhLi2ELi1ELi1EEEJNS0_4CopyIdhEEEEEvT_T0_DpT1_
    .private_segment_fixed_size: 0
    .sgpr_count:     23
    .sgpr_spill_count: 0
    .symbol:         _ZN2at6native12_GLOBAL__N_125multi_tensor_apply_kernelINS1_18TensorListMetadataILi2EEENS1_11CopyFunctorIdhLi2ELi1ELi1EEEJNS0_4CopyIdhEEEEEvT_T0_DpT1_.kd
    .uniform_work_group_size: 1
    .uses_dynamic_stack: false
    .vgpr_count:     32
    .vgpr_spill_count: 0
    .wavefront_size: 32
    .workgroup_processor_mode: 1
  - .args:
      - .offset:         0
        .size:           3144
        .value_kind:     by_value
      - .offset:         3144
        .size:           1
        .value_kind:     by_value
      - .offset:         3145
        .size:           1
        .value_kind:     by_value
      - .offset:         3152
        .size:           4
        .value_kind:     hidden_block_count_x
      - .offset:         3156
        .size:           4
        .value_kind:     hidden_block_count_y
      - .offset:         3160
        .size:           4
        .value_kind:     hidden_block_count_z
      - .offset:         3164
        .size:           2
        .value_kind:     hidden_group_size_x
      - .offset:         3166
        .size:           2
        .value_kind:     hidden_group_size_y
      - .offset:         3168
        .size:           2
        .value_kind:     hidden_group_size_z
      - .offset:         3170
        .size:           2
        .value_kind:     hidden_remainder_x
      - .offset:         3172
        .size:           2
        .value_kind:     hidden_remainder_y
      - .offset:         3174
        .size:           2
        .value_kind:     hidden_remainder_z
      - .offset:         3192
        .size:           8
        .value_kind:     hidden_global_offset_x
      - .offset:         3200
        .size:           8
        .value_kind:     hidden_global_offset_y
      - .offset:         3208
        .size:           8
        .value_kind:     hidden_global_offset_z
      - .offset:         3216
        .size:           2
        .value_kind:     hidden_grid_dims
    .group_segment_fixed_size: 0
    .kernarg_segment_align: 8
    .kernarg_segment_size: 3408
    .language:       OpenCL C
    .language_version:
      - 2
      - 0
    .max_flat_workgroup_size: 512
    .name:           _ZN2at6native12_GLOBAL__N_125multi_tensor_apply_kernelINS1_18TensorListMetadataILi2EEENS1_11CopyFunctorIdaLi2ELi1ELi1EEEJNS0_4CopyIdaEEEEEvT_T0_DpT1_
    .private_segment_fixed_size: 0
    .sgpr_count:     23
    .sgpr_spill_count: 0
    .symbol:         _ZN2at6native12_GLOBAL__N_125multi_tensor_apply_kernelINS1_18TensorListMetadataILi2EEENS1_11CopyFunctorIdaLi2ELi1ELi1EEEJNS0_4CopyIdaEEEEEvT_T0_DpT1_.kd
    .uniform_work_group_size: 1
    .uses_dynamic_stack: false
    .vgpr_count:     32
    .vgpr_spill_count: 0
    .wavefront_size: 32
    .workgroup_processor_mode: 1
  - .args:
      - .offset:         0
        .size:           3144
        .value_kind:     by_value
      - .offset:         3144
        .size:           1
        .value_kind:     by_value
      - .offset:         3145
        .size:           1
        .value_kind:     by_value
      - .offset:         3152
        .size:           4
        .value_kind:     hidden_block_count_x
      - .offset:         3156
        .size:           4
        .value_kind:     hidden_block_count_y
      - .offset:         3160
        .size:           4
        .value_kind:     hidden_block_count_z
      - .offset:         3164
        .size:           2
        .value_kind:     hidden_group_size_x
      - .offset:         3166
        .size:           2
        .value_kind:     hidden_group_size_y
      - .offset:         3168
        .size:           2
        .value_kind:     hidden_group_size_z
      - .offset:         3170
        .size:           2
        .value_kind:     hidden_remainder_x
      - .offset:         3172
        .size:           2
        .value_kind:     hidden_remainder_y
      - .offset:         3174
        .size:           2
        .value_kind:     hidden_remainder_z
      - .offset:         3192
        .size:           8
        .value_kind:     hidden_global_offset_x
      - .offset:         3200
        .size:           8
        .value_kind:     hidden_global_offset_y
      - .offset:         3208
        .size:           8
        .value_kind:     hidden_global_offset_z
      - .offset:         3216
        .size:           2
        .value_kind:     hidden_grid_dims
    .group_segment_fixed_size: 0
    .kernarg_segment_align: 8
    .kernarg_segment_size: 3408
    .language:       OpenCL C
    .language_version:
      - 2
      - 0
    .max_flat_workgroup_size: 512
    .name:           _ZN2at6native12_GLOBAL__N_125multi_tensor_apply_kernelINS1_18TensorListMetadataILi2EEENS1_11CopyFunctorIdlLi2ELi1ELi1EEEJNS0_4CopyIdlEEEEEvT_T0_DpT1_
    .private_segment_fixed_size: 0
    .sgpr_count:     24
    .sgpr_spill_count: 0
    .symbol:         _ZN2at6native12_GLOBAL__N_125multi_tensor_apply_kernelINS1_18TensorListMetadataILi2EEENS1_11CopyFunctorIdlLi2ELi1ELi1EEEJNS0_4CopyIdlEEEEEvT_T0_DpT1_.kd
    .uniform_work_group_size: 1
    .uses_dynamic_stack: false
    .vgpr_count:     36
    .vgpr_spill_count: 0
    .wavefront_size: 32
    .workgroup_processor_mode: 1
  - .args:
      - .offset:         0
        .size:           3144
        .value_kind:     by_value
      - .offset:         3144
        .size:           1
        .value_kind:     by_value
      - .offset:         3145
        .size:           1
        .value_kind:     by_value
      - .offset:         3152
        .size:           4
        .value_kind:     hidden_block_count_x
      - .offset:         3156
        .size:           4
        .value_kind:     hidden_block_count_y
      - .offset:         3160
        .size:           4
        .value_kind:     hidden_block_count_z
      - .offset:         3164
        .size:           2
        .value_kind:     hidden_group_size_x
      - .offset:         3166
        .size:           2
        .value_kind:     hidden_group_size_y
      - .offset:         3168
        .size:           2
        .value_kind:     hidden_group_size_z
      - .offset:         3170
        .size:           2
        .value_kind:     hidden_remainder_x
      - .offset:         3172
        .size:           2
        .value_kind:     hidden_remainder_y
      - .offset:         3174
        .size:           2
        .value_kind:     hidden_remainder_z
      - .offset:         3192
        .size:           8
        .value_kind:     hidden_global_offset_x
      - .offset:         3200
        .size:           8
        .value_kind:     hidden_global_offset_y
      - .offset:         3208
        .size:           8
        .value_kind:     hidden_global_offset_z
      - .offset:         3216
        .size:           2
        .value_kind:     hidden_grid_dims
    .group_segment_fixed_size: 0
    .kernarg_segment_align: 8
    .kernarg_segment_size: 3408
    .language:       OpenCL C
    .language_version:
      - 2
      - 0
    .max_flat_workgroup_size: 512
    .name:           _ZN2at6native12_GLOBAL__N_125multi_tensor_apply_kernelINS1_18TensorListMetadataILi2EEENS1_11CopyFunctorIdsLi2ELi1ELi1EEEJNS0_4CopyIdsEEEEEvT_T0_DpT1_
    .private_segment_fixed_size: 0
    .sgpr_count:     22
    .sgpr_spill_count: 0
    .symbol:         _ZN2at6native12_GLOBAL__N_125multi_tensor_apply_kernelINS1_18TensorListMetadataILi2EEENS1_11CopyFunctorIdsLi2ELi1ELi1EEEJNS0_4CopyIdsEEEEEvT_T0_DpT1_.kd
    .uniform_work_group_size: 1
    .uses_dynamic_stack: false
    .vgpr_count:     29
    .vgpr_spill_count: 0
    .wavefront_size: 32
    .workgroup_processor_mode: 1
  - .args:
      - .offset:         0
        .size:           3144
        .value_kind:     by_value
      - .offset:         3144
        .size:           1
        .value_kind:     by_value
      - .offset:         3145
        .size:           1
        .value_kind:     by_value
      - .offset:         3152
        .size:           4
        .value_kind:     hidden_block_count_x
      - .offset:         3156
        .size:           4
        .value_kind:     hidden_block_count_y
      - .offset:         3160
        .size:           4
        .value_kind:     hidden_block_count_z
      - .offset:         3164
        .size:           2
        .value_kind:     hidden_group_size_x
      - .offset:         3166
        .size:           2
        .value_kind:     hidden_group_size_y
      - .offset:         3168
        .size:           2
        .value_kind:     hidden_group_size_z
      - .offset:         3170
        .size:           2
        .value_kind:     hidden_remainder_x
      - .offset:         3172
        .size:           2
        .value_kind:     hidden_remainder_y
      - .offset:         3174
        .size:           2
        .value_kind:     hidden_remainder_z
      - .offset:         3192
        .size:           8
        .value_kind:     hidden_global_offset_x
      - .offset:         3200
        .size:           8
        .value_kind:     hidden_global_offset_y
      - .offset:         3208
        .size:           8
        .value_kind:     hidden_global_offset_z
      - .offset:         3216
        .size:           2
        .value_kind:     hidden_grid_dims
    .group_segment_fixed_size: 0
    .kernarg_segment_align: 8
    .kernarg_segment_size: 3408
    .language:       OpenCL C
    .language_version:
      - 2
      - 0
    .max_flat_workgroup_size: 512
    .name:           _ZN2at6native12_GLOBAL__N_125multi_tensor_apply_kernelINS1_18TensorListMetadataILi2EEENS1_11CopyFunctorIdiLi2ELi1ELi1EEEJNS0_4CopyIdiEEEEEvT_T0_DpT1_
    .private_segment_fixed_size: 0
    .sgpr_count:     22
    .sgpr_spill_count: 0
    .symbol:         _ZN2at6native12_GLOBAL__N_125multi_tensor_apply_kernelINS1_18TensorListMetadataILi2EEENS1_11CopyFunctorIdiLi2ELi1ELi1EEEJNS0_4CopyIdiEEEEEvT_T0_DpT1_.kd
    .uniform_work_group_size: 1
    .uses_dynamic_stack: false
    .vgpr_count:     31
    .vgpr_spill_count: 0
    .wavefront_size: 32
    .workgroup_processor_mode: 1
  - .args:
      - .offset:         0
        .size:           3144
        .value_kind:     by_value
      - .offset:         3144
        .size:           1
        .value_kind:     by_value
      - .offset:         3145
        .size:           1
        .value_kind:     by_value
      - .offset:         3152
        .size:           4
        .value_kind:     hidden_block_count_x
      - .offset:         3156
        .size:           4
        .value_kind:     hidden_block_count_y
      - .offset:         3160
        .size:           4
        .value_kind:     hidden_block_count_z
      - .offset:         3164
        .size:           2
        .value_kind:     hidden_group_size_x
      - .offset:         3166
        .size:           2
        .value_kind:     hidden_group_size_y
      - .offset:         3168
        .size:           2
        .value_kind:     hidden_group_size_z
      - .offset:         3170
        .size:           2
        .value_kind:     hidden_remainder_x
      - .offset:         3172
        .size:           2
        .value_kind:     hidden_remainder_y
      - .offset:         3174
        .size:           2
        .value_kind:     hidden_remainder_z
      - .offset:         3192
        .size:           8
        .value_kind:     hidden_global_offset_x
      - .offset:         3200
        .size:           8
        .value_kind:     hidden_global_offset_y
      - .offset:         3208
        .size:           8
        .value_kind:     hidden_global_offset_z
      - .offset:         3216
        .size:           2
        .value_kind:     hidden_grid_dims
    .group_segment_fixed_size: 0
    .kernarg_segment_align: 8
    .kernarg_segment_size: 3408
    .language:       OpenCL C
    .language_version:
      - 2
      - 0
    .max_flat_workgroup_size: 512
    .name:           _ZN2at6native12_GLOBAL__N_125multi_tensor_apply_kernelINS1_18TensorListMetadataILi2EEENS1_14UnaryOpFunctorIdLi2ELi1ELi1EEEJNS0_4CopyIddEEEEEvT_T0_DpT1_
    .private_segment_fixed_size: 0
    .sgpr_count:     24
    .sgpr_spill_count: 0
    .symbol:         _ZN2at6native12_GLOBAL__N_125multi_tensor_apply_kernelINS1_18TensorListMetadataILi2EEENS1_14UnaryOpFunctorIdLi2ELi1ELi1EEEJNS0_4CopyIddEEEEEvT_T0_DpT1_.kd
    .uniform_work_group_size: 1
    .uses_dynamic_stack: false
    .vgpr_count:     33
    .vgpr_spill_count: 0
    .wavefront_size: 32
    .workgroup_processor_mode: 1
  - .args:
      - .offset:         0
        .size:           3144
        .value_kind:     by_value
      - .offset:         3144
        .size:           1
        .value_kind:     by_value
      - .offset:         3145
        .size:           1
        .value_kind:     by_value
      - .offset:         3152
        .size:           4
        .value_kind:     hidden_block_count_x
      - .offset:         3156
        .size:           4
        .value_kind:     hidden_block_count_y
      - .offset:         3160
        .size:           4
        .value_kind:     hidden_block_count_z
      - .offset:         3164
        .size:           2
        .value_kind:     hidden_group_size_x
      - .offset:         3166
        .size:           2
        .value_kind:     hidden_group_size_y
      - .offset:         3168
        .size:           2
        .value_kind:     hidden_group_size_z
      - .offset:         3170
        .size:           2
        .value_kind:     hidden_remainder_x
      - .offset:         3172
        .size:           2
        .value_kind:     hidden_remainder_y
      - .offset:         3174
        .size:           2
        .value_kind:     hidden_remainder_z
      - .offset:         3192
        .size:           8
        .value_kind:     hidden_global_offset_x
      - .offset:         3200
        .size:           8
        .value_kind:     hidden_global_offset_y
      - .offset:         3208
        .size:           8
        .value_kind:     hidden_global_offset_z
      - .offset:         3216
        .size:           2
        .value_kind:     hidden_grid_dims
    .group_segment_fixed_size: 0
    .kernarg_segment_align: 8
    .kernarg_segment_size: 3408
    .language:       OpenCL C
    .language_version:
      - 2
      - 0
    .max_flat_workgroup_size: 512
    .name:           _ZN2at6native12_GLOBAL__N_125multi_tensor_apply_kernelINS1_18TensorListMetadataILi2EEENS1_11CopyFunctorIdfLi2ELi1ELi1EEEJNS0_4CopyIdfEEEEEvT_T0_DpT1_
    .private_segment_fixed_size: 0
    .sgpr_count:     22
    .sgpr_spill_count: 0
    .symbol:         _ZN2at6native12_GLOBAL__N_125multi_tensor_apply_kernelINS1_18TensorListMetadataILi2EEENS1_11CopyFunctorIdfLi2ELi1ELi1EEEJNS0_4CopyIdfEEEEEvT_T0_DpT1_.kd
    .uniform_work_group_size: 1
    .uses_dynamic_stack: false
    .vgpr_count:     31
    .vgpr_spill_count: 0
    .wavefront_size: 32
    .workgroup_processor_mode: 1
  - .args:
      - .offset:         0
        .size:           3144
        .value_kind:     by_value
      - .offset:         3144
        .size:           1
        .value_kind:     by_value
      - .offset:         3145
        .size:           1
        .value_kind:     by_value
      - .offset:         3152
        .size:           4
        .value_kind:     hidden_block_count_x
      - .offset:         3156
        .size:           4
        .value_kind:     hidden_block_count_y
      - .offset:         3160
        .size:           4
        .value_kind:     hidden_block_count_z
      - .offset:         3164
        .size:           2
        .value_kind:     hidden_group_size_x
      - .offset:         3166
        .size:           2
        .value_kind:     hidden_group_size_y
      - .offset:         3168
        .size:           2
        .value_kind:     hidden_group_size_z
      - .offset:         3170
        .size:           2
        .value_kind:     hidden_remainder_x
      - .offset:         3172
        .size:           2
        .value_kind:     hidden_remainder_y
      - .offset:         3174
        .size:           2
        .value_kind:     hidden_remainder_z
      - .offset:         3192
        .size:           8
        .value_kind:     hidden_global_offset_x
      - .offset:         3200
        .size:           8
        .value_kind:     hidden_global_offset_y
      - .offset:         3208
        .size:           8
        .value_kind:     hidden_global_offset_z
      - .offset:         3216
        .size:           2
        .value_kind:     hidden_grid_dims
    .group_segment_fixed_size: 0
    .kernarg_segment_align: 8
    .kernarg_segment_size: 3408
    .language:       OpenCL C
    .language_version:
      - 2
      - 0
    .max_flat_workgroup_size: 512
    .name:           _ZN2at6native12_GLOBAL__N_125multi_tensor_apply_kernelINS1_18TensorListMetadataILi2EEENS1_11CopyFunctorIdN3c107complexIdEELi2ELi1ELi1EEEJNS0_4CopyIdS8_EEEEEvT_T0_DpT1_
    .private_segment_fixed_size: 0
    .sgpr_count:     22
    .sgpr_spill_count: 0
    .symbol:         _ZN2at6native12_GLOBAL__N_125multi_tensor_apply_kernelINS1_18TensorListMetadataILi2EEENS1_11CopyFunctorIdN3c107complexIdEELi2ELi1ELi1EEEJNS0_4CopyIdS8_EEEEEvT_T0_DpT1_.kd
    .uniform_work_group_size: 1
    .uses_dynamic_stack: false
    .vgpr_count:     33
    .vgpr_spill_count: 0
    .wavefront_size: 32
    .workgroup_processor_mode: 1
  - .args:
      - .offset:         0
        .size:           3144
        .value_kind:     by_value
      - .offset:         3144
        .size:           1
        .value_kind:     by_value
      - .offset:         3145
        .size:           1
        .value_kind:     by_value
      - .offset:         3152
        .size:           4
        .value_kind:     hidden_block_count_x
      - .offset:         3156
        .size:           4
        .value_kind:     hidden_block_count_y
      - .offset:         3160
        .size:           4
        .value_kind:     hidden_block_count_z
      - .offset:         3164
        .size:           2
        .value_kind:     hidden_group_size_x
      - .offset:         3166
        .size:           2
        .value_kind:     hidden_group_size_y
      - .offset:         3168
        .size:           2
        .value_kind:     hidden_group_size_z
      - .offset:         3170
        .size:           2
        .value_kind:     hidden_remainder_x
      - .offset:         3172
        .size:           2
        .value_kind:     hidden_remainder_y
      - .offset:         3174
        .size:           2
        .value_kind:     hidden_remainder_z
      - .offset:         3192
        .size:           8
        .value_kind:     hidden_global_offset_x
      - .offset:         3200
        .size:           8
        .value_kind:     hidden_global_offset_y
      - .offset:         3208
        .size:           8
        .value_kind:     hidden_global_offset_z
      - .offset:         3216
        .size:           2
        .value_kind:     hidden_grid_dims
    .group_segment_fixed_size: 0
    .kernarg_segment_align: 8
    .kernarg_segment_size: 3408
    .language:       OpenCL C
    .language_version:
      - 2
      - 0
    .max_flat_workgroup_size: 512
    .name:           _ZN2at6native12_GLOBAL__N_125multi_tensor_apply_kernelINS1_18TensorListMetadataILi2EEENS1_11CopyFunctorIdN3c107complexIfEELi2ELi1ELi1EEEJNS0_4CopyIdS8_EEEEEvT_T0_DpT1_
    .private_segment_fixed_size: 0
    .sgpr_count:     24
    .sgpr_spill_count: 0
    .symbol:         _ZN2at6native12_GLOBAL__N_125multi_tensor_apply_kernelINS1_18TensorListMetadataILi2EEENS1_11CopyFunctorIdN3c107complexIfEELi2ELi1ELi1EEEJNS0_4CopyIdS8_EEEEEvT_T0_DpT1_.kd
    .uniform_work_group_size: 1
    .uses_dynamic_stack: false
    .vgpr_count:     32
    .vgpr_spill_count: 0
    .wavefront_size: 32
    .workgroup_processor_mode: 1
  - .args:
      - .offset:         0
        .size:           3144
        .value_kind:     by_value
      - .offset:         3144
        .size:           1
        .value_kind:     by_value
      - .offset:         3145
        .size:           1
        .value_kind:     by_value
      - .offset:         3152
        .size:           4
        .value_kind:     hidden_block_count_x
      - .offset:         3156
        .size:           4
        .value_kind:     hidden_block_count_y
      - .offset:         3160
        .size:           4
        .value_kind:     hidden_block_count_z
      - .offset:         3164
        .size:           2
        .value_kind:     hidden_group_size_x
      - .offset:         3166
        .size:           2
        .value_kind:     hidden_group_size_y
      - .offset:         3168
        .size:           2
        .value_kind:     hidden_group_size_z
      - .offset:         3170
        .size:           2
        .value_kind:     hidden_remainder_x
      - .offset:         3172
        .size:           2
        .value_kind:     hidden_remainder_y
      - .offset:         3174
        .size:           2
        .value_kind:     hidden_remainder_z
      - .offset:         3192
        .size:           8
        .value_kind:     hidden_global_offset_x
      - .offset:         3200
        .size:           8
        .value_kind:     hidden_global_offset_y
      - .offset:         3208
        .size:           8
        .value_kind:     hidden_global_offset_z
      - .offset:         3216
        .size:           2
        .value_kind:     hidden_grid_dims
    .group_segment_fixed_size: 0
    .kernarg_segment_align: 8
    .kernarg_segment_size: 3408
    .language:       OpenCL C
    .language_version:
      - 2
      - 0
    .max_flat_workgroup_size: 512
    .name:           _ZN2at6native12_GLOBAL__N_125multi_tensor_apply_kernelINS1_18TensorListMetadataILi2EEENS1_11CopyFunctorIdN3c104HalfELi2ELi1ELi1EEEJNS0_4CopyIdS7_EEEEEvT_T0_DpT1_
    .private_segment_fixed_size: 0
    .sgpr_count:     22
    .sgpr_spill_count: 0
    .symbol:         _ZN2at6native12_GLOBAL__N_125multi_tensor_apply_kernelINS1_18TensorListMetadataILi2EEENS1_11CopyFunctorIdN3c104HalfELi2ELi1ELi1EEEJNS0_4CopyIdS7_EEEEEvT_T0_DpT1_.kd
    .uniform_work_group_size: 1
    .uses_dynamic_stack: false
    .vgpr_count:     31
    .vgpr_spill_count: 0
    .wavefront_size: 32
    .workgroup_processor_mode: 1
  - .args:
      - .offset:         0
        .size:           3144
        .value_kind:     by_value
      - .offset:         3144
        .size:           1
        .value_kind:     by_value
      - .offset:         3145
        .size:           1
        .value_kind:     by_value
      - .offset:         3152
        .size:           4
        .value_kind:     hidden_block_count_x
      - .offset:         3156
        .size:           4
        .value_kind:     hidden_block_count_y
      - .offset:         3160
        .size:           4
        .value_kind:     hidden_block_count_z
      - .offset:         3164
        .size:           2
        .value_kind:     hidden_group_size_x
      - .offset:         3166
        .size:           2
        .value_kind:     hidden_group_size_y
      - .offset:         3168
        .size:           2
        .value_kind:     hidden_group_size_z
      - .offset:         3170
        .size:           2
        .value_kind:     hidden_remainder_x
      - .offset:         3172
        .size:           2
        .value_kind:     hidden_remainder_y
      - .offset:         3174
        .size:           2
        .value_kind:     hidden_remainder_z
      - .offset:         3192
        .size:           8
        .value_kind:     hidden_global_offset_x
      - .offset:         3200
        .size:           8
        .value_kind:     hidden_global_offset_y
      - .offset:         3208
        .size:           8
        .value_kind:     hidden_global_offset_z
      - .offset:         3216
        .size:           2
        .value_kind:     hidden_grid_dims
    .group_segment_fixed_size: 0
    .kernarg_segment_align: 8
    .kernarg_segment_size: 3408
    .language:       OpenCL C
    .language_version:
      - 2
      - 0
    .max_flat_workgroup_size: 512
    .name:           _ZN2at6native12_GLOBAL__N_125multi_tensor_apply_kernelINS1_18TensorListMetadataILi2EEENS1_11CopyFunctorIdN3c108BFloat16ELi2ELi1ELi1EEEJNS0_4CopyIdS7_EEEEEvT_T0_DpT1_
    .private_segment_fixed_size: 0
    .sgpr_count:     22
    .sgpr_spill_count: 0
    .symbol:         _ZN2at6native12_GLOBAL__N_125multi_tensor_apply_kernelINS1_18TensorListMetadataILi2EEENS1_11CopyFunctorIdN3c108BFloat16ELi2ELi1ELi1EEEJNS0_4CopyIdS7_EEEEEvT_T0_DpT1_.kd
    .uniform_work_group_size: 1
    .uses_dynamic_stack: false
    .vgpr_count:     31
    .vgpr_spill_count: 0
    .wavefront_size: 32
    .workgroup_processor_mode: 1
  - .args:
      - .offset:         0
        .size:           3144
        .value_kind:     by_value
      - .offset:         3144
        .size:           1
        .value_kind:     by_value
      - .offset:         3145
        .size:           1
        .value_kind:     by_value
      - .offset:         3152
        .size:           4
        .value_kind:     hidden_block_count_x
      - .offset:         3156
        .size:           4
        .value_kind:     hidden_block_count_y
      - .offset:         3160
        .size:           4
        .value_kind:     hidden_block_count_z
      - .offset:         3164
        .size:           2
        .value_kind:     hidden_group_size_x
      - .offset:         3166
        .size:           2
        .value_kind:     hidden_group_size_y
      - .offset:         3168
        .size:           2
        .value_kind:     hidden_group_size_z
      - .offset:         3170
        .size:           2
        .value_kind:     hidden_remainder_x
      - .offset:         3172
        .size:           2
        .value_kind:     hidden_remainder_y
      - .offset:         3174
        .size:           2
        .value_kind:     hidden_remainder_z
      - .offset:         3192
        .size:           8
        .value_kind:     hidden_global_offset_x
      - .offset:         3200
        .size:           8
        .value_kind:     hidden_global_offset_y
      - .offset:         3208
        .size:           8
        .value_kind:     hidden_global_offset_z
      - .offset:         3216
        .size:           2
        .value_kind:     hidden_grid_dims
    .group_segment_fixed_size: 0
    .kernarg_segment_align: 8
    .kernarg_segment_size: 3408
    .language:       OpenCL C
    .language_version:
      - 2
      - 0
    .max_flat_workgroup_size: 512
    .name:           _ZN2at6native12_GLOBAL__N_125multi_tensor_apply_kernelINS1_18TensorListMetadataILi2EEENS1_11CopyFunctorIdbLi2ELi1ELi1EEEJNS0_4CopyIdbEEEEEvT_T0_DpT1_
    .private_segment_fixed_size: 0
    .sgpr_count:     22
    .sgpr_spill_count: 0
    .symbol:         _ZN2at6native12_GLOBAL__N_125multi_tensor_apply_kernelINS1_18TensorListMetadataILi2EEENS1_11CopyFunctorIdbLi2ELi1ELi1EEEJNS0_4CopyIdbEEEEEvT_T0_DpT1_.kd
    .uniform_work_group_size: 1
    .uses_dynamic_stack: false
    .vgpr_count:     35
    .vgpr_spill_count: 0
    .wavefront_size: 32
    .workgroup_processor_mode: 1
  - .args:
      - .offset:         0
        .size:           3144
        .value_kind:     by_value
      - .offset:         3144
        .size:           1
        .value_kind:     by_value
      - .offset:         3145
        .size:           1
        .value_kind:     by_value
      - .offset:         3152
        .size:           4
        .value_kind:     hidden_block_count_x
      - .offset:         3156
        .size:           4
        .value_kind:     hidden_block_count_y
      - .offset:         3160
        .size:           4
        .value_kind:     hidden_block_count_z
      - .offset:         3164
        .size:           2
        .value_kind:     hidden_group_size_x
      - .offset:         3166
        .size:           2
        .value_kind:     hidden_group_size_y
      - .offset:         3168
        .size:           2
        .value_kind:     hidden_group_size_z
      - .offset:         3170
        .size:           2
        .value_kind:     hidden_remainder_x
      - .offset:         3172
        .size:           2
        .value_kind:     hidden_remainder_y
      - .offset:         3174
        .size:           2
        .value_kind:     hidden_remainder_z
      - .offset:         3192
        .size:           8
        .value_kind:     hidden_global_offset_x
      - .offset:         3200
        .size:           8
        .value_kind:     hidden_global_offset_y
      - .offset:         3208
        .size:           8
        .value_kind:     hidden_global_offset_z
      - .offset:         3216
        .size:           2
        .value_kind:     hidden_grid_dims
    .group_segment_fixed_size: 0
    .kernarg_segment_align: 8
    .kernarg_segment_size: 3408
    .language:       OpenCL C
    .language_version:
      - 2
      - 0
    .max_flat_workgroup_size: 512
    .name:           _ZN2at6native12_GLOBAL__N_125multi_tensor_apply_kernelINS1_18TensorListMetadataILi2EEENS1_11CopyFunctorIdN3c1013Float8_e4m3fnELi2ELi1ELi1EEEJNS0_4CopyIdS7_EEEEEvT_T0_DpT1_
    .private_segment_fixed_size: 0
    .sgpr_count:     22
    .sgpr_spill_count: 0
    .symbol:         _ZN2at6native12_GLOBAL__N_125multi_tensor_apply_kernelINS1_18TensorListMetadataILi2EEENS1_11CopyFunctorIdN3c1013Float8_e4m3fnELi2ELi1ELi1EEEJNS0_4CopyIdS7_EEEEEvT_T0_DpT1_.kd
    .uniform_work_group_size: 1
    .uses_dynamic_stack: false
    .vgpr_count:     33
    .vgpr_spill_count: 0
    .wavefront_size: 32
    .workgroup_processor_mode: 1
  - .args:
      - .offset:         0
        .size:           3144
        .value_kind:     by_value
      - .offset:         3144
        .size:           1
        .value_kind:     by_value
      - .offset:         3145
        .size:           1
        .value_kind:     by_value
      - .offset:         3152
        .size:           4
        .value_kind:     hidden_block_count_x
      - .offset:         3156
        .size:           4
        .value_kind:     hidden_block_count_y
      - .offset:         3160
        .size:           4
        .value_kind:     hidden_block_count_z
      - .offset:         3164
        .size:           2
        .value_kind:     hidden_group_size_x
      - .offset:         3166
        .size:           2
        .value_kind:     hidden_group_size_y
      - .offset:         3168
        .size:           2
        .value_kind:     hidden_group_size_z
      - .offset:         3170
        .size:           2
        .value_kind:     hidden_remainder_x
      - .offset:         3172
        .size:           2
        .value_kind:     hidden_remainder_y
      - .offset:         3174
        .size:           2
        .value_kind:     hidden_remainder_z
      - .offset:         3192
        .size:           8
        .value_kind:     hidden_global_offset_x
      - .offset:         3200
        .size:           8
        .value_kind:     hidden_global_offset_y
      - .offset:         3208
        .size:           8
        .value_kind:     hidden_global_offset_z
      - .offset:         3216
        .size:           2
        .value_kind:     hidden_grid_dims
    .group_segment_fixed_size: 0
    .kernarg_segment_align: 8
    .kernarg_segment_size: 3408
    .language:       OpenCL C
    .language_version:
      - 2
      - 0
    .max_flat_workgroup_size: 512
    .name:           _ZN2at6native12_GLOBAL__N_125multi_tensor_apply_kernelINS1_18TensorListMetadataILi2EEENS1_11CopyFunctorIdN3c1015Float8_e4m3fnuzELi2ELi1ELi1EEEJNS0_4CopyIdS7_EEEEEvT_T0_DpT1_
    .private_segment_fixed_size: 0
    .sgpr_count:     25
    .sgpr_spill_count: 0
    .symbol:         _ZN2at6native12_GLOBAL__N_125multi_tensor_apply_kernelINS1_18TensorListMetadataILi2EEENS1_11CopyFunctorIdN3c1015Float8_e4m3fnuzELi2ELi1ELi1EEEJNS0_4CopyIdS7_EEEEEvT_T0_DpT1_.kd
    .uniform_work_group_size: 1
    .uses_dynamic_stack: false
    .vgpr_count:     42
    .vgpr_spill_count: 0
    .wavefront_size: 32
    .workgroup_processor_mode: 1
  - .args:
      - .offset:         0
        .size:           3144
        .value_kind:     by_value
      - .offset:         3144
        .size:           1
        .value_kind:     by_value
      - .offset:         3145
        .size:           1
        .value_kind:     by_value
      - .offset:         3152
        .size:           4
        .value_kind:     hidden_block_count_x
      - .offset:         3156
        .size:           4
        .value_kind:     hidden_block_count_y
      - .offset:         3160
        .size:           4
        .value_kind:     hidden_block_count_z
      - .offset:         3164
        .size:           2
        .value_kind:     hidden_group_size_x
      - .offset:         3166
        .size:           2
        .value_kind:     hidden_group_size_y
      - .offset:         3168
        .size:           2
        .value_kind:     hidden_group_size_z
      - .offset:         3170
        .size:           2
        .value_kind:     hidden_remainder_x
      - .offset:         3172
        .size:           2
        .value_kind:     hidden_remainder_y
      - .offset:         3174
        .size:           2
        .value_kind:     hidden_remainder_z
      - .offset:         3192
        .size:           8
        .value_kind:     hidden_global_offset_x
      - .offset:         3200
        .size:           8
        .value_kind:     hidden_global_offset_y
      - .offset:         3208
        .size:           8
        .value_kind:     hidden_global_offset_z
      - .offset:         3216
        .size:           2
        .value_kind:     hidden_grid_dims
    .group_segment_fixed_size: 0
    .kernarg_segment_align: 8
    .kernarg_segment_size: 3408
    .language:       OpenCL C
    .language_version:
      - 2
      - 0
    .max_flat_workgroup_size: 512
    .name:           _ZN2at6native12_GLOBAL__N_125multi_tensor_apply_kernelINS1_18TensorListMetadataILi2EEENS1_11CopyFunctorIdN3c1011Float8_e5m2ELi2ELi1ELi1EEEJNS0_4CopyIdS7_EEEEEvT_T0_DpT1_
    .private_segment_fixed_size: 0
    .sgpr_count:     23
    .sgpr_spill_count: 0
    .symbol:         _ZN2at6native12_GLOBAL__N_125multi_tensor_apply_kernelINS1_18TensorListMetadataILi2EEENS1_11CopyFunctorIdN3c1011Float8_e5m2ELi2ELi1ELi1EEEJNS0_4CopyIdS7_EEEEEvT_T0_DpT1_.kd
    .uniform_work_group_size: 1
    .uses_dynamic_stack: false
    .vgpr_count:     33
    .vgpr_spill_count: 0
    .wavefront_size: 32
    .workgroup_processor_mode: 1
  - .args:
      - .offset:         0
        .size:           3144
        .value_kind:     by_value
      - .offset:         3144
        .size:           1
        .value_kind:     by_value
      - .offset:         3145
        .size:           1
        .value_kind:     by_value
      - .offset:         3152
        .size:           4
        .value_kind:     hidden_block_count_x
      - .offset:         3156
        .size:           4
        .value_kind:     hidden_block_count_y
      - .offset:         3160
        .size:           4
        .value_kind:     hidden_block_count_z
      - .offset:         3164
        .size:           2
        .value_kind:     hidden_group_size_x
      - .offset:         3166
        .size:           2
        .value_kind:     hidden_group_size_y
      - .offset:         3168
        .size:           2
        .value_kind:     hidden_group_size_z
      - .offset:         3170
        .size:           2
        .value_kind:     hidden_remainder_x
      - .offset:         3172
        .size:           2
        .value_kind:     hidden_remainder_y
      - .offset:         3174
        .size:           2
        .value_kind:     hidden_remainder_z
      - .offset:         3192
        .size:           8
        .value_kind:     hidden_global_offset_x
      - .offset:         3200
        .size:           8
        .value_kind:     hidden_global_offset_y
      - .offset:         3208
        .size:           8
        .value_kind:     hidden_global_offset_z
      - .offset:         3216
        .size:           2
        .value_kind:     hidden_grid_dims
    .group_segment_fixed_size: 0
    .kernarg_segment_align: 8
    .kernarg_segment_size: 3408
    .language:       OpenCL C
    .language_version:
      - 2
      - 0
    .max_flat_workgroup_size: 512
    .name:           _ZN2at6native12_GLOBAL__N_125multi_tensor_apply_kernelINS1_18TensorListMetadataILi2EEENS1_11CopyFunctorIdN3c1015Float8_e5m2fnuzELi2ELi1ELi1EEEJNS0_4CopyIdS7_EEEEEvT_T0_DpT1_
    .private_segment_fixed_size: 0
    .sgpr_count:     25
    .sgpr_spill_count: 0
    .symbol:         _ZN2at6native12_GLOBAL__N_125multi_tensor_apply_kernelINS1_18TensorListMetadataILi2EEENS1_11CopyFunctorIdN3c1015Float8_e5m2fnuzELi2ELi1ELi1EEEJNS0_4CopyIdS7_EEEEEvT_T0_DpT1_.kd
    .uniform_work_group_size: 1
    .uses_dynamic_stack: false
    .vgpr_count:     42
    .vgpr_spill_count: 0
    .wavefront_size: 32
    .workgroup_processor_mode: 1
  - .args:
      - .offset:         0
        .size:           3144
        .value_kind:     by_value
      - .offset:         3144
        .size:           1
        .value_kind:     by_value
      - .offset:         3145
        .size:           1
        .value_kind:     by_value
      - .offset:         3152
        .size:           4
        .value_kind:     hidden_block_count_x
      - .offset:         3156
        .size:           4
        .value_kind:     hidden_block_count_y
      - .offset:         3160
        .size:           4
        .value_kind:     hidden_block_count_z
      - .offset:         3164
        .size:           2
        .value_kind:     hidden_group_size_x
      - .offset:         3166
        .size:           2
        .value_kind:     hidden_group_size_y
      - .offset:         3168
        .size:           2
        .value_kind:     hidden_group_size_z
      - .offset:         3170
        .size:           2
        .value_kind:     hidden_remainder_x
      - .offset:         3172
        .size:           2
        .value_kind:     hidden_remainder_y
      - .offset:         3174
        .size:           2
        .value_kind:     hidden_remainder_z
      - .offset:         3192
        .size:           8
        .value_kind:     hidden_global_offset_x
      - .offset:         3200
        .size:           8
        .value_kind:     hidden_global_offset_y
      - .offset:         3208
        .size:           8
        .value_kind:     hidden_global_offset_z
      - .offset:         3216
        .size:           2
        .value_kind:     hidden_grid_dims
    .group_segment_fixed_size: 0
    .kernarg_segment_align: 8
    .kernarg_segment_size: 3408
    .language:       OpenCL C
    .language_version:
      - 2
      - 0
    .max_flat_workgroup_size: 512
    .name:           _ZN2at6native12_GLOBAL__N_125multi_tensor_apply_kernelINS1_18TensorListMetadataILi2EEENS1_11CopyFunctorIfhLi2ELi1ELi1EEEJNS0_4CopyIfhEEEEEvT_T0_DpT1_
    .private_segment_fixed_size: 0
    .sgpr_count:     23
    .sgpr_spill_count: 0
    .symbol:         _ZN2at6native12_GLOBAL__N_125multi_tensor_apply_kernelINS1_18TensorListMetadataILi2EEENS1_11CopyFunctorIfhLi2ELi1ELi1EEEJNS0_4CopyIfhEEEEEvT_T0_DpT1_.kd
    .uniform_work_group_size: 1
    .uses_dynamic_stack: false
    .vgpr_count:     32
    .vgpr_spill_count: 0
    .wavefront_size: 32
    .workgroup_processor_mode: 1
  - .args:
      - .offset:         0
        .size:           3144
        .value_kind:     by_value
      - .offset:         3144
        .size:           1
        .value_kind:     by_value
      - .offset:         3145
        .size:           1
        .value_kind:     by_value
      - .offset:         3152
        .size:           4
        .value_kind:     hidden_block_count_x
      - .offset:         3156
        .size:           4
        .value_kind:     hidden_block_count_y
      - .offset:         3160
        .size:           4
        .value_kind:     hidden_block_count_z
      - .offset:         3164
        .size:           2
        .value_kind:     hidden_group_size_x
      - .offset:         3166
        .size:           2
        .value_kind:     hidden_group_size_y
      - .offset:         3168
        .size:           2
        .value_kind:     hidden_group_size_z
      - .offset:         3170
        .size:           2
        .value_kind:     hidden_remainder_x
      - .offset:         3172
        .size:           2
        .value_kind:     hidden_remainder_y
      - .offset:         3174
        .size:           2
        .value_kind:     hidden_remainder_z
      - .offset:         3192
        .size:           8
        .value_kind:     hidden_global_offset_x
      - .offset:         3200
        .size:           8
        .value_kind:     hidden_global_offset_y
      - .offset:         3208
        .size:           8
        .value_kind:     hidden_global_offset_z
      - .offset:         3216
        .size:           2
        .value_kind:     hidden_grid_dims
    .group_segment_fixed_size: 0
    .kernarg_segment_align: 8
    .kernarg_segment_size: 3408
    .language:       OpenCL C
    .language_version:
      - 2
      - 0
    .max_flat_workgroup_size: 512
    .name:           _ZN2at6native12_GLOBAL__N_125multi_tensor_apply_kernelINS1_18TensorListMetadataILi2EEENS1_11CopyFunctorIfaLi2ELi1ELi1EEEJNS0_4CopyIfaEEEEEvT_T0_DpT1_
    .private_segment_fixed_size: 0
    .sgpr_count:     23
    .sgpr_spill_count: 0
    .symbol:         _ZN2at6native12_GLOBAL__N_125multi_tensor_apply_kernelINS1_18TensorListMetadataILi2EEENS1_11CopyFunctorIfaLi2ELi1ELi1EEEJNS0_4CopyIfaEEEEEvT_T0_DpT1_.kd
    .uniform_work_group_size: 1
    .uses_dynamic_stack: false
    .vgpr_count:     32
    .vgpr_spill_count: 0
    .wavefront_size: 32
    .workgroup_processor_mode: 1
  - .args:
      - .offset:         0
        .size:           3144
        .value_kind:     by_value
      - .offset:         3144
        .size:           1
        .value_kind:     by_value
      - .offset:         3145
        .size:           1
        .value_kind:     by_value
      - .offset:         3152
        .size:           4
        .value_kind:     hidden_block_count_x
      - .offset:         3156
        .size:           4
        .value_kind:     hidden_block_count_y
      - .offset:         3160
        .size:           4
        .value_kind:     hidden_block_count_z
      - .offset:         3164
        .size:           2
        .value_kind:     hidden_group_size_x
      - .offset:         3166
        .size:           2
        .value_kind:     hidden_group_size_y
      - .offset:         3168
        .size:           2
        .value_kind:     hidden_group_size_z
      - .offset:         3170
        .size:           2
        .value_kind:     hidden_remainder_x
      - .offset:         3172
        .size:           2
        .value_kind:     hidden_remainder_y
      - .offset:         3174
        .size:           2
        .value_kind:     hidden_remainder_z
      - .offset:         3192
        .size:           8
        .value_kind:     hidden_global_offset_x
      - .offset:         3200
        .size:           8
        .value_kind:     hidden_global_offset_y
      - .offset:         3208
        .size:           8
        .value_kind:     hidden_global_offset_z
      - .offset:         3216
        .size:           2
        .value_kind:     hidden_grid_dims
    .group_segment_fixed_size: 0
    .kernarg_segment_align: 8
    .kernarg_segment_size: 3408
    .language:       OpenCL C
    .language_version:
      - 2
      - 0
    .max_flat_workgroup_size: 512
    .name:           _ZN2at6native12_GLOBAL__N_125multi_tensor_apply_kernelINS1_18TensorListMetadataILi2EEENS1_11CopyFunctorIflLi2ELi1ELi1EEEJNS0_4CopyIflEEEEEvT_T0_DpT1_
    .private_segment_fixed_size: 0
    .sgpr_count:     22
    .sgpr_spill_count: 0
    .symbol:         _ZN2at6native12_GLOBAL__N_125multi_tensor_apply_kernelINS1_18TensorListMetadataILi2EEENS1_11CopyFunctorIflLi2ELi1ELi1EEEJNS0_4CopyIflEEEEEvT_T0_DpT1_.kd
    .uniform_work_group_size: 1
    .uses_dynamic_stack: false
    .vgpr_count:     34
    .vgpr_spill_count: 0
    .wavefront_size: 32
    .workgroup_processor_mode: 1
  - .args:
      - .offset:         0
        .size:           3144
        .value_kind:     by_value
      - .offset:         3144
        .size:           1
        .value_kind:     by_value
      - .offset:         3145
        .size:           1
        .value_kind:     by_value
      - .offset:         3152
        .size:           4
        .value_kind:     hidden_block_count_x
      - .offset:         3156
        .size:           4
        .value_kind:     hidden_block_count_y
      - .offset:         3160
        .size:           4
        .value_kind:     hidden_block_count_z
      - .offset:         3164
        .size:           2
        .value_kind:     hidden_group_size_x
      - .offset:         3166
        .size:           2
        .value_kind:     hidden_group_size_y
      - .offset:         3168
        .size:           2
        .value_kind:     hidden_group_size_z
      - .offset:         3170
        .size:           2
        .value_kind:     hidden_remainder_x
      - .offset:         3172
        .size:           2
        .value_kind:     hidden_remainder_y
      - .offset:         3174
        .size:           2
        .value_kind:     hidden_remainder_z
      - .offset:         3192
        .size:           8
        .value_kind:     hidden_global_offset_x
      - .offset:         3200
        .size:           8
        .value_kind:     hidden_global_offset_y
      - .offset:         3208
        .size:           8
        .value_kind:     hidden_global_offset_z
      - .offset:         3216
        .size:           2
        .value_kind:     hidden_grid_dims
    .group_segment_fixed_size: 0
    .kernarg_segment_align: 8
    .kernarg_segment_size: 3408
    .language:       OpenCL C
    .language_version:
      - 2
      - 0
    .max_flat_workgroup_size: 512
    .name:           _ZN2at6native12_GLOBAL__N_125multi_tensor_apply_kernelINS1_18TensorListMetadataILi2EEENS1_11CopyFunctorIfsLi2ELi1ELi1EEEJNS0_4CopyIfsEEEEEvT_T0_DpT1_
    .private_segment_fixed_size: 0
    .sgpr_count:     22
    .sgpr_spill_count: 0
    .symbol:         _ZN2at6native12_GLOBAL__N_125multi_tensor_apply_kernelINS1_18TensorListMetadataILi2EEENS1_11CopyFunctorIfsLi2ELi1ELi1EEEJNS0_4CopyIfsEEEEEvT_T0_DpT1_.kd
    .uniform_work_group_size: 1
    .uses_dynamic_stack: false
    .vgpr_count:     29
    .vgpr_spill_count: 0
    .wavefront_size: 32
    .workgroup_processor_mode: 1
  - .args:
      - .offset:         0
        .size:           3144
        .value_kind:     by_value
      - .offset:         3144
        .size:           1
        .value_kind:     by_value
      - .offset:         3145
        .size:           1
        .value_kind:     by_value
      - .offset:         3152
        .size:           4
        .value_kind:     hidden_block_count_x
      - .offset:         3156
        .size:           4
        .value_kind:     hidden_block_count_y
      - .offset:         3160
        .size:           4
        .value_kind:     hidden_block_count_z
      - .offset:         3164
        .size:           2
        .value_kind:     hidden_group_size_x
      - .offset:         3166
        .size:           2
        .value_kind:     hidden_group_size_y
      - .offset:         3168
        .size:           2
        .value_kind:     hidden_group_size_z
      - .offset:         3170
        .size:           2
        .value_kind:     hidden_remainder_x
      - .offset:         3172
        .size:           2
        .value_kind:     hidden_remainder_y
      - .offset:         3174
        .size:           2
        .value_kind:     hidden_remainder_z
      - .offset:         3192
        .size:           8
        .value_kind:     hidden_global_offset_x
      - .offset:         3200
        .size:           8
        .value_kind:     hidden_global_offset_y
      - .offset:         3208
        .size:           8
        .value_kind:     hidden_global_offset_z
      - .offset:         3216
        .size:           2
        .value_kind:     hidden_grid_dims
    .group_segment_fixed_size: 0
    .kernarg_segment_align: 8
    .kernarg_segment_size: 3408
    .language:       OpenCL C
    .language_version:
      - 2
      - 0
    .max_flat_workgroup_size: 512
    .name:           _ZN2at6native12_GLOBAL__N_125multi_tensor_apply_kernelINS1_18TensorListMetadataILi2EEENS1_11CopyFunctorIfiLi2ELi1ELi1EEEJNS0_4CopyIfiEEEEEvT_T0_DpT1_
    .private_segment_fixed_size: 0
    .sgpr_count:     24
    .sgpr_spill_count: 0
    .symbol:         _ZN2at6native12_GLOBAL__N_125multi_tensor_apply_kernelINS1_18TensorListMetadataILi2EEENS1_11CopyFunctorIfiLi2ELi1ELi1EEEJNS0_4CopyIfiEEEEEvT_T0_DpT1_.kd
    .uniform_work_group_size: 1
    .uses_dynamic_stack: false
    .vgpr_count:     31
    .vgpr_spill_count: 0
    .wavefront_size: 32
    .workgroup_processor_mode: 1
  - .args:
      - .offset:         0
        .size:           3144
        .value_kind:     by_value
      - .offset:         3144
        .size:           1
        .value_kind:     by_value
      - .offset:         3145
        .size:           1
        .value_kind:     by_value
      - .offset:         3152
        .size:           4
        .value_kind:     hidden_block_count_x
      - .offset:         3156
        .size:           4
        .value_kind:     hidden_block_count_y
      - .offset:         3160
        .size:           4
        .value_kind:     hidden_block_count_z
      - .offset:         3164
        .size:           2
        .value_kind:     hidden_group_size_x
      - .offset:         3166
        .size:           2
        .value_kind:     hidden_group_size_y
      - .offset:         3168
        .size:           2
        .value_kind:     hidden_group_size_z
      - .offset:         3170
        .size:           2
        .value_kind:     hidden_remainder_x
      - .offset:         3172
        .size:           2
        .value_kind:     hidden_remainder_y
      - .offset:         3174
        .size:           2
        .value_kind:     hidden_remainder_z
      - .offset:         3192
        .size:           8
        .value_kind:     hidden_global_offset_x
      - .offset:         3200
        .size:           8
        .value_kind:     hidden_global_offset_y
      - .offset:         3208
        .size:           8
        .value_kind:     hidden_global_offset_z
      - .offset:         3216
        .size:           2
        .value_kind:     hidden_grid_dims
    .group_segment_fixed_size: 0
    .kernarg_segment_align: 8
    .kernarg_segment_size: 3408
    .language:       OpenCL C
    .language_version:
      - 2
      - 0
    .max_flat_workgroup_size: 512
    .name:           _ZN2at6native12_GLOBAL__N_125multi_tensor_apply_kernelINS1_18TensorListMetadataILi2EEENS1_11CopyFunctorIfdLi2ELi1ELi1EEEJNS0_4CopyIfdEEEEEvT_T0_DpT1_
    .private_segment_fixed_size: 0
    .sgpr_count:     22
    .sgpr_spill_count: 0
    .symbol:         _ZN2at6native12_GLOBAL__N_125multi_tensor_apply_kernelINS1_18TensorListMetadataILi2EEENS1_11CopyFunctorIfdLi2ELi1ELi1EEEJNS0_4CopyIfdEEEEEvT_T0_DpT1_.kd
    .uniform_work_group_size: 1
    .uses_dynamic_stack: false
    .vgpr_count:     33
    .vgpr_spill_count: 0
    .wavefront_size: 32
    .workgroup_processor_mode: 1
  - .args:
      - .offset:         0
        .size:           3144
        .value_kind:     by_value
      - .offset:         3144
        .size:           1
        .value_kind:     by_value
      - .offset:         3145
        .size:           1
        .value_kind:     by_value
      - .offset:         3152
        .size:           4
        .value_kind:     hidden_block_count_x
      - .offset:         3156
        .size:           4
        .value_kind:     hidden_block_count_y
      - .offset:         3160
        .size:           4
        .value_kind:     hidden_block_count_z
      - .offset:         3164
        .size:           2
        .value_kind:     hidden_group_size_x
      - .offset:         3166
        .size:           2
        .value_kind:     hidden_group_size_y
      - .offset:         3168
        .size:           2
        .value_kind:     hidden_group_size_z
      - .offset:         3170
        .size:           2
        .value_kind:     hidden_remainder_x
      - .offset:         3172
        .size:           2
        .value_kind:     hidden_remainder_y
      - .offset:         3174
        .size:           2
        .value_kind:     hidden_remainder_z
      - .offset:         3192
        .size:           8
        .value_kind:     hidden_global_offset_x
      - .offset:         3200
        .size:           8
        .value_kind:     hidden_global_offset_y
      - .offset:         3208
        .size:           8
        .value_kind:     hidden_global_offset_z
      - .offset:         3216
        .size:           2
        .value_kind:     hidden_grid_dims
    .group_segment_fixed_size: 0
    .kernarg_segment_align: 8
    .kernarg_segment_size: 3408
    .language:       OpenCL C
    .language_version:
      - 2
      - 0
    .max_flat_workgroup_size: 512
    .name:           _ZN2at6native12_GLOBAL__N_125multi_tensor_apply_kernelINS1_18TensorListMetadataILi2EEENS1_14UnaryOpFunctorIfLi2ELi1ELi1EEEJNS0_4CopyIffEEEEEvT_T0_DpT1_
    .private_segment_fixed_size: 0
    .sgpr_count:     24
    .sgpr_spill_count: 0
    .symbol:         _ZN2at6native12_GLOBAL__N_125multi_tensor_apply_kernelINS1_18TensorListMetadataILi2EEENS1_14UnaryOpFunctorIfLi2ELi1ELi1EEEJNS0_4CopyIffEEEEEvT_T0_DpT1_.kd
    .uniform_work_group_size: 1
    .uses_dynamic_stack: false
    .vgpr_count:     29
    .vgpr_spill_count: 0
    .wavefront_size: 32
    .workgroup_processor_mode: 1
  - .args:
      - .offset:         0
        .size:           3144
        .value_kind:     by_value
      - .offset:         3144
        .size:           1
        .value_kind:     by_value
      - .offset:         3145
        .size:           1
        .value_kind:     by_value
      - .offset:         3152
        .size:           4
        .value_kind:     hidden_block_count_x
      - .offset:         3156
        .size:           4
        .value_kind:     hidden_block_count_y
      - .offset:         3160
        .size:           4
        .value_kind:     hidden_block_count_z
      - .offset:         3164
        .size:           2
        .value_kind:     hidden_group_size_x
      - .offset:         3166
        .size:           2
        .value_kind:     hidden_group_size_y
      - .offset:         3168
        .size:           2
        .value_kind:     hidden_group_size_z
      - .offset:         3170
        .size:           2
        .value_kind:     hidden_remainder_x
      - .offset:         3172
        .size:           2
        .value_kind:     hidden_remainder_y
      - .offset:         3174
        .size:           2
        .value_kind:     hidden_remainder_z
      - .offset:         3192
        .size:           8
        .value_kind:     hidden_global_offset_x
      - .offset:         3200
        .size:           8
        .value_kind:     hidden_global_offset_y
      - .offset:         3208
        .size:           8
        .value_kind:     hidden_global_offset_z
      - .offset:         3216
        .size:           2
        .value_kind:     hidden_grid_dims
    .group_segment_fixed_size: 0
    .kernarg_segment_align: 8
    .kernarg_segment_size: 3408
    .language:       OpenCL C
    .language_version:
      - 2
      - 0
    .max_flat_workgroup_size: 512
    .name:           _ZN2at6native12_GLOBAL__N_125multi_tensor_apply_kernelINS1_18TensorListMetadataILi2EEENS1_11CopyFunctorIfN3c107complexIdEELi2ELi1ELi1EEEJNS0_4CopyIfS8_EEEEEvT_T0_DpT1_
    .private_segment_fixed_size: 0
    .sgpr_count:     22
    .sgpr_spill_count: 0
    .symbol:         _ZN2at6native12_GLOBAL__N_125multi_tensor_apply_kernelINS1_18TensorListMetadataILi2EEENS1_11CopyFunctorIfN3c107complexIdEELi2ELi1ELi1EEEJNS0_4CopyIfS8_EEEEEvT_T0_DpT1_.kd
    .uniform_work_group_size: 1
    .uses_dynamic_stack: false
    .vgpr_count:     33
    .vgpr_spill_count: 0
    .wavefront_size: 32
    .workgroup_processor_mode: 1
  - .args:
      - .offset:         0
        .size:           3144
        .value_kind:     by_value
      - .offset:         3144
        .size:           1
        .value_kind:     by_value
      - .offset:         3145
        .size:           1
        .value_kind:     by_value
      - .offset:         3152
        .size:           4
        .value_kind:     hidden_block_count_x
      - .offset:         3156
        .size:           4
        .value_kind:     hidden_block_count_y
      - .offset:         3160
        .size:           4
        .value_kind:     hidden_block_count_z
      - .offset:         3164
        .size:           2
        .value_kind:     hidden_group_size_x
      - .offset:         3166
        .size:           2
        .value_kind:     hidden_group_size_y
      - .offset:         3168
        .size:           2
        .value_kind:     hidden_group_size_z
      - .offset:         3170
        .size:           2
        .value_kind:     hidden_remainder_x
      - .offset:         3172
        .size:           2
        .value_kind:     hidden_remainder_y
      - .offset:         3174
        .size:           2
        .value_kind:     hidden_remainder_z
      - .offset:         3192
        .size:           8
        .value_kind:     hidden_global_offset_x
      - .offset:         3200
        .size:           8
        .value_kind:     hidden_global_offset_y
      - .offset:         3208
        .size:           8
        .value_kind:     hidden_global_offset_z
      - .offset:         3216
        .size:           2
        .value_kind:     hidden_grid_dims
    .group_segment_fixed_size: 0
    .kernarg_segment_align: 8
    .kernarg_segment_size: 3408
    .language:       OpenCL C
    .language_version:
      - 2
      - 0
    .max_flat_workgroup_size: 512
    .name:           _ZN2at6native12_GLOBAL__N_125multi_tensor_apply_kernelINS1_18TensorListMetadataILi2EEENS1_11CopyFunctorIfN3c107complexIfEELi2ELi1ELi1EEEJNS0_4CopyIfS8_EEEEEvT_T0_DpT1_
    .private_segment_fixed_size: 0
    .sgpr_count:     22
    .sgpr_spill_count: 0
    .symbol:         _ZN2at6native12_GLOBAL__N_125multi_tensor_apply_kernelINS1_18TensorListMetadataILi2EEENS1_11CopyFunctorIfN3c107complexIfEELi2ELi1ELi1EEEJNS0_4CopyIfS8_EEEEEvT_T0_DpT1_.kd
    .uniform_work_group_size: 1
    .uses_dynamic_stack: false
    .vgpr_count:     31
    .vgpr_spill_count: 0
    .wavefront_size: 32
    .workgroup_processor_mode: 1
  - .args:
      - .offset:         0
        .size:           3144
        .value_kind:     by_value
      - .offset:         3144
        .size:           1
        .value_kind:     by_value
      - .offset:         3145
        .size:           1
        .value_kind:     by_value
      - .offset:         3152
        .size:           4
        .value_kind:     hidden_block_count_x
      - .offset:         3156
        .size:           4
        .value_kind:     hidden_block_count_y
      - .offset:         3160
        .size:           4
        .value_kind:     hidden_block_count_z
      - .offset:         3164
        .size:           2
        .value_kind:     hidden_group_size_x
      - .offset:         3166
        .size:           2
        .value_kind:     hidden_group_size_y
      - .offset:         3168
        .size:           2
        .value_kind:     hidden_group_size_z
      - .offset:         3170
        .size:           2
        .value_kind:     hidden_remainder_x
      - .offset:         3172
        .size:           2
        .value_kind:     hidden_remainder_y
      - .offset:         3174
        .size:           2
        .value_kind:     hidden_remainder_z
      - .offset:         3192
        .size:           8
        .value_kind:     hidden_global_offset_x
      - .offset:         3200
        .size:           8
        .value_kind:     hidden_global_offset_y
      - .offset:         3208
        .size:           8
        .value_kind:     hidden_global_offset_z
      - .offset:         3216
        .size:           2
        .value_kind:     hidden_grid_dims
    .group_segment_fixed_size: 0
    .kernarg_segment_align: 8
    .kernarg_segment_size: 3408
    .language:       OpenCL C
    .language_version:
      - 2
      - 0
    .max_flat_workgroup_size: 512
    .name:           _ZN2at6native12_GLOBAL__N_125multi_tensor_apply_kernelINS1_18TensorListMetadataILi2EEENS1_11CopyFunctorIfN3c104HalfELi2ELi1ELi1EEEJNS0_4CopyIfS7_EEEEEvT_T0_DpT1_
    .private_segment_fixed_size: 0
    .sgpr_count:     22
    .sgpr_spill_count: 0
    .symbol:         _ZN2at6native12_GLOBAL__N_125multi_tensor_apply_kernelINS1_18TensorListMetadataILi2EEENS1_11CopyFunctorIfN3c104HalfELi2ELi1ELi1EEEJNS0_4CopyIfS7_EEEEEvT_T0_DpT1_.kd
    .uniform_work_group_size: 1
    .uses_dynamic_stack: false
    .vgpr_count:     31
    .vgpr_spill_count: 0
    .wavefront_size: 32
    .workgroup_processor_mode: 1
  - .args:
      - .offset:         0
        .size:           3144
        .value_kind:     by_value
      - .offset:         3144
        .size:           1
        .value_kind:     by_value
      - .offset:         3145
        .size:           1
        .value_kind:     by_value
      - .offset:         3152
        .size:           4
        .value_kind:     hidden_block_count_x
      - .offset:         3156
        .size:           4
        .value_kind:     hidden_block_count_y
      - .offset:         3160
        .size:           4
        .value_kind:     hidden_block_count_z
      - .offset:         3164
        .size:           2
        .value_kind:     hidden_group_size_x
      - .offset:         3166
        .size:           2
        .value_kind:     hidden_group_size_y
      - .offset:         3168
        .size:           2
        .value_kind:     hidden_group_size_z
      - .offset:         3170
        .size:           2
        .value_kind:     hidden_remainder_x
      - .offset:         3172
        .size:           2
        .value_kind:     hidden_remainder_y
      - .offset:         3174
        .size:           2
        .value_kind:     hidden_remainder_z
      - .offset:         3192
        .size:           8
        .value_kind:     hidden_global_offset_x
      - .offset:         3200
        .size:           8
        .value_kind:     hidden_global_offset_y
      - .offset:         3208
        .size:           8
        .value_kind:     hidden_global_offset_z
      - .offset:         3216
        .size:           2
        .value_kind:     hidden_grid_dims
    .group_segment_fixed_size: 0
    .kernarg_segment_align: 8
    .kernarg_segment_size: 3408
    .language:       OpenCL C
    .language_version:
      - 2
      - 0
    .max_flat_workgroup_size: 512
    .name:           _ZN2at6native12_GLOBAL__N_125multi_tensor_apply_kernelINS1_18TensorListMetadataILi2EEENS1_11CopyFunctorIfN3c108BFloat16ELi2ELi1ELi1EEEJNS0_4CopyIfS7_EEEEEvT_T0_DpT1_
    .private_segment_fixed_size: 0
    .sgpr_count:     22
    .sgpr_spill_count: 0
    .symbol:         _ZN2at6native12_GLOBAL__N_125multi_tensor_apply_kernelINS1_18TensorListMetadataILi2EEENS1_11CopyFunctorIfN3c108BFloat16ELi2ELi1ELi1EEEJNS0_4CopyIfS7_EEEEEvT_T0_DpT1_.kd
    .uniform_work_group_size: 1
    .uses_dynamic_stack: false
    .vgpr_count:     31
    .vgpr_spill_count: 0
    .wavefront_size: 32
    .workgroup_processor_mode: 1
  - .args:
      - .offset:         0
        .size:           3144
        .value_kind:     by_value
      - .offset:         3144
        .size:           1
        .value_kind:     by_value
      - .offset:         3145
        .size:           1
        .value_kind:     by_value
      - .offset:         3152
        .size:           4
        .value_kind:     hidden_block_count_x
      - .offset:         3156
        .size:           4
        .value_kind:     hidden_block_count_y
      - .offset:         3160
        .size:           4
        .value_kind:     hidden_block_count_z
      - .offset:         3164
        .size:           2
        .value_kind:     hidden_group_size_x
      - .offset:         3166
        .size:           2
        .value_kind:     hidden_group_size_y
      - .offset:         3168
        .size:           2
        .value_kind:     hidden_group_size_z
      - .offset:         3170
        .size:           2
        .value_kind:     hidden_remainder_x
      - .offset:         3172
        .size:           2
        .value_kind:     hidden_remainder_y
      - .offset:         3174
        .size:           2
        .value_kind:     hidden_remainder_z
      - .offset:         3192
        .size:           8
        .value_kind:     hidden_global_offset_x
      - .offset:         3200
        .size:           8
        .value_kind:     hidden_global_offset_y
      - .offset:         3208
        .size:           8
        .value_kind:     hidden_global_offset_z
      - .offset:         3216
        .size:           2
        .value_kind:     hidden_grid_dims
    .group_segment_fixed_size: 0
    .kernarg_segment_align: 8
    .kernarg_segment_size: 3408
    .language:       OpenCL C
    .language_version:
      - 2
      - 0
    .max_flat_workgroup_size: 512
    .name:           _ZN2at6native12_GLOBAL__N_125multi_tensor_apply_kernelINS1_18TensorListMetadataILi2EEENS1_11CopyFunctorIfbLi2ELi1ELi1EEEJNS0_4CopyIfbEEEEEvT_T0_DpT1_
    .private_segment_fixed_size: 0
    .sgpr_count:     22
    .sgpr_spill_count: 0
    .symbol:         _ZN2at6native12_GLOBAL__N_125multi_tensor_apply_kernelINS1_18TensorListMetadataILi2EEENS1_11CopyFunctorIfbLi2ELi1ELi1EEEJNS0_4CopyIfbEEEEEvT_T0_DpT1_.kd
    .uniform_work_group_size: 1
    .uses_dynamic_stack: false
    .vgpr_count:     35
    .vgpr_spill_count: 0
    .wavefront_size: 32
    .workgroup_processor_mode: 1
  - .args:
      - .offset:         0
        .size:           3144
        .value_kind:     by_value
      - .offset:         3144
        .size:           1
        .value_kind:     by_value
      - .offset:         3145
        .size:           1
        .value_kind:     by_value
      - .offset:         3152
        .size:           4
        .value_kind:     hidden_block_count_x
      - .offset:         3156
        .size:           4
        .value_kind:     hidden_block_count_y
      - .offset:         3160
        .size:           4
        .value_kind:     hidden_block_count_z
      - .offset:         3164
        .size:           2
        .value_kind:     hidden_group_size_x
      - .offset:         3166
        .size:           2
        .value_kind:     hidden_group_size_y
      - .offset:         3168
        .size:           2
        .value_kind:     hidden_group_size_z
      - .offset:         3170
        .size:           2
        .value_kind:     hidden_remainder_x
      - .offset:         3172
        .size:           2
        .value_kind:     hidden_remainder_y
      - .offset:         3174
        .size:           2
        .value_kind:     hidden_remainder_z
      - .offset:         3192
        .size:           8
        .value_kind:     hidden_global_offset_x
      - .offset:         3200
        .size:           8
        .value_kind:     hidden_global_offset_y
      - .offset:         3208
        .size:           8
        .value_kind:     hidden_global_offset_z
      - .offset:         3216
        .size:           2
        .value_kind:     hidden_grid_dims
    .group_segment_fixed_size: 0
    .kernarg_segment_align: 8
    .kernarg_segment_size: 3408
    .language:       OpenCL C
    .language_version:
      - 2
      - 0
    .max_flat_workgroup_size: 512
    .name:           _ZN2at6native12_GLOBAL__N_125multi_tensor_apply_kernelINS1_18TensorListMetadataILi2EEENS1_11CopyFunctorIfN3c1013Float8_e4m3fnELi2ELi1ELi1EEEJNS0_4CopyIfS7_EEEEEvT_T0_DpT1_
    .private_segment_fixed_size: 0
    .sgpr_count:     23
    .sgpr_spill_count: 0
    .symbol:         _ZN2at6native12_GLOBAL__N_125multi_tensor_apply_kernelINS1_18TensorListMetadataILi2EEENS1_11CopyFunctorIfN3c1013Float8_e4m3fnELi2ELi1ELi1EEEJNS0_4CopyIfS7_EEEEEvT_T0_DpT1_.kd
    .uniform_work_group_size: 1
    .uses_dynamic_stack: false
    .vgpr_count:     33
    .vgpr_spill_count: 0
    .wavefront_size: 32
    .workgroup_processor_mode: 1
  - .args:
      - .offset:         0
        .size:           3144
        .value_kind:     by_value
      - .offset:         3144
        .size:           1
        .value_kind:     by_value
      - .offset:         3145
        .size:           1
        .value_kind:     by_value
      - .offset:         3152
        .size:           4
        .value_kind:     hidden_block_count_x
      - .offset:         3156
        .size:           4
        .value_kind:     hidden_block_count_y
      - .offset:         3160
        .size:           4
        .value_kind:     hidden_block_count_z
      - .offset:         3164
        .size:           2
        .value_kind:     hidden_group_size_x
      - .offset:         3166
        .size:           2
        .value_kind:     hidden_group_size_y
      - .offset:         3168
        .size:           2
        .value_kind:     hidden_group_size_z
      - .offset:         3170
        .size:           2
        .value_kind:     hidden_remainder_x
      - .offset:         3172
        .size:           2
        .value_kind:     hidden_remainder_y
      - .offset:         3174
        .size:           2
        .value_kind:     hidden_remainder_z
      - .offset:         3192
        .size:           8
        .value_kind:     hidden_global_offset_x
      - .offset:         3200
        .size:           8
        .value_kind:     hidden_global_offset_y
      - .offset:         3208
        .size:           8
        .value_kind:     hidden_global_offset_z
      - .offset:         3216
        .size:           2
        .value_kind:     hidden_grid_dims
    .group_segment_fixed_size: 0
    .kernarg_segment_align: 8
    .kernarg_segment_size: 3408
    .language:       OpenCL C
    .language_version:
      - 2
      - 0
    .max_flat_workgroup_size: 512
    .name:           _ZN2at6native12_GLOBAL__N_125multi_tensor_apply_kernelINS1_18TensorListMetadataILi2EEENS1_11CopyFunctorIfN3c1015Float8_e4m3fnuzELi2ELi1ELi1EEEJNS0_4CopyIfS7_EEEEEvT_T0_DpT1_
    .private_segment_fixed_size: 0
    .sgpr_count:     24
    .sgpr_spill_count: 0
    .symbol:         _ZN2at6native12_GLOBAL__N_125multi_tensor_apply_kernelINS1_18TensorListMetadataILi2EEENS1_11CopyFunctorIfN3c1015Float8_e4m3fnuzELi2ELi1ELi1EEEJNS0_4CopyIfS7_EEEEEvT_T0_DpT1_.kd
    .uniform_work_group_size: 1
    .uses_dynamic_stack: false
    .vgpr_count:     39
    .vgpr_spill_count: 0
    .wavefront_size: 32
    .workgroup_processor_mode: 1
  - .args:
      - .offset:         0
        .size:           3144
        .value_kind:     by_value
      - .offset:         3144
        .size:           1
        .value_kind:     by_value
      - .offset:         3145
        .size:           1
        .value_kind:     by_value
      - .offset:         3152
        .size:           4
        .value_kind:     hidden_block_count_x
      - .offset:         3156
        .size:           4
        .value_kind:     hidden_block_count_y
      - .offset:         3160
        .size:           4
        .value_kind:     hidden_block_count_z
      - .offset:         3164
        .size:           2
        .value_kind:     hidden_group_size_x
      - .offset:         3166
        .size:           2
        .value_kind:     hidden_group_size_y
      - .offset:         3168
        .size:           2
        .value_kind:     hidden_group_size_z
      - .offset:         3170
        .size:           2
        .value_kind:     hidden_remainder_x
      - .offset:         3172
        .size:           2
        .value_kind:     hidden_remainder_y
      - .offset:         3174
        .size:           2
        .value_kind:     hidden_remainder_z
      - .offset:         3192
        .size:           8
        .value_kind:     hidden_global_offset_x
      - .offset:         3200
        .size:           8
        .value_kind:     hidden_global_offset_y
      - .offset:         3208
        .size:           8
        .value_kind:     hidden_global_offset_z
      - .offset:         3216
        .size:           2
        .value_kind:     hidden_grid_dims
    .group_segment_fixed_size: 0
    .kernarg_segment_align: 8
    .kernarg_segment_size: 3408
    .language:       OpenCL C
    .language_version:
      - 2
      - 0
    .max_flat_workgroup_size: 512
    .name:           _ZN2at6native12_GLOBAL__N_125multi_tensor_apply_kernelINS1_18TensorListMetadataILi2EEENS1_11CopyFunctorIfN3c1011Float8_e5m2ELi2ELi1ELi1EEEJNS0_4CopyIfS7_EEEEEvT_T0_DpT1_
    .private_segment_fixed_size: 0
    .sgpr_count:     24
    .sgpr_spill_count: 0
    .symbol:         _ZN2at6native12_GLOBAL__N_125multi_tensor_apply_kernelINS1_18TensorListMetadataILi2EEENS1_11CopyFunctorIfN3c1011Float8_e5m2ELi2ELi1ELi1EEEJNS0_4CopyIfS7_EEEEEvT_T0_DpT1_.kd
    .uniform_work_group_size: 1
    .uses_dynamic_stack: false
    .vgpr_count:     33
    .vgpr_spill_count: 0
    .wavefront_size: 32
    .workgroup_processor_mode: 1
  - .args:
      - .offset:         0
        .size:           3144
        .value_kind:     by_value
      - .offset:         3144
        .size:           1
        .value_kind:     by_value
      - .offset:         3145
        .size:           1
        .value_kind:     by_value
      - .offset:         3152
        .size:           4
        .value_kind:     hidden_block_count_x
      - .offset:         3156
        .size:           4
        .value_kind:     hidden_block_count_y
      - .offset:         3160
        .size:           4
        .value_kind:     hidden_block_count_z
      - .offset:         3164
        .size:           2
        .value_kind:     hidden_group_size_x
      - .offset:         3166
        .size:           2
        .value_kind:     hidden_group_size_y
      - .offset:         3168
        .size:           2
        .value_kind:     hidden_group_size_z
      - .offset:         3170
        .size:           2
        .value_kind:     hidden_remainder_x
      - .offset:         3172
        .size:           2
        .value_kind:     hidden_remainder_y
      - .offset:         3174
        .size:           2
        .value_kind:     hidden_remainder_z
      - .offset:         3192
        .size:           8
        .value_kind:     hidden_global_offset_x
      - .offset:         3200
        .size:           8
        .value_kind:     hidden_global_offset_y
      - .offset:         3208
        .size:           8
        .value_kind:     hidden_global_offset_z
      - .offset:         3216
        .size:           2
        .value_kind:     hidden_grid_dims
    .group_segment_fixed_size: 0
    .kernarg_segment_align: 8
    .kernarg_segment_size: 3408
    .language:       OpenCL C
    .language_version:
      - 2
      - 0
    .max_flat_workgroup_size: 512
    .name:           _ZN2at6native12_GLOBAL__N_125multi_tensor_apply_kernelINS1_18TensorListMetadataILi2EEENS1_11CopyFunctorIfN3c1015Float8_e5m2fnuzELi2ELi1ELi1EEEJNS0_4CopyIfS7_EEEEEvT_T0_DpT1_
    .private_segment_fixed_size: 0
    .sgpr_count:     24
    .sgpr_spill_count: 0
    .symbol:         _ZN2at6native12_GLOBAL__N_125multi_tensor_apply_kernelINS1_18TensorListMetadataILi2EEENS1_11CopyFunctorIfN3c1015Float8_e5m2fnuzELi2ELi1ELi1EEEJNS0_4CopyIfS7_EEEEEvT_T0_DpT1_.kd
    .uniform_work_group_size: 1
    .uses_dynamic_stack: false
    .vgpr_count:     39
    .vgpr_spill_count: 0
    .wavefront_size: 32
    .workgroup_processor_mode: 1
  - .args:
      - .offset:         0
        .size:           3144
        .value_kind:     by_value
      - .offset:         3144
        .size:           1
        .value_kind:     by_value
      - .offset:         3145
        .size:           1
        .value_kind:     by_value
      - .offset:         3152
        .size:           4
        .value_kind:     hidden_block_count_x
      - .offset:         3156
        .size:           4
        .value_kind:     hidden_block_count_y
      - .offset:         3160
        .size:           4
        .value_kind:     hidden_block_count_z
      - .offset:         3164
        .size:           2
        .value_kind:     hidden_group_size_x
      - .offset:         3166
        .size:           2
        .value_kind:     hidden_group_size_y
      - .offset:         3168
        .size:           2
        .value_kind:     hidden_group_size_z
      - .offset:         3170
        .size:           2
        .value_kind:     hidden_remainder_x
      - .offset:         3172
        .size:           2
        .value_kind:     hidden_remainder_y
      - .offset:         3174
        .size:           2
        .value_kind:     hidden_remainder_z
      - .offset:         3192
        .size:           8
        .value_kind:     hidden_global_offset_x
      - .offset:         3200
        .size:           8
        .value_kind:     hidden_global_offset_y
      - .offset:         3208
        .size:           8
        .value_kind:     hidden_global_offset_z
      - .offset:         3216
        .size:           2
        .value_kind:     hidden_grid_dims
    .group_segment_fixed_size: 0
    .kernarg_segment_align: 8
    .kernarg_segment_size: 3408
    .language:       OpenCL C
    .language_version:
      - 2
      - 0
    .max_flat_workgroup_size: 512
    .name:           _ZN2at6native12_GLOBAL__N_125multi_tensor_apply_kernelINS1_18TensorListMetadataILi2EEENS1_11CopyFunctorIN3c107complexIdEEhLi2ELi1ELi1EEEJNS0_4CopyIS8_hEEEEEvT_T0_DpT1_
    .private_segment_fixed_size: 0
    .sgpr_count:     24
    .sgpr_spill_count: 0
    .symbol:         _ZN2at6native12_GLOBAL__N_125multi_tensor_apply_kernelINS1_18TensorListMetadataILi2EEENS1_11CopyFunctorIN3c107complexIdEEhLi2ELi1ELi1EEEJNS0_4CopyIS8_hEEEEEvT_T0_DpT1_.kd
    .uniform_work_group_size: 1
    .uses_dynamic_stack: false
    .vgpr_count:     37
    .vgpr_spill_count: 0
    .wavefront_size: 32
    .workgroup_processor_mode: 1
  - .args:
      - .offset:         0
        .size:           3144
        .value_kind:     by_value
      - .offset:         3144
        .size:           1
        .value_kind:     by_value
      - .offset:         3145
        .size:           1
        .value_kind:     by_value
      - .offset:         3152
        .size:           4
        .value_kind:     hidden_block_count_x
      - .offset:         3156
        .size:           4
        .value_kind:     hidden_block_count_y
      - .offset:         3160
        .size:           4
        .value_kind:     hidden_block_count_z
      - .offset:         3164
        .size:           2
        .value_kind:     hidden_group_size_x
      - .offset:         3166
        .size:           2
        .value_kind:     hidden_group_size_y
      - .offset:         3168
        .size:           2
        .value_kind:     hidden_group_size_z
      - .offset:         3170
        .size:           2
        .value_kind:     hidden_remainder_x
      - .offset:         3172
        .size:           2
        .value_kind:     hidden_remainder_y
      - .offset:         3174
        .size:           2
        .value_kind:     hidden_remainder_z
      - .offset:         3192
        .size:           8
        .value_kind:     hidden_global_offset_x
      - .offset:         3200
        .size:           8
        .value_kind:     hidden_global_offset_y
      - .offset:         3208
        .size:           8
        .value_kind:     hidden_global_offset_z
      - .offset:         3216
        .size:           2
        .value_kind:     hidden_grid_dims
    .group_segment_fixed_size: 0
    .kernarg_segment_align: 8
    .kernarg_segment_size: 3408
    .language:       OpenCL C
    .language_version:
      - 2
      - 0
    .max_flat_workgroup_size: 512
    .name:           _ZN2at6native12_GLOBAL__N_125multi_tensor_apply_kernelINS1_18TensorListMetadataILi2EEENS1_11CopyFunctorIN3c107complexIdEEaLi2ELi1ELi1EEEJNS0_4CopyIS8_aEEEEEvT_T0_DpT1_
    .private_segment_fixed_size: 0
    .sgpr_count:     24
    .sgpr_spill_count: 0
    .symbol:         _ZN2at6native12_GLOBAL__N_125multi_tensor_apply_kernelINS1_18TensorListMetadataILi2EEENS1_11CopyFunctorIN3c107complexIdEEaLi2ELi1ELi1EEEJNS0_4CopyIS8_aEEEEEvT_T0_DpT1_.kd
    .uniform_work_group_size: 1
    .uses_dynamic_stack: false
    .vgpr_count:     37
    .vgpr_spill_count: 0
    .wavefront_size: 32
    .workgroup_processor_mode: 1
  - .args:
      - .offset:         0
        .size:           3144
        .value_kind:     by_value
      - .offset:         3144
        .size:           1
        .value_kind:     by_value
      - .offset:         3145
        .size:           1
        .value_kind:     by_value
      - .offset:         3152
        .size:           4
        .value_kind:     hidden_block_count_x
      - .offset:         3156
        .size:           4
        .value_kind:     hidden_block_count_y
      - .offset:         3160
        .size:           4
        .value_kind:     hidden_block_count_z
      - .offset:         3164
        .size:           2
        .value_kind:     hidden_group_size_x
      - .offset:         3166
        .size:           2
        .value_kind:     hidden_group_size_y
      - .offset:         3168
        .size:           2
        .value_kind:     hidden_group_size_z
      - .offset:         3170
        .size:           2
        .value_kind:     hidden_remainder_x
      - .offset:         3172
        .size:           2
        .value_kind:     hidden_remainder_y
      - .offset:         3174
        .size:           2
        .value_kind:     hidden_remainder_z
      - .offset:         3192
        .size:           8
        .value_kind:     hidden_global_offset_x
      - .offset:         3200
        .size:           8
        .value_kind:     hidden_global_offset_y
      - .offset:         3208
        .size:           8
        .value_kind:     hidden_global_offset_z
      - .offset:         3216
        .size:           2
        .value_kind:     hidden_grid_dims
    .group_segment_fixed_size: 0
    .kernarg_segment_align: 8
    .kernarg_segment_size: 3408
    .language:       OpenCL C
    .language_version:
      - 2
      - 0
    .max_flat_workgroup_size: 512
    .name:           _ZN2at6native12_GLOBAL__N_125multi_tensor_apply_kernelINS1_18TensorListMetadataILi2EEENS1_11CopyFunctorIN3c107complexIdEElLi2ELi1ELi1EEEJNS0_4CopyIS8_lEEEEEvT_T0_DpT1_
    .private_segment_fixed_size: 0
    .sgpr_count:     26
    .sgpr_spill_count: 0
    .symbol:         _ZN2at6native12_GLOBAL__N_125multi_tensor_apply_kernelINS1_18TensorListMetadataILi2EEENS1_11CopyFunctorIN3c107complexIdEElLi2ELi1ELi1EEEJNS0_4CopyIS8_lEEEEEvT_T0_DpT1_.kd
    .uniform_work_group_size: 1
    .uses_dynamic_stack: false
    .vgpr_count:     39
    .vgpr_spill_count: 0
    .wavefront_size: 32
    .workgroup_processor_mode: 1
  - .args:
      - .offset:         0
        .size:           3144
        .value_kind:     by_value
      - .offset:         3144
        .size:           1
        .value_kind:     by_value
      - .offset:         3145
        .size:           1
        .value_kind:     by_value
      - .offset:         3152
        .size:           4
        .value_kind:     hidden_block_count_x
      - .offset:         3156
        .size:           4
        .value_kind:     hidden_block_count_y
      - .offset:         3160
        .size:           4
        .value_kind:     hidden_block_count_z
      - .offset:         3164
        .size:           2
        .value_kind:     hidden_group_size_x
      - .offset:         3166
        .size:           2
        .value_kind:     hidden_group_size_y
      - .offset:         3168
        .size:           2
        .value_kind:     hidden_group_size_z
      - .offset:         3170
        .size:           2
        .value_kind:     hidden_remainder_x
      - .offset:         3172
        .size:           2
        .value_kind:     hidden_remainder_y
      - .offset:         3174
        .size:           2
        .value_kind:     hidden_remainder_z
      - .offset:         3192
        .size:           8
        .value_kind:     hidden_global_offset_x
      - .offset:         3200
        .size:           8
        .value_kind:     hidden_global_offset_y
      - .offset:         3208
        .size:           8
        .value_kind:     hidden_global_offset_z
      - .offset:         3216
        .size:           2
        .value_kind:     hidden_grid_dims
    .group_segment_fixed_size: 0
    .kernarg_segment_align: 8
    .kernarg_segment_size: 3408
    .language:       OpenCL C
    .language_version:
      - 2
      - 0
    .max_flat_workgroup_size: 512
    .name:           _ZN2at6native12_GLOBAL__N_125multi_tensor_apply_kernelINS1_18TensorListMetadataILi2EEENS1_11CopyFunctorIN3c107complexIdEEsLi2ELi1ELi1EEEJNS0_4CopyIS8_sEEEEEvT_T0_DpT1_
    .private_segment_fixed_size: 0
    .sgpr_count:     26
    .sgpr_spill_count: 0
    .symbol:         _ZN2at6native12_GLOBAL__N_125multi_tensor_apply_kernelINS1_18TensorListMetadataILi2EEENS1_11CopyFunctorIN3c107complexIdEEsLi2ELi1ELi1EEEJNS0_4CopyIS8_sEEEEEvT_T0_DpT1_.kd
    .uniform_work_group_size: 1
    .uses_dynamic_stack: false
    .vgpr_count:     33
    .vgpr_spill_count: 0
    .wavefront_size: 32
    .workgroup_processor_mode: 1
  - .args:
      - .offset:         0
        .size:           3144
        .value_kind:     by_value
      - .offset:         3144
        .size:           1
        .value_kind:     by_value
      - .offset:         3145
        .size:           1
        .value_kind:     by_value
      - .offset:         3152
        .size:           4
        .value_kind:     hidden_block_count_x
      - .offset:         3156
        .size:           4
        .value_kind:     hidden_block_count_y
      - .offset:         3160
        .size:           4
        .value_kind:     hidden_block_count_z
      - .offset:         3164
        .size:           2
        .value_kind:     hidden_group_size_x
      - .offset:         3166
        .size:           2
        .value_kind:     hidden_group_size_y
      - .offset:         3168
        .size:           2
        .value_kind:     hidden_group_size_z
      - .offset:         3170
        .size:           2
        .value_kind:     hidden_remainder_x
      - .offset:         3172
        .size:           2
        .value_kind:     hidden_remainder_y
      - .offset:         3174
        .size:           2
        .value_kind:     hidden_remainder_z
      - .offset:         3192
        .size:           8
        .value_kind:     hidden_global_offset_x
      - .offset:         3200
        .size:           8
        .value_kind:     hidden_global_offset_y
      - .offset:         3208
        .size:           8
        .value_kind:     hidden_global_offset_z
      - .offset:         3216
        .size:           2
        .value_kind:     hidden_grid_dims
    .group_segment_fixed_size: 0
    .kernarg_segment_align: 8
    .kernarg_segment_size: 3408
    .language:       OpenCL C
    .language_version:
      - 2
      - 0
    .max_flat_workgroup_size: 512
    .name:           _ZN2at6native12_GLOBAL__N_125multi_tensor_apply_kernelINS1_18TensorListMetadataILi2EEENS1_11CopyFunctorIN3c107complexIdEEiLi2ELi1ELi1EEEJNS0_4CopyIS8_iEEEEEvT_T0_DpT1_
    .private_segment_fixed_size: 0
    .sgpr_count:     26
    .sgpr_spill_count: 0
    .symbol:         _ZN2at6native12_GLOBAL__N_125multi_tensor_apply_kernelINS1_18TensorListMetadataILi2EEENS1_11CopyFunctorIN3c107complexIdEEiLi2ELi1ELi1EEEJNS0_4CopyIS8_iEEEEEvT_T0_DpT1_.kd
    .uniform_work_group_size: 1
    .uses_dynamic_stack: false
    .vgpr_count:     35
    .vgpr_spill_count: 0
    .wavefront_size: 32
    .workgroup_processor_mode: 1
  - .args:
      - .offset:         0
        .size:           3144
        .value_kind:     by_value
      - .offset:         3144
        .size:           1
        .value_kind:     by_value
      - .offset:         3145
        .size:           1
        .value_kind:     by_value
      - .offset:         3152
        .size:           4
        .value_kind:     hidden_block_count_x
      - .offset:         3156
        .size:           4
        .value_kind:     hidden_block_count_y
      - .offset:         3160
        .size:           4
        .value_kind:     hidden_block_count_z
      - .offset:         3164
        .size:           2
        .value_kind:     hidden_group_size_x
      - .offset:         3166
        .size:           2
        .value_kind:     hidden_group_size_y
      - .offset:         3168
        .size:           2
        .value_kind:     hidden_group_size_z
      - .offset:         3170
        .size:           2
        .value_kind:     hidden_remainder_x
      - .offset:         3172
        .size:           2
        .value_kind:     hidden_remainder_y
      - .offset:         3174
        .size:           2
        .value_kind:     hidden_remainder_z
      - .offset:         3192
        .size:           8
        .value_kind:     hidden_global_offset_x
      - .offset:         3200
        .size:           8
        .value_kind:     hidden_global_offset_y
      - .offset:         3208
        .size:           8
        .value_kind:     hidden_global_offset_z
      - .offset:         3216
        .size:           2
        .value_kind:     hidden_grid_dims
    .group_segment_fixed_size: 0
    .kernarg_segment_align: 8
    .kernarg_segment_size: 3408
    .language:       OpenCL C
    .language_version:
      - 2
      - 0
    .max_flat_workgroup_size: 512
    .name:           _ZN2at6native12_GLOBAL__N_125multi_tensor_apply_kernelINS1_18TensorListMetadataILi2EEENS1_11CopyFunctorIN3c107complexIdEEdLi2ELi1ELi1EEEJNS0_4CopyIS8_dEEEEEvT_T0_DpT1_
    .private_segment_fixed_size: 0
    .sgpr_count:     26
    .sgpr_spill_count: 0
    .symbol:         _ZN2at6native12_GLOBAL__N_125multi_tensor_apply_kernelINS1_18TensorListMetadataILi2EEENS1_11CopyFunctorIN3c107complexIdEEdLi2ELi1ELi1EEEJNS0_4CopyIS8_dEEEEEvT_T0_DpT1_.kd
    .uniform_work_group_size: 1
    .uses_dynamic_stack: false
    .vgpr_count:     39
    .vgpr_spill_count: 0
    .wavefront_size: 32
    .workgroup_processor_mode: 1
  - .args:
      - .offset:         0
        .size:           3144
        .value_kind:     by_value
      - .offset:         3144
        .size:           1
        .value_kind:     by_value
      - .offset:         3145
        .size:           1
        .value_kind:     by_value
      - .offset:         3152
        .size:           4
        .value_kind:     hidden_block_count_x
      - .offset:         3156
        .size:           4
        .value_kind:     hidden_block_count_y
      - .offset:         3160
        .size:           4
        .value_kind:     hidden_block_count_z
      - .offset:         3164
        .size:           2
        .value_kind:     hidden_group_size_x
      - .offset:         3166
        .size:           2
        .value_kind:     hidden_group_size_y
      - .offset:         3168
        .size:           2
        .value_kind:     hidden_group_size_z
      - .offset:         3170
        .size:           2
        .value_kind:     hidden_remainder_x
      - .offset:         3172
        .size:           2
        .value_kind:     hidden_remainder_y
      - .offset:         3174
        .size:           2
        .value_kind:     hidden_remainder_z
      - .offset:         3192
        .size:           8
        .value_kind:     hidden_global_offset_x
      - .offset:         3200
        .size:           8
        .value_kind:     hidden_global_offset_y
      - .offset:         3208
        .size:           8
        .value_kind:     hidden_global_offset_z
      - .offset:         3216
        .size:           2
        .value_kind:     hidden_grid_dims
    .group_segment_fixed_size: 0
    .kernarg_segment_align: 8
    .kernarg_segment_size: 3408
    .language:       OpenCL C
    .language_version:
      - 2
      - 0
    .max_flat_workgroup_size: 512
    .name:           _ZN2at6native12_GLOBAL__N_125multi_tensor_apply_kernelINS1_18TensorListMetadataILi2EEENS1_11CopyFunctorIN3c107complexIdEEfLi2ELi1ELi1EEEJNS0_4CopyIS8_fEEEEEvT_T0_DpT1_
    .private_segment_fixed_size: 0
    .sgpr_count:     26
    .sgpr_spill_count: 0
    .symbol:         _ZN2at6native12_GLOBAL__N_125multi_tensor_apply_kernelINS1_18TensorListMetadataILi2EEENS1_11CopyFunctorIN3c107complexIdEEfLi2ELi1ELi1EEEJNS0_4CopyIS8_fEEEEEvT_T0_DpT1_.kd
    .uniform_work_group_size: 1
    .uses_dynamic_stack: false
    .vgpr_count:     35
    .vgpr_spill_count: 0
    .wavefront_size: 32
    .workgroup_processor_mode: 1
  - .args:
      - .offset:         0
        .size:           3144
        .value_kind:     by_value
      - .offset:         3144
        .size:           1
        .value_kind:     by_value
      - .offset:         3145
        .size:           1
        .value_kind:     by_value
      - .offset:         3152
        .size:           4
        .value_kind:     hidden_block_count_x
      - .offset:         3156
        .size:           4
        .value_kind:     hidden_block_count_y
      - .offset:         3160
        .size:           4
        .value_kind:     hidden_block_count_z
      - .offset:         3164
        .size:           2
        .value_kind:     hidden_group_size_x
      - .offset:         3166
        .size:           2
        .value_kind:     hidden_group_size_y
      - .offset:         3168
        .size:           2
        .value_kind:     hidden_group_size_z
      - .offset:         3170
        .size:           2
        .value_kind:     hidden_remainder_x
      - .offset:         3172
        .size:           2
        .value_kind:     hidden_remainder_y
      - .offset:         3174
        .size:           2
        .value_kind:     hidden_remainder_z
      - .offset:         3192
        .size:           8
        .value_kind:     hidden_global_offset_x
      - .offset:         3200
        .size:           8
        .value_kind:     hidden_global_offset_y
      - .offset:         3208
        .size:           8
        .value_kind:     hidden_global_offset_z
      - .offset:         3216
        .size:           2
        .value_kind:     hidden_grid_dims
    .group_segment_fixed_size: 0
    .kernarg_segment_align: 8
    .kernarg_segment_size: 3408
    .language:       OpenCL C
    .language_version:
      - 2
      - 0
    .max_flat_workgroup_size: 512
    .name:           _ZN2at6native12_GLOBAL__N_125multi_tensor_apply_kernelINS1_18TensorListMetadataILi2EEENS1_14UnaryOpFunctorIN3c107complexIdEELi2ELi1ELi1EEEJNS0_4CopyIS8_S8_EEEEEvT_T0_DpT1_
    .private_segment_fixed_size: 0
    .sgpr_count:     24
    .sgpr_spill_count: 0
    .symbol:         _ZN2at6native12_GLOBAL__N_125multi_tensor_apply_kernelINS1_18TensorListMetadataILi2EEENS1_14UnaryOpFunctorIN3c107complexIdEELi2ELi1ELi1EEEJNS0_4CopyIS8_S8_EEEEEvT_T0_DpT1_.kd
    .uniform_work_group_size: 1
    .uses_dynamic_stack: false
    .vgpr_count:     36
    .vgpr_spill_count: 0
    .wavefront_size: 32
    .workgroup_processor_mode: 1
  - .args:
      - .offset:         0
        .size:           3144
        .value_kind:     by_value
      - .offset:         3144
        .size:           1
        .value_kind:     by_value
      - .offset:         3145
        .size:           1
        .value_kind:     by_value
      - .offset:         3152
        .size:           4
        .value_kind:     hidden_block_count_x
      - .offset:         3156
        .size:           4
        .value_kind:     hidden_block_count_y
      - .offset:         3160
        .size:           4
        .value_kind:     hidden_block_count_z
      - .offset:         3164
        .size:           2
        .value_kind:     hidden_group_size_x
      - .offset:         3166
        .size:           2
        .value_kind:     hidden_group_size_y
      - .offset:         3168
        .size:           2
        .value_kind:     hidden_group_size_z
      - .offset:         3170
        .size:           2
        .value_kind:     hidden_remainder_x
      - .offset:         3172
        .size:           2
        .value_kind:     hidden_remainder_y
      - .offset:         3174
        .size:           2
        .value_kind:     hidden_remainder_z
      - .offset:         3192
        .size:           8
        .value_kind:     hidden_global_offset_x
      - .offset:         3200
        .size:           8
        .value_kind:     hidden_global_offset_y
      - .offset:         3208
        .size:           8
        .value_kind:     hidden_global_offset_z
      - .offset:         3216
        .size:           2
        .value_kind:     hidden_grid_dims
    .group_segment_fixed_size: 0
    .kernarg_segment_align: 8
    .kernarg_segment_size: 3408
    .language:       OpenCL C
    .language_version:
      - 2
      - 0
    .max_flat_workgroup_size: 512
    .name:           _ZN2at6native12_GLOBAL__N_125multi_tensor_apply_kernelINS1_18TensorListMetadataILi2EEENS1_11CopyFunctorIN3c107complexIdEENS7_IfEELi2ELi1ELi1EEEJNS0_4CopyIS8_S9_EEEEEvT_T0_DpT1_
    .private_segment_fixed_size: 0
    .sgpr_count:     26
    .sgpr_spill_count: 0
    .symbol:         _ZN2at6native12_GLOBAL__N_125multi_tensor_apply_kernelINS1_18TensorListMetadataILi2EEENS1_11CopyFunctorIN3c107complexIdEENS7_IfEELi2ELi1ELi1EEEJNS0_4CopyIS8_S9_EEEEEvT_T0_DpT1_.kd
    .uniform_work_group_size: 1
    .uses_dynamic_stack: false
    .vgpr_count:     40
    .vgpr_spill_count: 0
    .wavefront_size: 32
    .workgroup_processor_mode: 1
  - .args:
      - .offset:         0
        .size:           3144
        .value_kind:     by_value
      - .offset:         3144
        .size:           1
        .value_kind:     by_value
      - .offset:         3145
        .size:           1
        .value_kind:     by_value
      - .offset:         3152
        .size:           4
        .value_kind:     hidden_block_count_x
      - .offset:         3156
        .size:           4
        .value_kind:     hidden_block_count_y
      - .offset:         3160
        .size:           4
        .value_kind:     hidden_block_count_z
      - .offset:         3164
        .size:           2
        .value_kind:     hidden_group_size_x
      - .offset:         3166
        .size:           2
        .value_kind:     hidden_group_size_y
      - .offset:         3168
        .size:           2
        .value_kind:     hidden_group_size_z
      - .offset:         3170
        .size:           2
        .value_kind:     hidden_remainder_x
      - .offset:         3172
        .size:           2
        .value_kind:     hidden_remainder_y
      - .offset:         3174
        .size:           2
        .value_kind:     hidden_remainder_z
      - .offset:         3192
        .size:           8
        .value_kind:     hidden_global_offset_x
      - .offset:         3200
        .size:           8
        .value_kind:     hidden_global_offset_y
      - .offset:         3208
        .size:           8
        .value_kind:     hidden_global_offset_z
      - .offset:         3216
        .size:           2
        .value_kind:     hidden_grid_dims
    .group_segment_fixed_size: 0
    .kernarg_segment_align: 8
    .kernarg_segment_size: 3408
    .language:       OpenCL C
    .language_version:
      - 2
      - 0
    .max_flat_workgroup_size: 512
    .name:           _ZN2at6native12_GLOBAL__N_125multi_tensor_apply_kernelINS1_18TensorListMetadataILi2EEENS1_11CopyFunctorIN3c107complexIdEENS6_4HalfELi2ELi1ELi1EEEJNS0_4CopyIS8_S9_EEEEEvT_T0_DpT1_
    .private_segment_fixed_size: 0
    .sgpr_count:     26
    .sgpr_spill_count: 0
    .symbol:         _ZN2at6native12_GLOBAL__N_125multi_tensor_apply_kernelINS1_18TensorListMetadataILi2EEENS1_11CopyFunctorIN3c107complexIdEENS6_4HalfELi2ELi1ELi1EEEJNS0_4CopyIS8_S9_EEEEEvT_T0_DpT1_.kd
    .uniform_work_group_size: 1
    .uses_dynamic_stack: false
    .vgpr_count:     35
    .vgpr_spill_count: 0
    .wavefront_size: 32
    .workgroup_processor_mode: 1
  - .args:
      - .offset:         0
        .size:           3144
        .value_kind:     by_value
      - .offset:         3144
        .size:           1
        .value_kind:     by_value
      - .offset:         3145
        .size:           1
        .value_kind:     by_value
      - .offset:         3152
        .size:           4
        .value_kind:     hidden_block_count_x
      - .offset:         3156
        .size:           4
        .value_kind:     hidden_block_count_y
      - .offset:         3160
        .size:           4
        .value_kind:     hidden_block_count_z
      - .offset:         3164
        .size:           2
        .value_kind:     hidden_group_size_x
      - .offset:         3166
        .size:           2
        .value_kind:     hidden_group_size_y
      - .offset:         3168
        .size:           2
        .value_kind:     hidden_group_size_z
      - .offset:         3170
        .size:           2
        .value_kind:     hidden_remainder_x
      - .offset:         3172
        .size:           2
        .value_kind:     hidden_remainder_y
      - .offset:         3174
        .size:           2
        .value_kind:     hidden_remainder_z
      - .offset:         3192
        .size:           8
        .value_kind:     hidden_global_offset_x
      - .offset:         3200
        .size:           8
        .value_kind:     hidden_global_offset_y
      - .offset:         3208
        .size:           8
        .value_kind:     hidden_global_offset_z
      - .offset:         3216
        .size:           2
        .value_kind:     hidden_grid_dims
    .group_segment_fixed_size: 0
    .kernarg_segment_align: 8
    .kernarg_segment_size: 3408
    .language:       OpenCL C
    .language_version:
      - 2
      - 0
    .max_flat_workgroup_size: 512
    .name:           _ZN2at6native12_GLOBAL__N_125multi_tensor_apply_kernelINS1_18TensorListMetadataILi2EEENS1_11CopyFunctorIN3c107complexIdEENS6_8BFloat16ELi2ELi1ELi1EEEJNS0_4CopyIS8_S9_EEEEEvT_T0_DpT1_
    .private_segment_fixed_size: 0
    .sgpr_count:     26
    .sgpr_spill_count: 0
    .symbol:         _ZN2at6native12_GLOBAL__N_125multi_tensor_apply_kernelINS1_18TensorListMetadataILi2EEENS1_11CopyFunctorIN3c107complexIdEENS6_8BFloat16ELi2ELi1ELi1EEEJNS0_4CopyIS8_S9_EEEEEvT_T0_DpT1_.kd
    .uniform_work_group_size: 1
    .uses_dynamic_stack: false
    .vgpr_count:     35
    .vgpr_spill_count: 0
    .wavefront_size: 32
    .workgroup_processor_mode: 1
  - .args:
      - .offset:         0
        .size:           3144
        .value_kind:     by_value
      - .offset:         3144
        .size:           1
        .value_kind:     by_value
      - .offset:         3145
        .size:           1
        .value_kind:     by_value
      - .offset:         3152
        .size:           4
        .value_kind:     hidden_block_count_x
      - .offset:         3156
        .size:           4
        .value_kind:     hidden_block_count_y
      - .offset:         3160
        .size:           4
        .value_kind:     hidden_block_count_z
      - .offset:         3164
        .size:           2
        .value_kind:     hidden_group_size_x
      - .offset:         3166
        .size:           2
        .value_kind:     hidden_group_size_y
      - .offset:         3168
        .size:           2
        .value_kind:     hidden_group_size_z
      - .offset:         3170
        .size:           2
        .value_kind:     hidden_remainder_x
      - .offset:         3172
        .size:           2
        .value_kind:     hidden_remainder_y
      - .offset:         3174
        .size:           2
        .value_kind:     hidden_remainder_z
      - .offset:         3192
        .size:           8
        .value_kind:     hidden_global_offset_x
      - .offset:         3200
        .size:           8
        .value_kind:     hidden_global_offset_y
      - .offset:         3208
        .size:           8
        .value_kind:     hidden_global_offset_z
      - .offset:         3216
        .size:           2
        .value_kind:     hidden_grid_dims
    .group_segment_fixed_size: 0
    .kernarg_segment_align: 8
    .kernarg_segment_size: 3408
    .language:       OpenCL C
    .language_version:
      - 2
      - 0
    .max_flat_workgroup_size: 512
    .name:           _ZN2at6native12_GLOBAL__N_125multi_tensor_apply_kernelINS1_18TensorListMetadataILi2EEENS1_11CopyFunctorIN3c107complexIdEEbLi2ELi1ELi1EEEJNS0_4CopyIS8_bEEEEEvT_T0_DpT1_
    .private_segment_fixed_size: 0
    .sgpr_count:     24
    .sgpr_spill_count: 0
    .symbol:         _ZN2at6native12_GLOBAL__N_125multi_tensor_apply_kernelINS1_18TensorListMetadataILi2EEENS1_11CopyFunctorIN3c107complexIdEEbLi2ELi1ELi1EEEJNS0_4CopyIS8_bEEEEEvT_T0_DpT1_.kd
    .uniform_work_group_size: 1
    .uses_dynamic_stack: false
    .vgpr_count:     38
    .vgpr_spill_count: 0
    .wavefront_size: 32
    .workgroup_processor_mode: 1
  - .args:
      - .offset:         0
        .size:           3144
        .value_kind:     by_value
      - .offset:         3144
        .size:           1
        .value_kind:     by_value
      - .offset:         3145
        .size:           1
        .value_kind:     by_value
      - .offset:         3152
        .size:           4
        .value_kind:     hidden_block_count_x
      - .offset:         3156
        .size:           4
        .value_kind:     hidden_block_count_y
      - .offset:         3160
        .size:           4
        .value_kind:     hidden_block_count_z
      - .offset:         3164
        .size:           2
        .value_kind:     hidden_group_size_x
      - .offset:         3166
        .size:           2
        .value_kind:     hidden_group_size_y
      - .offset:         3168
        .size:           2
        .value_kind:     hidden_group_size_z
      - .offset:         3170
        .size:           2
        .value_kind:     hidden_remainder_x
      - .offset:         3172
        .size:           2
        .value_kind:     hidden_remainder_y
      - .offset:         3174
        .size:           2
        .value_kind:     hidden_remainder_z
      - .offset:         3192
        .size:           8
        .value_kind:     hidden_global_offset_x
      - .offset:         3200
        .size:           8
        .value_kind:     hidden_global_offset_y
      - .offset:         3208
        .size:           8
        .value_kind:     hidden_global_offset_z
      - .offset:         3216
        .size:           2
        .value_kind:     hidden_grid_dims
    .group_segment_fixed_size: 0
    .kernarg_segment_align: 8
    .kernarg_segment_size: 3408
    .language:       OpenCL C
    .language_version:
      - 2
      - 0
    .max_flat_workgroup_size: 512
    .name:           _ZN2at6native12_GLOBAL__N_125multi_tensor_apply_kernelINS1_18TensorListMetadataILi2EEENS1_11CopyFunctorIN3c107complexIdEENS6_13Float8_e4m3fnELi2ELi1ELi1EEEJNS0_4CopyIS8_S9_EEEEEvT_T0_DpT1_
    .private_segment_fixed_size: 0
    .sgpr_count:     24
    .sgpr_spill_count: 0
    .symbol:         _ZN2at6native12_GLOBAL__N_125multi_tensor_apply_kernelINS1_18TensorListMetadataILi2EEENS1_11CopyFunctorIN3c107complexIdEENS6_13Float8_e4m3fnELi2ELi1ELi1EEEJNS0_4CopyIS8_S9_EEEEEvT_T0_DpT1_.kd
    .uniform_work_group_size: 1
    .uses_dynamic_stack: false
    .vgpr_count:     37
    .vgpr_spill_count: 0
    .wavefront_size: 32
    .workgroup_processor_mode: 1
  - .args:
      - .offset:         0
        .size:           3144
        .value_kind:     by_value
      - .offset:         3144
        .size:           1
        .value_kind:     by_value
      - .offset:         3145
        .size:           1
        .value_kind:     by_value
      - .offset:         3152
        .size:           4
        .value_kind:     hidden_block_count_x
      - .offset:         3156
        .size:           4
        .value_kind:     hidden_block_count_y
      - .offset:         3160
        .size:           4
        .value_kind:     hidden_block_count_z
      - .offset:         3164
        .size:           2
        .value_kind:     hidden_group_size_x
      - .offset:         3166
        .size:           2
        .value_kind:     hidden_group_size_y
      - .offset:         3168
        .size:           2
        .value_kind:     hidden_group_size_z
      - .offset:         3170
        .size:           2
        .value_kind:     hidden_remainder_x
      - .offset:         3172
        .size:           2
        .value_kind:     hidden_remainder_y
      - .offset:         3174
        .size:           2
        .value_kind:     hidden_remainder_z
      - .offset:         3192
        .size:           8
        .value_kind:     hidden_global_offset_x
      - .offset:         3200
        .size:           8
        .value_kind:     hidden_global_offset_y
      - .offset:         3208
        .size:           8
        .value_kind:     hidden_global_offset_z
      - .offset:         3216
        .size:           2
        .value_kind:     hidden_grid_dims
    .group_segment_fixed_size: 0
    .kernarg_segment_align: 8
    .kernarg_segment_size: 3408
    .language:       OpenCL C
    .language_version:
      - 2
      - 0
    .max_flat_workgroup_size: 512
    .name:           _ZN2at6native12_GLOBAL__N_125multi_tensor_apply_kernelINS1_18TensorListMetadataILi2EEENS1_11CopyFunctorIN3c107complexIdEENS6_15Float8_e4m3fnuzELi2ELi1ELi1EEEJNS0_4CopyIS8_S9_EEEEEvT_T0_DpT1_
    .private_segment_fixed_size: 0
    .sgpr_count:     24
    .sgpr_spill_count: 0
    .symbol:         _ZN2at6native12_GLOBAL__N_125multi_tensor_apply_kernelINS1_18TensorListMetadataILi2EEENS1_11CopyFunctorIN3c107complexIdEENS6_15Float8_e4m3fnuzELi2ELi1ELi1EEEJNS0_4CopyIS8_S9_EEEEEvT_T0_DpT1_.kd
    .uniform_work_group_size: 1
    .uses_dynamic_stack: false
    .vgpr_count:     45
    .vgpr_spill_count: 0
    .wavefront_size: 32
    .workgroup_processor_mode: 1
  - .args:
      - .offset:         0
        .size:           3144
        .value_kind:     by_value
      - .offset:         3144
        .size:           1
        .value_kind:     by_value
      - .offset:         3145
        .size:           1
        .value_kind:     by_value
      - .offset:         3152
        .size:           4
        .value_kind:     hidden_block_count_x
      - .offset:         3156
        .size:           4
        .value_kind:     hidden_block_count_y
      - .offset:         3160
        .size:           4
        .value_kind:     hidden_block_count_z
      - .offset:         3164
        .size:           2
        .value_kind:     hidden_group_size_x
      - .offset:         3166
        .size:           2
        .value_kind:     hidden_group_size_y
      - .offset:         3168
        .size:           2
        .value_kind:     hidden_group_size_z
      - .offset:         3170
        .size:           2
        .value_kind:     hidden_remainder_x
      - .offset:         3172
        .size:           2
        .value_kind:     hidden_remainder_y
      - .offset:         3174
        .size:           2
        .value_kind:     hidden_remainder_z
      - .offset:         3192
        .size:           8
        .value_kind:     hidden_global_offset_x
      - .offset:         3200
        .size:           8
        .value_kind:     hidden_global_offset_y
      - .offset:         3208
        .size:           8
        .value_kind:     hidden_global_offset_z
      - .offset:         3216
        .size:           2
        .value_kind:     hidden_grid_dims
    .group_segment_fixed_size: 0
    .kernarg_segment_align: 8
    .kernarg_segment_size: 3408
    .language:       OpenCL C
    .language_version:
      - 2
      - 0
    .max_flat_workgroup_size: 512
    .name:           _ZN2at6native12_GLOBAL__N_125multi_tensor_apply_kernelINS1_18TensorListMetadataILi2EEENS1_11CopyFunctorIN3c107complexIdEENS6_11Float8_e5m2ELi2ELi1ELi1EEEJNS0_4CopyIS8_S9_EEEEEvT_T0_DpT1_
    .private_segment_fixed_size: 0
    .sgpr_count:     24
    .sgpr_spill_count: 0
    .symbol:         _ZN2at6native12_GLOBAL__N_125multi_tensor_apply_kernelINS1_18TensorListMetadataILi2EEENS1_11CopyFunctorIN3c107complexIdEENS6_11Float8_e5m2ELi2ELi1ELi1EEEJNS0_4CopyIS8_S9_EEEEEvT_T0_DpT1_.kd
    .uniform_work_group_size: 1
    .uses_dynamic_stack: false
    .vgpr_count:     37
    .vgpr_spill_count: 0
    .wavefront_size: 32
    .workgroup_processor_mode: 1
  - .args:
      - .offset:         0
        .size:           3144
        .value_kind:     by_value
      - .offset:         3144
        .size:           1
        .value_kind:     by_value
      - .offset:         3145
        .size:           1
        .value_kind:     by_value
      - .offset:         3152
        .size:           4
        .value_kind:     hidden_block_count_x
      - .offset:         3156
        .size:           4
        .value_kind:     hidden_block_count_y
      - .offset:         3160
        .size:           4
        .value_kind:     hidden_block_count_z
      - .offset:         3164
        .size:           2
        .value_kind:     hidden_group_size_x
      - .offset:         3166
        .size:           2
        .value_kind:     hidden_group_size_y
      - .offset:         3168
        .size:           2
        .value_kind:     hidden_group_size_z
      - .offset:         3170
        .size:           2
        .value_kind:     hidden_remainder_x
      - .offset:         3172
        .size:           2
        .value_kind:     hidden_remainder_y
      - .offset:         3174
        .size:           2
        .value_kind:     hidden_remainder_z
      - .offset:         3192
        .size:           8
        .value_kind:     hidden_global_offset_x
      - .offset:         3200
        .size:           8
        .value_kind:     hidden_global_offset_y
      - .offset:         3208
        .size:           8
        .value_kind:     hidden_global_offset_z
      - .offset:         3216
        .size:           2
        .value_kind:     hidden_grid_dims
    .group_segment_fixed_size: 0
    .kernarg_segment_align: 8
    .kernarg_segment_size: 3408
    .language:       OpenCL C
    .language_version:
      - 2
      - 0
    .max_flat_workgroup_size: 512
    .name:           _ZN2at6native12_GLOBAL__N_125multi_tensor_apply_kernelINS1_18TensorListMetadataILi2EEENS1_11CopyFunctorIN3c107complexIdEENS6_15Float8_e5m2fnuzELi2ELi1ELi1EEEJNS0_4CopyIS8_S9_EEEEEvT_T0_DpT1_
    .private_segment_fixed_size: 0
    .sgpr_count:     24
    .sgpr_spill_count: 0
    .symbol:         _ZN2at6native12_GLOBAL__N_125multi_tensor_apply_kernelINS1_18TensorListMetadataILi2EEENS1_11CopyFunctorIN3c107complexIdEENS6_15Float8_e5m2fnuzELi2ELi1ELi1EEEJNS0_4CopyIS8_S9_EEEEEvT_T0_DpT1_.kd
    .uniform_work_group_size: 1
    .uses_dynamic_stack: false
    .vgpr_count:     45
    .vgpr_spill_count: 0
    .wavefront_size: 32
    .workgroup_processor_mode: 1
  - .args:
      - .offset:         0
        .size:           3144
        .value_kind:     by_value
      - .offset:         3144
        .size:           1
        .value_kind:     by_value
      - .offset:         3145
        .size:           1
        .value_kind:     by_value
      - .offset:         3152
        .size:           4
        .value_kind:     hidden_block_count_x
      - .offset:         3156
        .size:           4
        .value_kind:     hidden_block_count_y
      - .offset:         3160
        .size:           4
        .value_kind:     hidden_block_count_z
      - .offset:         3164
        .size:           2
        .value_kind:     hidden_group_size_x
      - .offset:         3166
        .size:           2
        .value_kind:     hidden_group_size_y
      - .offset:         3168
        .size:           2
        .value_kind:     hidden_group_size_z
      - .offset:         3170
        .size:           2
        .value_kind:     hidden_remainder_x
      - .offset:         3172
        .size:           2
        .value_kind:     hidden_remainder_y
      - .offset:         3174
        .size:           2
        .value_kind:     hidden_remainder_z
      - .offset:         3192
        .size:           8
        .value_kind:     hidden_global_offset_x
      - .offset:         3200
        .size:           8
        .value_kind:     hidden_global_offset_y
      - .offset:         3208
        .size:           8
        .value_kind:     hidden_global_offset_z
      - .offset:         3216
        .size:           2
        .value_kind:     hidden_grid_dims
    .group_segment_fixed_size: 0
    .kernarg_segment_align: 8
    .kernarg_segment_size: 3408
    .language:       OpenCL C
    .language_version:
      - 2
      - 0
    .max_flat_workgroup_size: 512
    .name:           _ZN2at6native12_GLOBAL__N_125multi_tensor_apply_kernelINS1_18TensorListMetadataILi2EEENS1_11CopyFunctorIN3c107complexIfEEhLi2ELi1ELi1EEEJNS0_4CopyIS8_hEEEEEvT_T0_DpT1_
    .private_segment_fixed_size: 0
    .sgpr_count:     24
    .sgpr_spill_count: 0
    .symbol:         _ZN2at6native12_GLOBAL__N_125multi_tensor_apply_kernelINS1_18TensorListMetadataILi2EEENS1_11CopyFunctorIN3c107complexIfEEhLi2ELi1ELi1EEEJNS0_4CopyIS8_hEEEEEvT_T0_DpT1_.kd
    .uniform_work_group_size: 1
    .uses_dynamic_stack: false
    .vgpr_count:     36
    .vgpr_spill_count: 0
    .wavefront_size: 32
    .workgroup_processor_mode: 1
  - .args:
      - .offset:         0
        .size:           3144
        .value_kind:     by_value
      - .offset:         3144
        .size:           1
        .value_kind:     by_value
      - .offset:         3145
        .size:           1
        .value_kind:     by_value
      - .offset:         3152
        .size:           4
        .value_kind:     hidden_block_count_x
      - .offset:         3156
        .size:           4
        .value_kind:     hidden_block_count_y
      - .offset:         3160
        .size:           4
        .value_kind:     hidden_block_count_z
      - .offset:         3164
        .size:           2
        .value_kind:     hidden_group_size_x
      - .offset:         3166
        .size:           2
        .value_kind:     hidden_group_size_y
      - .offset:         3168
        .size:           2
        .value_kind:     hidden_group_size_z
      - .offset:         3170
        .size:           2
        .value_kind:     hidden_remainder_x
      - .offset:         3172
        .size:           2
        .value_kind:     hidden_remainder_y
      - .offset:         3174
        .size:           2
        .value_kind:     hidden_remainder_z
      - .offset:         3192
        .size:           8
        .value_kind:     hidden_global_offset_x
      - .offset:         3200
        .size:           8
        .value_kind:     hidden_global_offset_y
      - .offset:         3208
        .size:           8
        .value_kind:     hidden_global_offset_z
      - .offset:         3216
        .size:           2
        .value_kind:     hidden_grid_dims
    .group_segment_fixed_size: 0
    .kernarg_segment_align: 8
    .kernarg_segment_size: 3408
    .language:       OpenCL C
    .language_version:
      - 2
      - 0
    .max_flat_workgroup_size: 512
    .name:           _ZN2at6native12_GLOBAL__N_125multi_tensor_apply_kernelINS1_18TensorListMetadataILi2EEENS1_11CopyFunctorIN3c107complexIfEEaLi2ELi1ELi1EEEJNS0_4CopyIS8_aEEEEEvT_T0_DpT1_
    .private_segment_fixed_size: 0
    .sgpr_count:     24
    .sgpr_spill_count: 0
    .symbol:         _ZN2at6native12_GLOBAL__N_125multi_tensor_apply_kernelINS1_18TensorListMetadataILi2EEENS1_11CopyFunctorIN3c107complexIfEEaLi2ELi1ELi1EEEJNS0_4CopyIS8_aEEEEEvT_T0_DpT1_.kd
    .uniform_work_group_size: 1
    .uses_dynamic_stack: false
    .vgpr_count:     36
    .vgpr_spill_count: 0
    .wavefront_size: 32
    .workgroup_processor_mode: 1
  - .args:
      - .offset:         0
        .size:           3144
        .value_kind:     by_value
      - .offset:         3144
        .size:           1
        .value_kind:     by_value
      - .offset:         3145
        .size:           1
        .value_kind:     by_value
      - .offset:         3152
        .size:           4
        .value_kind:     hidden_block_count_x
      - .offset:         3156
        .size:           4
        .value_kind:     hidden_block_count_y
      - .offset:         3160
        .size:           4
        .value_kind:     hidden_block_count_z
      - .offset:         3164
        .size:           2
        .value_kind:     hidden_group_size_x
      - .offset:         3166
        .size:           2
        .value_kind:     hidden_group_size_y
      - .offset:         3168
        .size:           2
        .value_kind:     hidden_group_size_z
      - .offset:         3170
        .size:           2
        .value_kind:     hidden_remainder_x
      - .offset:         3172
        .size:           2
        .value_kind:     hidden_remainder_y
      - .offset:         3174
        .size:           2
        .value_kind:     hidden_remainder_z
      - .offset:         3192
        .size:           8
        .value_kind:     hidden_global_offset_x
      - .offset:         3200
        .size:           8
        .value_kind:     hidden_global_offset_y
      - .offset:         3208
        .size:           8
        .value_kind:     hidden_global_offset_z
      - .offset:         3216
        .size:           2
        .value_kind:     hidden_grid_dims
    .group_segment_fixed_size: 0
    .kernarg_segment_align: 8
    .kernarg_segment_size: 3408
    .language:       OpenCL C
    .language_version:
      - 2
      - 0
    .max_flat_workgroup_size: 512
    .name:           _ZN2at6native12_GLOBAL__N_125multi_tensor_apply_kernelINS1_18TensorListMetadataILi2EEENS1_11CopyFunctorIN3c107complexIfEElLi2ELi1ELi1EEEJNS0_4CopyIS8_lEEEEEvT_T0_DpT1_
    .private_segment_fixed_size: 0
    .sgpr_count:     24
    .sgpr_spill_count: 0
    .symbol:         _ZN2at6native12_GLOBAL__N_125multi_tensor_apply_kernelINS1_18TensorListMetadataILi2EEENS1_11CopyFunctorIN3c107complexIfEElLi2ELi1ELi1EEEJNS0_4CopyIS8_lEEEEEvT_T0_DpT1_.kd
    .uniform_work_group_size: 1
    .uses_dynamic_stack: false
    .vgpr_count:     37
    .vgpr_spill_count: 0
    .wavefront_size: 32
    .workgroup_processor_mode: 1
  - .args:
      - .offset:         0
        .size:           3144
        .value_kind:     by_value
      - .offset:         3144
        .size:           1
        .value_kind:     by_value
      - .offset:         3145
        .size:           1
        .value_kind:     by_value
      - .offset:         3152
        .size:           4
        .value_kind:     hidden_block_count_x
      - .offset:         3156
        .size:           4
        .value_kind:     hidden_block_count_y
      - .offset:         3160
        .size:           4
        .value_kind:     hidden_block_count_z
      - .offset:         3164
        .size:           2
        .value_kind:     hidden_group_size_x
      - .offset:         3166
        .size:           2
        .value_kind:     hidden_group_size_y
      - .offset:         3168
        .size:           2
        .value_kind:     hidden_group_size_z
      - .offset:         3170
        .size:           2
        .value_kind:     hidden_remainder_x
      - .offset:         3172
        .size:           2
        .value_kind:     hidden_remainder_y
      - .offset:         3174
        .size:           2
        .value_kind:     hidden_remainder_z
      - .offset:         3192
        .size:           8
        .value_kind:     hidden_global_offset_x
      - .offset:         3200
        .size:           8
        .value_kind:     hidden_global_offset_y
      - .offset:         3208
        .size:           8
        .value_kind:     hidden_global_offset_z
      - .offset:         3216
        .size:           2
        .value_kind:     hidden_grid_dims
    .group_segment_fixed_size: 0
    .kernarg_segment_align: 8
    .kernarg_segment_size: 3408
    .language:       OpenCL C
    .language_version:
      - 2
      - 0
    .max_flat_workgroup_size: 512
    .name:           _ZN2at6native12_GLOBAL__N_125multi_tensor_apply_kernelINS1_18TensorListMetadataILi2EEENS1_11CopyFunctorIN3c107complexIfEEsLi2ELi1ELi1EEEJNS0_4CopyIS8_sEEEEEvT_T0_DpT1_
    .private_segment_fixed_size: 0
    .sgpr_count:     23
    .sgpr_spill_count: 0
    .symbol:         _ZN2at6native12_GLOBAL__N_125multi_tensor_apply_kernelINS1_18TensorListMetadataILi2EEENS1_11CopyFunctorIN3c107complexIfEEsLi2ELi1ELi1EEEJNS0_4CopyIS8_sEEEEEvT_T0_DpT1_.kd
    .uniform_work_group_size: 1
    .uses_dynamic_stack: false
    .vgpr_count:     31
    .vgpr_spill_count: 0
    .wavefront_size: 32
    .workgroup_processor_mode: 1
  - .args:
      - .offset:         0
        .size:           3144
        .value_kind:     by_value
      - .offset:         3144
        .size:           1
        .value_kind:     by_value
      - .offset:         3145
        .size:           1
        .value_kind:     by_value
      - .offset:         3152
        .size:           4
        .value_kind:     hidden_block_count_x
      - .offset:         3156
        .size:           4
        .value_kind:     hidden_block_count_y
      - .offset:         3160
        .size:           4
        .value_kind:     hidden_block_count_z
      - .offset:         3164
        .size:           2
        .value_kind:     hidden_group_size_x
      - .offset:         3166
        .size:           2
        .value_kind:     hidden_group_size_y
      - .offset:         3168
        .size:           2
        .value_kind:     hidden_group_size_z
      - .offset:         3170
        .size:           2
        .value_kind:     hidden_remainder_x
      - .offset:         3172
        .size:           2
        .value_kind:     hidden_remainder_y
      - .offset:         3174
        .size:           2
        .value_kind:     hidden_remainder_z
      - .offset:         3192
        .size:           8
        .value_kind:     hidden_global_offset_x
      - .offset:         3200
        .size:           8
        .value_kind:     hidden_global_offset_y
      - .offset:         3208
        .size:           8
        .value_kind:     hidden_global_offset_z
      - .offset:         3216
        .size:           2
        .value_kind:     hidden_grid_dims
    .group_segment_fixed_size: 0
    .kernarg_segment_align: 8
    .kernarg_segment_size: 3408
    .language:       OpenCL C
    .language_version:
      - 2
      - 0
    .max_flat_workgroup_size: 512
    .name:           _ZN2at6native12_GLOBAL__N_125multi_tensor_apply_kernelINS1_18TensorListMetadataILi2EEENS1_11CopyFunctorIN3c107complexIfEEiLi2ELi1ELi1EEEJNS0_4CopyIS8_iEEEEEvT_T0_DpT1_
    .private_segment_fixed_size: 0
    .sgpr_count:     23
    .sgpr_spill_count: 0
    .symbol:         _ZN2at6native12_GLOBAL__N_125multi_tensor_apply_kernelINS1_18TensorListMetadataILi2EEENS1_11CopyFunctorIN3c107complexIfEEiLi2ELi1ELi1EEEJNS0_4CopyIS8_iEEEEEvT_T0_DpT1_.kd
    .uniform_work_group_size: 1
    .uses_dynamic_stack: false
    .vgpr_count:     33
    .vgpr_spill_count: 0
    .wavefront_size: 32
    .workgroup_processor_mode: 1
  - .args:
      - .offset:         0
        .size:           3144
        .value_kind:     by_value
      - .offset:         3144
        .size:           1
        .value_kind:     by_value
      - .offset:         3145
        .size:           1
        .value_kind:     by_value
      - .offset:         3152
        .size:           4
        .value_kind:     hidden_block_count_x
      - .offset:         3156
        .size:           4
        .value_kind:     hidden_block_count_y
      - .offset:         3160
        .size:           4
        .value_kind:     hidden_block_count_z
      - .offset:         3164
        .size:           2
        .value_kind:     hidden_group_size_x
      - .offset:         3166
        .size:           2
        .value_kind:     hidden_group_size_y
      - .offset:         3168
        .size:           2
        .value_kind:     hidden_group_size_z
      - .offset:         3170
        .size:           2
        .value_kind:     hidden_remainder_x
      - .offset:         3172
        .size:           2
        .value_kind:     hidden_remainder_y
      - .offset:         3174
        .size:           2
        .value_kind:     hidden_remainder_z
      - .offset:         3192
        .size:           8
        .value_kind:     hidden_global_offset_x
      - .offset:         3200
        .size:           8
        .value_kind:     hidden_global_offset_y
      - .offset:         3208
        .size:           8
        .value_kind:     hidden_global_offset_z
      - .offset:         3216
        .size:           2
        .value_kind:     hidden_grid_dims
    .group_segment_fixed_size: 0
    .kernarg_segment_align: 8
    .kernarg_segment_size: 3408
    .language:       OpenCL C
    .language_version:
      - 2
      - 0
    .max_flat_workgroup_size: 512
    .name:           _ZN2at6native12_GLOBAL__N_125multi_tensor_apply_kernelINS1_18TensorListMetadataILi2EEENS1_11CopyFunctorIN3c107complexIfEEdLi2ELi1ELi1EEEJNS0_4CopyIS8_dEEEEEvT_T0_DpT1_
    .private_segment_fixed_size: 0
    .sgpr_count:     24
    .sgpr_spill_count: 0
    .symbol:         _ZN2at6native12_GLOBAL__N_125multi_tensor_apply_kernelINS1_18TensorListMetadataILi2EEENS1_11CopyFunctorIN3c107complexIfEEdLi2ELi1ELi1EEEJNS0_4CopyIS8_dEEEEEvT_T0_DpT1_.kd
    .uniform_work_group_size: 1
    .uses_dynamic_stack: false
    .vgpr_count:     36
    .vgpr_spill_count: 0
    .wavefront_size: 32
    .workgroup_processor_mode: 1
  - .args:
      - .offset:         0
        .size:           3144
        .value_kind:     by_value
      - .offset:         3144
        .size:           1
        .value_kind:     by_value
      - .offset:         3145
        .size:           1
        .value_kind:     by_value
      - .offset:         3152
        .size:           4
        .value_kind:     hidden_block_count_x
      - .offset:         3156
        .size:           4
        .value_kind:     hidden_block_count_y
      - .offset:         3160
        .size:           4
        .value_kind:     hidden_block_count_z
      - .offset:         3164
        .size:           2
        .value_kind:     hidden_group_size_x
      - .offset:         3166
        .size:           2
        .value_kind:     hidden_group_size_y
      - .offset:         3168
        .size:           2
        .value_kind:     hidden_group_size_z
      - .offset:         3170
        .size:           2
        .value_kind:     hidden_remainder_x
      - .offset:         3172
        .size:           2
        .value_kind:     hidden_remainder_y
      - .offset:         3174
        .size:           2
        .value_kind:     hidden_remainder_z
      - .offset:         3192
        .size:           8
        .value_kind:     hidden_global_offset_x
      - .offset:         3200
        .size:           8
        .value_kind:     hidden_global_offset_y
      - .offset:         3208
        .size:           8
        .value_kind:     hidden_global_offset_z
      - .offset:         3216
        .size:           2
        .value_kind:     hidden_grid_dims
    .group_segment_fixed_size: 0
    .kernarg_segment_align: 8
    .kernarg_segment_size: 3408
    .language:       OpenCL C
    .language_version:
      - 2
      - 0
    .max_flat_workgroup_size: 512
    .name:           _ZN2at6native12_GLOBAL__N_125multi_tensor_apply_kernelINS1_18TensorListMetadataILi2EEENS1_11CopyFunctorIN3c107complexIfEEfLi2ELi1ELi1EEEJNS0_4CopyIS8_fEEEEEvT_T0_DpT1_
    .private_segment_fixed_size: 0
    .sgpr_count:     23
    .sgpr_spill_count: 0
    .symbol:         _ZN2at6native12_GLOBAL__N_125multi_tensor_apply_kernelINS1_18TensorListMetadataILi2EEENS1_11CopyFunctorIN3c107complexIfEEfLi2ELi1ELi1EEEJNS0_4CopyIS8_fEEEEEvT_T0_DpT1_.kd
    .uniform_work_group_size: 1
    .uses_dynamic_stack: false
    .vgpr_count:     32
    .vgpr_spill_count: 0
    .wavefront_size: 32
    .workgroup_processor_mode: 1
  - .args:
      - .offset:         0
        .size:           3144
        .value_kind:     by_value
      - .offset:         3144
        .size:           1
        .value_kind:     by_value
      - .offset:         3145
        .size:           1
        .value_kind:     by_value
      - .offset:         3152
        .size:           4
        .value_kind:     hidden_block_count_x
      - .offset:         3156
        .size:           4
        .value_kind:     hidden_block_count_y
      - .offset:         3160
        .size:           4
        .value_kind:     hidden_block_count_z
      - .offset:         3164
        .size:           2
        .value_kind:     hidden_group_size_x
      - .offset:         3166
        .size:           2
        .value_kind:     hidden_group_size_y
      - .offset:         3168
        .size:           2
        .value_kind:     hidden_group_size_z
      - .offset:         3170
        .size:           2
        .value_kind:     hidden_remainder_x
      - .offset:         3172
        .size:           2
        .value_kind:     hidden_remainder_y
      - .offset:         3174
        .size:           2
        .value_kind:     hidden_remainder_z
      - .offset:         3192
        .size:           8
        .value_kind:     hidden_global_offset_x
      - .offset:         3200
        .size:           8
        .value_kind:     hidden_global_offset_y
      - .offset:         3208
        .size:           8
        .value_kind:     hidden_global_offset_z
      - .offset:         3216
        .size:           2
        .value_kind:     hidden_grid_dims
    .group_segment_fixed_size: 0
    .kernarg_segment_align: 8
    .kernarg_segment_size: 3408
    .language:       OpenCL C
    .language_version:
      - 2
      - 0
    .max_flat_workgroup_size: 512
    .name:           _ZN2at6native12_GLOBAL__N_125multi_tensor_apply_kernelINS1_18TensorListMetadataILi2EEENS1_11CopyFunctorIN3c107complexIfEENS7_IdEELi2ELi1ELi1EEEJNS0_4CopyIS8_S9_EEEEEvT_T0_DpT1_
    .private_segment_fixed_size: 0
    .sgpr_count:     26
    .sgpr_spill_count: 0
    .symbol:         _ZN2at6native12_GLOBAL__N_125multi_tensor_apply_kernelINS1_18TensorListMetadataILi2EEENS1_11CopyFunctorIN3c107complexIfEENS7_IdEELi2ELi1ELi1EEEJNS0_4CopyIS8_S9_EEEEEvT_T0_DpT1_.kd
    .uniform_work_group_size: 1
    .uses_dynamic_stack: false
    .vgpr_count:     45
    .vgpr_spill_count: 0
    .wavefront_size: 32
    .workgroup_processor_mode: 1
  - .args:
      - .offset:         0
        .size:           3144
        .value_kind:     by_value
      - .offset:         3144
        .size:           1
        .value_kind:     by_value
      - .offset:         3145
        .size:           1
        .value_kind:     by_value
      - .offset:         3152
        .size:           4
        .value_kind:     hidden_block_count_x
      - .offset:         3156
        .size:           4
        .value_kind:     hidden_block_count_y
      - .offset:         3160
        .size:           4
        .value_kind:     hidden_block_count_z
      - .offset:         3164
        .size:           2
        .value_kind:     hidden_group_size_x
      - .offset:         3166
        .size:           2
        .value_kind:     hidden_group_size_y
      - .offset:         3168
        .size:           2
        .value_kind:     hidden_group_size_z
      - .offset:         3170
        .size:           2
        .value_kind:     hidden_remainder_x
      - .offset:         3172
        .size:           2
        .value_kind:     hidden_remainder_y
      - .offset:         3174
        .size:           2
        .value_kind:     hidden_remainder_z
      - .offset:         3192
        .size:           8
        .value_kind:     hidden_global_offset_x
      - .offset:         3200
        .size:           8
        .value_kind:     hidden_global_offset_y
      - .offset:         3208
        .size:           8
        .value_kind:     hidden_global_offset_z
      - .offset:         3216
        .size:           2
        .value_kind:     hidden_grid_dims
    .group_segment_fixed_size: 0
    .kernarg_segment_align: 8
    .kernarg_segment_size: 3408
    .language:       OpenCL C
    .language_version:
      - 2
      - 0
    .max_flat_workgroup_size: 512
    .name:           _ZN2at6native12_GLOBAL__N_125multi_tensor_apply_kernelINS1_18TensorListMetadataILi2EEENS1_14UnaryOpFunctorIN3c107complexIfEELi2ELi1ELi1EEEJNS0_4CopyIS8_S8_EEEEEvT_T0_DpT1_
    .private_segment_fixed_size: 0
    .sgpr_count:     24
    .sgpr_spill_count: 0
    .symbol:         _ZN2at6native12_GLOBAL__N_125multi_tensor_apply_kernelINS1_18TensorListMetadataILi2EEENS1_14UnaryOpFunctorIN3c107complexIfEELi2ELi1ELi1EEEJNS0_4CopyIS8_S8_EEEEEvT_T0_DpT1_.kd
    .uniform_work_group_size: 1
    .uses_dynamic_stack: false
    .vgpr_count:     28
    .vgpr_spill_count: 0
    .wavefront_size: 32
    .workgroup_processor_mode: 1
  - .args:
      - .offset:         0
        .size:           3144
        .value_kind:     by_value
      - .offset:         3144
        .size:           1
        .value_kind:     by_value
      - .offset:         3145
        .size:           1
        .value_kind:     by_value
      - .offset:         3152
        .size:           4
        .value_kind:     hidden_block_count_x
      - .offset:         3156
        .size:           4
        .value_kind:     hidden_block_count_y
      - .offset:         3160
        .size:           4
        .value_kind:     hidden_block_count_z
      - .offset:         3164
        .size:           2
        .value_kind:     hidden_group_size_x
      - .offset:         3166
        .size:           2
        .value_kind:     hidden_group_size_y
      - .offset:         3168
        .size:           2
        .value_kind:     hidden_group_size_z
      - .offset:         3170
        .size:           2
        .value_kind:     hidden_remainder_x
      - .offset:         3172
        .size:           2
        .value_kind:     hidden_remainder_y
      - .offset:         3174
        .size:           2
        .value_kind:     hidden_remainder_z
      - .offset:         3192
        .size:           8
        .value_kind:     hidden_global_offset_x
      - .offset:         3200
        .size:           8
        .value_kind:     hidden_global_offset_y
      - .offset:         3208
        .size:           8
        .value_kind:     hidden_global_offset_z
      - .offset:         3216
        .size:           2
        .value_kind:     hidden_grid_dims
    .group_segment_fixed_size: 0
    .kernarg_segment_align: 8
    .kernarg_segment_size: 3408
    .language:       OpenCL C
    .language_version:
      - 2
      - 0
    .max_flat_workgroup_size: 512
    .name:           _ZN2at6native12_GLOBAL__N_125multi_tensor_apply_kernelINS1_18TensorListMetadataILi2EEENS1_11CopyFunctorIN3c107complexIfEENS6_4HalfELi2ELi1ELi1EEEJNS0_4CopyIS8_S9_EEEEEvT_T0_DpT1_
    .private_segment_fixed_size: 0
    .sgpr_count:     23
    .sgpr_spill_count: 0
    .symbol:         _ZN2at6native12_GLOBAL__N_125multi_tensor_apply_kernelINS1_18TensorListMetadataILi2EEENS1_11CopyFunctorIN3c107complexIfEENS6_4HalfELi2ELi1ELi1EEEJNS0_4CopyIS8_S9_EEEEEvT_T0_DpT1_.kd
    .uniform_work_group_size: 1
    .uses_dynamic_stack: false
    .vgpr_count:     33
    .vgpr_spill_count: 0
    .wavefront_size: 32
    .workgroup_processor_mode: 1
  - .args:
      - .offset:         0
        .size:           3144
        .value_kind:     by_value
      - .offset:         3144
        .size:           1
        .value_kind:     by_value
      - .offset:         3145
        .size:           1
        .value_kind:     by_value
      - .offset:         3152
        .size:           4
        .value_kind:     hidden_block_count_x
      - .offset:         3156
        .size:           4
        .value_kind:     hidden_block_count_y
      - .offset:         3160
        .size:           4
        .value_kind:     hidden_block_count_z
      - .offset:         3164
        .size:           2
        .value_kind:     hidden_group_size_x
      - .offset:         3166
        .size:           2
        .value_kind:     hidden_group_size_y
      - .offset:         3168
        .size:           2
        .value_kind:     hidden_group_size_z
      - .offset:         3170
        .size:           2
        .value_kind:     hidden_remainder_x
      - .offset:         3172
        .size:           2
        .value_kind:     hidden_remainder_y
      - .offset:         3174
        .size:           2
        .value_kind:     hidden_remainder_z
      - .offset:         3192
        .size:           8
        .value_kind:     hidden_global_offset_x
      - .offset:         3200
        .size:           8
        .value_kind:     hidden_global_offset_y
      - .offset:         3208
        .size:           8
        .value_kind:     hidden_global_offset_z
      - .offset:         3216
        .size:           2
        .value_kind:     hidden_grid_dims
    .group_segment_fixed_size: 0
    .kernarg_segment_align: 8
    .kernarg_segment_size: 3408
    .language:       OpenCL C
    .language_version:
      - 2
      - 0
    .max_flat_workgroup_size: 512
    .name:           _ZN2at6native12_GLOBAL__N_125multi_tensor_apply_kernelINS1_18TensorListMetadataILi2EEENS1_11CopyFunctorIN3c107complexIfEENS6_8BFloat16ELi2ELi1ELi1EEEJNS0_4CopyIS8_S9_EEEEEvT_T0_DpT1_
    .private_segment_fixed_size: 0
    .sgpr_count:     26
    .sgpr_spill_count: 0
    .symbol:         _ZN2at6native12_GLOBAL__N_125multi_tensor_apply_kernelINS1_18TensorListMetadataILi2EEENS1_11CopyFunctorIN3c107complexIfEENS6_8BFloat16ELi2ELi1ELi1EEEJNS0_4CopyIS8_S9_EEEEEvT_T0_DpT1_.kd
    .uniform_work_group_size: 1
    .uses_dynamic_stack: false
    .vgpr_count:     35
    .vgpr_spill_count: 0
    .wavefront_size: 32
    .workgroup_processor_mode: 1
  - .args:
      - .offset:         0
        .size:           3144
        .value_kind:     by_value
      - .offset:         3144
        .size:           1
        .value_kind:     by_value
      - .offset:         3145
        .size:           1
        .value_kind:     by_value
      - .offset:         3152
        .size:           4
        .value_kind:     hidden_block_count_x
      - .offset:         3156
        .size:           4
        .value_kind:     hidden_block_count_y
      - .offset:         3160
        .size:           4
        .value_kind:     hidden_block_count_z
      - .offset:         3164
        .size:           2
        .value_kind:     hidden_group_size_x
      - .offset:         3166
        .size:           2
        .value_kind:     hidden_group_size_y
      - .offset:         3168
        .size:           2
        .value_kind:     hidden_group_size_z
      - .offset:         3170
        .size:           2
        .value_kind:     hidden_remainder_x
      - .offset:         3172
        .size:           2
        .value_kind:     hidden_remainder_y
      - .offset:         3174
        .size:           2
        .value_kind:     hidden_remainder_z
      - .offset:         3192
        .size:           8
        .value_kind:     hidden_global_offset_x
      - .offset:         3200
        .size:           8
        .value_kind:     hidden_global_offset_y
      - .offset:         3208
        .size:           8
        .value_kind:     hidden_global_offset_z
      - .offset:         3216
        .size:           2
        .value_kind:     hidden_grid_dims
    .group_segment_fixed_size: 0
    .kernarg_segment_align: 8
    .kernarg_segment_size: 3408
    .language:       OpenCL C
    .language_version:
      - 2
      - 0
    .max_flat_workgroup_size: 512
    .name:           _ZN2at6native12_GLOBAL__N_125multi_tensor_apply_kernelINS1_18TensorListMetadataILi2EEENS1_11CopyFunctorIN3c107complexIfEEbLi2ELi1ELi1EEEJNS0_4CopyIS8_bEEEEEvT_T0_DpT1_
    .private_segment_fixed_size: 0
    .sgpr_count:     24
    .sgpr_spill_count: 0
    .symbol:         _ZN2at6native12_GLOBAL__N_125multi_tensor_apply_kernelINS1_18TensorListMetadataILi2EEENS1_11CopyFunctorIN3c107complexIfEEbLi2ELi1ELi1EEEJNS0_4CopyIS8_bEEEEEvT_T0_DpT1_.kd
    .uniform_work_group_size: 1
    .uses_dynamic_stack: false
    .vgpr_count:     38
    .vgpr_spill_count: 0
    .wavefront_size: 32
    .workgroup_processor_mode: 1
  - .args:
      - .offset:         0
        .size:           3144
        .value_kind:     by_value
      - .offset:         3144
        .size:           1
        .value_kind:     by_value
      - .offset:         3145
        .size:           1
        .value_kind:     by_value
      - .offset:         3152
        .size:           4
        .value_kind:     hidden_block_count_x
      - .offset:         3156
        .size:           4
        .value_kind:     hidden_block_count_y
      - .offset:         3160
        .size:           4
        .value_kind:     hidden_block_count_z
      - .offset:         3164
        .size:           2
        .value_kind:     hidden_group_size_x
      - .offset:         3166
        .size:           2
        .value_kind:     hidden_group_size_y
      - .offset:         3168
        .size:           2
        .value_kind:     hidden_group_size_z
      - .offset:         3170
        .size:           2
        .value_kind:     hidden_remainder_x
      - .offset:         3172
        .size:           2
        .value_kind:     hidden_remainder_y
      - .offset:         3174
        .size:           2
        .value_kind:     hidden_remainder_z
      - .offset:         3192
        .size:           8
        .value_kind:     hidden_global_offset_x
      - .offset:         3200
        .size:           8
        .value_kind:     hidden_global_offset_y
      - .offset:         3208
        .size:           8
        .value_kind:     hidden_global_offset_z
      - .offset:         3216
        .size:           2
        .value_kind:     hidden_grid_dims
    .group_segment_fixed_size: 0
    .kernarg_segment_align: 8
    .kernarg_segment_size: 3408
    .language:       OpenCL C
    .language_version:
      - 2
      - 0
    .max_flat_workgroup_size: 512
    .name:           _ZN2at6native12_GLOBAL__N_125multi_tensor_apply_kernelINS1_18TensorListMetadataILi2EEENS1_11CopyFunctorIN3c107complexIfEENS6_13Float8_e4m3fnELi2ELi1ELi1EEEJNS0_4CopyIS8_S9_EEEEEvT_T0_DpT1_
    .private_segment_fixed_size: 0
    .sgpr_count:     24
    .sgpr_spill_count: 0
    .symbol:         _ZN2at6native12_GLOBAL__N_125multi_tensor_apply_kernelINS1_18TensorListMetadataILi2EEENS1_11CopyFunctorIN3c107complexIfEENS6_13Float8_e4m3fnELi2ELi1ELi1EEEJNS0_4CopyIS8_S9_EEEEEvT_T0_DpT1_.kd
    .uniform_work_group_size: 1
    .uses_dynamic_stack: false
    .vgpr_count:     37
    .vgpr_spill_count: 0
    .wavefront_size: 32
    .workgroup_processor_mode: 1
  - .args:
      - .offset:         0
        .size:           3144
        .value_kind:     by_value
      - .offset:         3144
        .size:           1
        .value_kind:     by_value
      - .offset:         3145
        .size:           1
        .value_kind:     by_value
      - .offset:         3152
        .size:           4
        .value_kind:     hidden_block_count_x
      - .offset:         3156
        .size:           4
        .value_kind:     hidden_block_count_y
      - .offset:         3160
        .size:           4
        .value_kind:     hidden_block_count_z
      - .offset:         3164
        .size:           2
        .value_kind:     hidden_group_size_x
      - .offset:         3166
        .size:           2
        .value_kind:     hidden_group_size_y
      - .offset:         3168
        .size:           2
        .value_kind:     hidden_group_size_z
      - .offset:         3170
        .size:           2
        .value_kind:     hidden_remainder_x
      - .offset:         3172
        .size:           2
        .value_kind:     hidden_remainder_y
      - .offset:         3174
        .size:           2
        .value_kind:     hidden_remainder_z
      - .offset:         3192
        .size:           8
        .value_kind:     hidden_global_offset_x
      - .offset:         3200
        .size:           8
        .value_kind:     hidden_global_offset_y
      - .offset:         3208
        .size:           8
        .value_kind:     hidden_global_offset_z
      - .offset:         3216
        .size:           2
        .value_kind:     hidden_grid_dims
    .group_segment_fixed_size: 0
    .kernarg_segment_align: 8
    .kernarg_segment_size: 3408
    .language:       OpenCL C
    .language_version:
      - 2
      - 0
    .max_flat_workgroup_size: 512
    .name:           _ZN2at6native12_GLOBAL__N_125multi_tensor_apply_kernelINS1_18TensorListMetadataILi2EEENS1_11CopyFunctorIN3c107complexIfEENS6_15Float8_e4m3fnuzELi2ELi1ELi1EEEJNS0_4CopyIS8_S9_EEEEEvT_T0_DpT1_
    .private_segment_fixed_size: 0
    .sgpr_count:     24
    .sgpr_spill_count: 0
    .symbol:         _ZN2at6native12_GLOBAL__N_125multi_tensor_apply_kernelINS1_18TensorListMetadataILi2EEENS1_11CopyFunctorIN3c107complexIfEENS6_15Float8_e4m3fnuzELi2ELi1ELi1EEEJNS0_4CopyIS8_S9_EEEEEvT_T0_DpT1_.kd
    .uniform_work_group_size: 1
    .uses_dynamic_stack: false
    .vgpr_count:     42
    .vgpr_spill_count: 0
    .wavefront_size: 32
    .workgroup_processor_mode: 1
  - .args:
      - .offset:         0
        .size:           3144
        .value_kind:     by_value
      - .offset:         3144
        .size:           1
        .value_kind:     by_value
      - .offset:         3145
        .size:           1
        .value_kind:     by_value
      - .offset:         3152
        .size:           4
        .value_kind:     hidden_block_count_x
      - .offset:         3156
        .size:           4
        .value_kind:     hidden_block_count_y
      - .offset:         3160
        .size:           4
        .value_kind:     hidden_block_count_z
      - .offset:         3164
        .size:           2
        .value_kind:     hidden_group_size_x
      - .offset:         3166
        .size:           2
        .value_kind:     hidden_group_size_y
      - .offset:         3168
        .size:           2
        .value_kind:     hidden_group_size_z
      - .offset:         3170
        .size:           2
        .value_kind:     hidden_remainder_x
      - .offset:         3172
        .size:           2
        .value_kind:     hidden_remainder_y
      - .offset:         3174
        .size:           2
        .value_kind:     hidden_remainder_z
      - .offset:         3192
        .size:           8
        .value_kind:     hidden_global_offset_x
      - .offset:         3200
        .size:           8
        .value_kind:     hidden_global_offset_y
      - .offset:         3208
        .size:           8
        .value_kind:     hidden_global_offset_z
      - .offset:         3216
        .size:           2
        .value_kind:     hidden_grid_dims
    .group_segment_fixed_size: 0
    .kernarg_segment_align: 8
    .kernarg_segment_size: 3408
    .language:       OpenCL C
    .language_version:
      - 2
      - 0
    .max_flat_workgroup_size: 512
    .name:           _ZN2at6native12_GLOBAL__N_125multi_tensor_apply_kernelINS1_18TensorListMetadataILi2EEENS1_11CopyFunctorIN3c107complexIfEENS6_11Float8_e5m2ELi2ELi1ELi1EEEJNS0_4CopyIS8_S9_EEEEEvT_T0_DpT1_
    .private_segment_fixed_size: 0
    .sgpr_count:     24
    .sgpr_spill_count: 0
    .symbol:         _ZN2at6native12_GLOBAL__N_125multi_tensor_apply_kernelINS1_18TensorListMetadataILi2EEENS1_11CopyFunctorIN3c107complexIfEENS6_11Float8_e5m2ELi2ELi1ELi1EEEJNS0_4CopyIS8_S9_EEEEEvT_T0_DpT1_.kd
    .uniform_work_group_size: 1
    .uses_dynamic_stack: false
    .vgpr_count:     37
    .vgpr_spill_count: 0
    .wavefront_size: 32
    .workgroup_processor_mode: 1
  - .args:
      - .offset:         0
        .size:           3144
        .value_kind:     by_value
      - .offset:         3144
        .size:           1
        .value_kind:     by_value
      - .offset:         3145
        .size:           1
        .value_kind:     by_value
      - .offset:         3152
        .size:           4
        .value_kind:     hidden_block_count_x
      - .offset:         3156
        .size:           4
        .value_kind:     hidden_block_count_y
      - .offset:         3160
        .size:           4
        .value_kind:     hidden_block_count_z
      - .offset:         3164
        .size:           2
        .value_kind:     hidden_group_size_x
      - .offset:         3166
        .size:           2
        .value_kind:     hidden_group_size_y
      - .offset:         3168
        .size:           2
        .value_kind:     hidden_group_size_z
      - .offset:         3170
        .size:           2
        .value_kind:     hidden_remainder_x
      - .offset:         3172
        .size:           2
        .value_kind:     hidden_remainder_y
      - .offset:         3174
        .size:           2
        .value_kind:     hidden_remainder_z
      - .offset:         3192
        .size:           8
        .value_kind:     hidden_global_offset_x
      - .offset:         3200
        .size:           8
        .value_kind:     hidden_global_offset_y
      - .offset:         3208
        .size:           8
        .value_kind:     hidden_global_offset_z
      - .offset:         3216
        .size:           2
        .value_kind:     hidden_grid_dims
    .group_segment_fixed_size: 0
    .kernarg_segment_align: 8
    .kernarg_segment_size: 3408
    .language:       OpenCL C
    .language_version:
      - 2
      - 0
    .max_flat_workgroup_size: 512
    .name:           _ZN2at6native12_GLOBAL__N_125multi_tensor_apply_kernelINS1_18TensorListMetadataILi2EEENS1_11CopyFunctorIN3c107complexIfEENS6_15Float8_e5m2fnuzELi2ELi1ELi1EEEJNS0_4CopyIS8_S9_EEEEEvT_T0_DpT1_
    .private_segment_fixed_size: 0
    .sgpr_count:     24
    .sgpr_spill_count: 0
    .symbol:         _ZN2at6native12_GLOBAL__N_125multi_tensor_apply_kernelINS1_18TensorListMetadataILi2EEENS1_11CopyFunctorIN3c107complexIfEENS6_15Float8_e5m2fnuzELi2ELi1ELi1EEEJNS0_4CopyIS8_S9_EEEEEvT_T0_DpT1_.kd
    .uniform_work_group_size: 1
    .uses_dynamic_stack: false
    .vgpr_count:     42
    .vgpr_spill_count: 0
    .wavefront_size: 32
    .workgroup_processor_mode: 1
  - .args:
      - .offset:         0
        .size:           3144
        .value_kind:     by_value
      - .offset:         3144
        .size:           1
        .value_kind:     by_value
      - .offset:         3145
        .size:           1
        .value_kind:     by_value
      - .offset:         3152
        .size:           4
        .value_kind:     hidden_block_count_x
      - .offset:         3156
        .size:           4
        .value_kind:     hidden_block_count_y
      - .offset:         3160
        .size:           4
        .value_kind:     hidden_block_count_z
      - .offset:         3164
        .size:           2
        .value_kind:     hidden_group_size_x
      - .offset:         3166
        .size:           2
        .value_kind:     hidden_group_size_y
      - .offset:         3168
        .size:           2
        .value_kind:     hidden_group_size_z
      - .offset:         3170
        .size:           2
        .value_kind:     hidden_remainder_x
      - .offset:         3172
        .size:           2
        .value_kind:     hidden_remainder_y
      - .offset:         3174
        .size:           2
        .value_kind:     hidden_remainder_z
      - .offset:         3192
        .size:           8
        .value_kind:     hidden_global_offset_x
      - .offset:         3200
        .size:           8
        .value_kind:     hidden_global_offset_y
      - .offset:         3208
        .size:           8
        .value_kind:     hidden_global_offset_z
      - .offset:         3216
        .size:           2
        .value_kind:     hidden_grid_dims
    .group_segment_fixed_size: 0
    .kernarg_segment_align: 8
    .kernarg_segment_size: 3408
    .language:       OpenCL C
    .language_version:
      - 2
      - 0
    .max_flat_workgroup_size: 512
    .name:           _ZN2at6native12_GLOBAL__N_125multi_tensor_apply_kernelINS1_18TensorListMetadataILi2EEENS1_11CopyFunctorIN3c104HalfEhLi2ELi1ELi1EEEJNS0_4CopyIS7_hEEEEEvT_T0_DpT1_
    .private_segment_fixed_size: 0
    .sgpr_count:     22
    .sgpr_spill_count: 0
    .symbol:         _ZN2at6native12_GLOBAL__N_125multi_tensor_apply_kernelINS1_18TensorListMetadataILi2EEENS1_11CopyFunctorIN3c104HalfEhLi2ELi1ELi1EEEJNS0_4CopyIS7_hEEEEEvT_T0_DpT1_.kd
    .uniform_work_group_size: 1
    .uses_dynamic_stack: false
    .vgpr_count:     32
    .vgpr_spill_count: 0
    .wavefront_size: 32
    .workgroup_processor_mode: 1
  - .args:
      - .offset:         0
        .size:           3144
        .value_kind:     by_value
      - .offset:         3144
        .size:           1
        .value_kind:     by_value
      - .offset:         3145
        .size:           1
        .value_kind:     by_value
      - .offset:         3152
        .size:           4
        .value_kind:     hidden_block_count_x
      - .offset:         3156
        .size:           4
        .value_kind:     hidden_block_count_y
      - .offset:         3160
        .size:           4
        .value_kind:     hidden_block_count_z
      - .offset:         3164
        .size:           2
        .value_kind:     hidden_group_size_x
      - .offset:         3166
        .size:           2
        .value_kind:     hidden_group_size_y
      - .offset:         3168
        .size:           2
        .value_kind:     hidden_group_size_z
      - .offset:         3170
        .size:           2
        .value_kind:     hidden_remainder_x
      - .offset:         3172
        .size:           2
        .value_kind:     hidden_remainder_y
      - .offset:         3174
        .size:           2
        .value_kind:     hidden_remainder_z
      - .offset:         3192
        .size:           8
        .value_kind:     hidden_global_offset_x
      - .offset:         3200
        .size:           8
        .value_kind:     hidden_global_offset_y
      - .offset:         3208
        .size:           8
        .value_kind:     hidden_global_offset_z
      - .offset:         3216
        .size:           2
        .value_kind:     hidden_grid_dims
    .group_segment_fixed_size: 0
    .kernarg_segment_align: 8
    .kernarg_segment_size: 3408
    .language:       OpenCL C
    .language_version:
      - 2
      - 0
    .max_flat_workgroup_size: 512
    .name:           _ZN2at6native12_GLOBAL__N_125multi_tensor_apply_kernelINS1_18TensorListMetadataILi2EEENS1_11CopyFunctorIN3c104HalfEaLi2ELi1ELi1EEEJNS0_4CopyIS7_aEEEEEvT_T0_DpT1_
    .private_segment_fixed_size: 0
    .sgpr_count:     22
    .sgpr_spill_count: 0
    .symbol:         _ZN2at6native12_GLOBAL__N_125multi_tensor_apply_kernelINS1_18TensorListMetadataILi2EEENS1_11CopyFunctorIN3c104HalfEaLi2ELi1ELi1EEEJNS0_4CopyIS7_aEEEEEvT_T0_DpT1_.kd
    .uniform_work_group_size: 1
    .uses_dynamic_stack: false
    .vgpr_count:     32
    .vgpr_spill_count: 0
    .wavefront_size: 32
    .workgroup_processor_mode: 1
  - .args:
      - .offset:         0
        .size:           3144
        .value_kind:     by_value
      - .offset:         3144
        .size:           1
        .value_kind:     by_value
      - .offset:         3145
        .size:           1
        .value_kind:     by_value
      - .offset:         3152
        .size:           4
        .value_kind:     hidden_block_count_x
      - .offset:         3156
        .size:           4
        .value_kind:     hidden_block_count_y
      - .offset:         3160
        .size:           4
        .value_kind:     hidden_block_count_z
      - .offset:         3164
        .size:           2
        .value_kind:     hidden_group_size_x
      - .offset:         3166
        .size:           2
        .value_kind:     hidden_group_size_y
      - .offset:         3168
        .size:           2
        .value_kind:     hidden_group_size_z
      - .offset:         3170
        .size:           2
        .value_kind:     hidden_remainder_x
      - .offset:         3172
        .size:           2
        .value_kind:     hidden_remainder_y
      - .offset:         3174
        .size:           2
        .value_kind:     hidden_remainder_z
      - .offset:         3192
        .size:           8
        .value_kind:     hidden_global_offset_x
      - .offset:         3200
        .size:           8
        .value_kind:     hidden_global_offset_y
      - .offset:         3208
        .size:           8
        .value_kind:     hidden_global_offset_z
      - .offset:         3216
        .size:           2
        .value_kind:     hidden_grid_dims
    .group_segment_fixed_size: 0
    .kernarg_segment_align: 8
    .kernarg_segment_size: 3408
    .language:       OpenCL C
    .language_version:
      - 2
      - 0
    .max_flat_workgroup_size: 512
    .name:           _ZN2at6native12_GLOBAL__N_125multi_tensor_apply_kernelINS1_18TensorListMetadataILi2EEENS1_11CopyFunctorIN3c104HalfElLi2ELi1ELi1EEEJNS0_4CopyIS7_lEEEEEvT_T0_DpT1_
    .private_segment_fixed_size: 0
    .sgpr_count:     22
    .sgpr_spill_count: 0
    .symbol:         _ZN2at6native12_GLOBAL__N_125multi_tensor_apply_kernelINS1_18TensorListMetadataILi2EEENS1_11CopyFunctorIN3c104HalfElLi2ELi1ELi1EEEJNS0_4CopyIS7_lEEEEEvT_T0_DpT1_.kd
    .uniform_work_group_size: 1
    .uses_dynamic_stack: false
    .vgpr_count:     34
    .vgpr_spill_count: 0
    .wavefront_size: 32
    .workgroup_processor_mode: 1
  - .args:
      - .offset:         0
        .size:           3144
        .value_kind:     by_value
      - .offset:         3144
        .size:           1
        .value_kind:     by_value
      - .offset:         3145
        .size:           1
        .value_kind:     by_value
      - .offset:         3152
        .size:           4
        .value_kind:     hidden_block_count_x
      - .offset:         3156
        .size:           4
        .value_kind:     hidden_block_count_y
      - .offset:         3160
        .size:           4
        .value_kind:     hidden_block_count_z
      - .offset:         3164
        .size:           2
        .value_kind:     hidden_group_size_x
      - .offset:         3166
        .size:           2
        .value_kind:     hidden_group_size_y
      - .offset:         3168
        .size:           2
        .value_kind:     hidden_group_size_z
      - .offset:         3170
        .size:           2
        .value_kind:     hidden_remainder_x
      - .offset:         3172
        .size:           2
        .value_kind:     hidden_remainder_y
      - .offset:         3174
        .size:           2
        .value_kind:     hidden_remainder_z
      - .offset:         3192
        .size:           8
        .value_kind:     hidden_global_offset_x
      - .offset:         3200
        .size:           8
        .value_kind:     hidden_global_offset_y
      - .offset:         3208
        .size:           8
        .value_kind:     hidden_global_offset_z
      - .offset:         3216
        .size:           2
        .value_kind:     hidden_grid_dims
    .group_segment_fixed_size: 0
    .kernarg_segment_align: 8
    .kernarg_segment_size: 3408
    .language:       OpenCL C
    .language_version:
      - 2
      - 0
    .max_flat_workgroup_size: 512
    .name:           _ZN2at6native12_GLOBAL__N_125multi_tensor_apply_kernelINS1_18TensorListMetadataILi2EEENS1_11CopyFunctorIN3c104HalfEsLi2ELi1ELi1EEEJNS0_4CopyIS7_sEEEEEvT_T0_DpT1_
    .private_segment_fixed_size: 0
    .sgpr_count:     18
    .sgpr_spill_count: 0
    .symbol:         _ZN2at6native12_GLOBAL__N_125multi_tensor_apply_kernelINS1_18TensorListMetadataILi2EEENS1_11CopyFunctorIN3c104HalfEsLi2ELi1ELi1EEEJNS0_4CopyIS7_sEEEEEvT_T0_DpT1_.kd
    .uniform_work_group_size: 1
    .uses_dynamic_stack: false
    .vgpr_count:     29
    .vgpr_spill_count: 0
    .wavefront_size: 32
    .workgroup_processor_mode: 1
  - .args:
      - .offset:         0
        .size:           3144
        .value_kind:     by_value
      - .offset:         3144
        .size:           1
        .value_kind:     by_value
      - .offset:         3145
        .size:           1
        .value_kind:     by_value
      - .offset:         3152
        .size:           4
        .value_kind:     hidden_block_count_x
      - .offset:         3156
        .size:           4
        .value_kind:     hidden_block_count_y
      - .offset:         3160
        .size:           4
        .value_kind:     hidden_block_count_z
      - .offset:         3164
        .size:           2
        .value_kind:     hidden_group_size_x
      - .offset:         3166
        .size:           2
        .value_kind:     hidden_group_size_y
      - .offset:         3168
        .size:           2
        .value_kind:     hidden_group_size_z
      - .offset:         3170
        .size:           2
        .value_kind:     hidden_remainder_x
      - .offset:         3172
        .size:           2
        .value_kind:     hidden_remainder_y
      - .offset:         3174
        .size:           2
        .value_kind:     hidden_remainder_z
      - .offset:         3192
        .size:           8
        .value_kind:     hidden_global_offset_x
      - .offset:         3200
        .size:           8
        .value_kind:     hidden_global_offset_y
      - .offset:         3208
        .size:           8
        .value_kind:     hidden_global_offset_z
      - .offset:         3216
        .size:           2
        .value_kind:     hidden_grid_dims
    .group_segment_fixed_size: 0
    .kernarg_segment_align: 8
    .kernarg_segment_size: 3408
    .language:       OpenCL C
    .language_version:
      - 2
      - 0
    .max_flat_workgroup_size: 512
    .name:           _ZN2at6native12_GLOBAL__N_125multi_tensor_apply_kernelINS1_18TensorListMetadataILi2EEENS1_11CopyFunctorIN3c104HalfEiLi2ELi1ELi1EEEJNS0_4CopyIS7_iEEEEEvT_T0_DpT1_
    .private_segment_fixed_size: 0
    .sgpr_count:     22
    .sgpr_spill_count: 0
    .symbol:         _ZN2at6native12_GLOBAL__N_125multi_tensor_apply_kernelINS1_18TensorListMetadataILi2EEENS1_11CopyFunctorIN3c104HalfEiLi2ELi1ELi1EEEJNS0_4CopyIS7_iEEEEEvT_T0_DpT1_.kd
    .uniform_work_group_size: 1
    .uses_dynamic_stack: false
    .vgpr_count:     31
    .vgpr_spill_count: 0
    .wavefront_size: 32
    .workgroup_processor_mode: 1
  - .args:
      - .offset:         0
        .size:           3144
        .value_kind:     by_value
      - .offset:         3144
        .size:           1
        .value_kind:     by_value
      - .offset:         3145
        .size:           1
        .value_kind:     by_value
      - .offset:         3152
        .size:           4
        .value_kind:     hidden_block_count_x
      - .offset:         3156
        .size:           4
        .value_kind:     hidden_block_count_y
      - .offset:         3160
        .size:           4
        .value_kind:     hidden_block_count_z
      - .offset:         3164
        .size:           2
        .value_kind:     hidden_group_size_x
      - .offset:         3166
        .size:           2
        .value_kind:     hidden_group_size_y
      - .offset:         3168
        .size:           2
        .value_kind:     hidden_group_size_z
      - .offset:         3170
        .size:           2
        .value_kind:     hidden_remainder_x
      - .offset:         3172
        .size:           2
        .value_kind:     hidden_remainder_y
      - .offset:         3174
        .size:           2
        .value_kind:     hidden_remainder_z
      - .offset:         3192
        .size:           8
        .value_kind:     hidden_global_offset_x
      - .offset:         3200
        .size:           8
        .value_kind:     hidden_global_offset_y
      - .offset:         3208
        .size:           8
        .value_kind:     hidden_global_offset_z
      - .offset:         3216
        .size:           2
        .value_kind:     hidden_grid_dims
    .group_segment_fixed_size: 0
    .kernarg_segment_align: 8
    .kernarg_segment_size: 3408
    .language:       OpenCL C
    .language_version:
      - 2
      - 0
    .max_flat_workgroup_size: 512
    .name:           _ZN2at6native12_GLOBAL__N_125multi_tensor_apply_kernelINS1_18TensorListMetadataILi2EEENS1_11CopyFunctorIN3c104HalfEdLi2ELi1ELi1EEEJNS0_4CopyIS7_dEEEEEvT_T0_DpT1_
    .private_segment_fixed_size: 0
    .sgpr_count:     22
    .sgpr_spill_count: 0
    .symbol:         _ZN2at6native12_GLOBAL__N_125multi_tensor_apply_kernelINS1_18TensorListMetadataILi2EEENS1_11CopyFunctorIN3c104HalfEdLi2ELi1ELi1EEEJNS0_4CopyIS7_dEEEEEvT_T0_DpT1_.kd
    .uniform_work_group_size: 1
    .uses_dynamic_stack: false
    .vgpr_count:     33
    .vgpr_spill_count: 0
    .wavefront_size: 32
    .workgroup_processor_mode: 1
  - .args:
      - .offset:         0
        .size:           3144
        .value_kind:     by_value
      - .offset:         3144
        .size:           1
        .value_kind:     by_value
      - .offset:         3145
        .size:           1
        .value_kind:     by_value
      - .offset:         3152
        .size:           4
        .value_kind:     hidden_block_count_x
      - .offset:         3156
        .size:           4
        .value_kind:     hidden_block_count_y
      - .offset:         3160
        .size:           4
        .value_kind:     hidden_block_count_z
      - .offset:         3164
        .size:           2
        .value_kind:     hidden_group_size_x
      - .offset:         3166
        .size:           2
        .value_kind:     hidden_group_size_y
      - .offset:         3168
        .size:           2
        .value_kind:     hidden_group_size_z
      - .offset:         3170
        .size:           2
        .value_kind:     hidden_remainder_x
      - .offset:         3172
        .size:           2
        .value_kind:     hidden_remainder_y
      - .offset:         3174
        .size:           2
        .value_kind:     hidden_remainder_z
      - .offset:         3192
        .size:           8
        .value_kind:     hidden_global_offset_x
      - .offset:         3200
        .size:           8
        .value_kind:     hidden_global_offset_y
      - .offset:         3208
        .size:           8
        .value_kind:     hidden_global_offset_z
      - .offset:         3216
        .size:           2
        .value_kind:     hidden_grid_dims
    .group_segment_fixed_size: 0
    .kernarg_segment_align: 8
    .kernarg_segment_size: 3408
    .language:       OpenCL C
    .language_version:
      - 2
      - 0
    .max_flat_workgroup_size: 512
    .name:           _ZN2at6native12_GLOBAL__N_125multi_tensor_apply_kernelINS1_18TensorListMetadataILi2EEENS1_11CopyFunctorIN3c104HalfEfLi2ELi1ELi1EEEJNS0_4CopyIS7_fEEEEEvT_T0_DpT1_
    .private_segment_fixed_size: 0
    .sgpr_count:     22
    .sgpr_spill_count: 0
    .symbol:         _ZN2at6native12_GLOBAL__N_125multi_tensor_apply_kernelINS1_18TensorListMetadataILi2EEENS1_11CopyFunctorIN3c104HalfEfLi2ELi1ELi1EEEJNS0_4CopyIS7_fEEEEEvT_T0_DpT1_.kd
    .uniform_work_group_size: 1
    .uses_dynamic_stack: false
    .vgpr_count:     31
    .vgpr_spill_count: 0
    .wavefront_size: 32
    .workgroup_processor_mode: 1
  - .args:
      - .offset:         0
        .size:           3144
        .value_kind:     by_value
      - .offset:         3144
        .size:           1
        .value_kind:     by_value
      - .offset:         3145
        .size:           1
        .value_kind:     by_value
      - .offset:         3152
        .size:           4
        .value_kind:     hidden_block_count_x
      - .offset:         3156
        .size:           4
        .value_kind:     hidden_block_count_y
      - .offset:         3160
        .size:           4
        .value_kind:     hidden_block_count_z
      - .offset:         3164
        .size:           2
        .value_kind:     hidden_group_size_x
      - .offset:         3166
        .size:           2
        .value_kind:     hidden_group_size_y
      - .offset:         3168
        .size:           2
        .value_kind:     hidden_group_size_z
      - .offset:         3170
        .size:           2
        .value_kind:     hidden_remainder_x
      - .offset:         3172
        .size:           2
        .value_kind:     hidden_remainder_y
      - .offset:         3174
        .size:           2
        .value_kind:     hidden_remainder_z
      - .offset:         3192
        .size:           8
        .value_kind:     hidden_global_offset_x
      - .offset:         3200
        .size:           8
        .value_kind:     hidden_global_offset_y
      - .offset:         3208
        .size:           8
        .value_kind:     hidden_global_offset_z
      - .offset:         3216
        .size:           2
        .value_kind:     hidden_grid_dims
    .group_segment_fixed_size: 0
    .kernarg_segment_align: 8
    .kernarg_segment_size: 3408
    .language:       OpenCL C
    .language_version:
      - 2
      - 0
    .max_flat_workgroup_size: 512
    .name:           _ZN2at6native12_GLOBAL__N_125multi_tensor_apply_kernelINS1_18TensorListMetadataILi2EEENS1_11CopyFunctorIN3c104HalfENS6_7complexIdEELi2ELi1ELi1EEEJNS0_4CopyIS7_S9_EEEEEvT_T0_DpT1_
    .private_segment_fixed_size: 0
    .sgpr_count:     22
    .sgpr_spill_count: 0
    .symbol:         _ZN2at6native12_GLOBAL__N_125multi_tensor_apply_kernelINS1_18TensorListMetadataILi2EEENS1_11CopyFunctorIN3c104HalfENS6_7complexIdEELi2ELi1ELi1EEEJNS0_4CopyIS7_S9_EEEEEvT_T0_DpT1_.kd
    .uniform_work_group_size: 1
    .uses_dynamic_stack: false
    .vgpr_count:     33
    .vgpr_spill_count: 0
    .wavefront_size: 32
    .workgroup_processor_mode: 1
  - .args:
      - .offset:         0
        .size:           3144
        .value_kind:     by_value
      - .offset:         3144
        .size:           1
        .value_kind:     by_value
      - .offset:         3145
        .size:           1
        .value_kind:     by_value
      - .offset:         3152
        .size:           4
        .value_kind:     hidden_block_count_x
      - .offset:         3156
        .size:           4
        .value_kind:     hidden_block_count_y
      - .offset:         3160
        .size:           4
        .value_kind:     hidden_block_count_z
      - .offset:         3164
        .size:           2
        .value_kind:     hidden_group_size_x
      - .offset:         3166
        .size:           2
        .value_kind:     hidden_group_size_y
      - .offset:         3168
        .size:           2
        .value_kind:     hidden_group_size_z
      - .offset:         3170
        .size:           2
        .value_kind:     hidden_remainder_x
      - .offset:         3172
        .size:           2
        .value_kind:     hidden_remainder_y
      - .offset:         3174
        .size:           2
        .value_kind:     hidden_remainder_z
      - .offset:         3192
        .size:           8
        .value_kind:     hidden_global_offset_x
      - .offset:         3200
        .size:           8
        .value_kind:     hidden_global_offset_y
      - .offset:         3208
        .size:           8
        .value_kind:     hidden_global_offset_z
      - .offset:         3216
        .size:           2
        .value_kind:     hidden_grid_dims
    .group_segment_fixed_size: 0
    .kernarg_segment_align: 8
    .kernarg_segment_size: 3408
    .language:       OpenCL C
    .language_version:
      - 2
      - 0
    .max_flat_workgroup_size: 512
    .name:           _ZN2at6native12_GLOBAL__N_125multi_tensor_apply_kernelINS1_18TensorListMetadataILi2EEENS1_11CopyFunctorIN3c104HalfENS6_7complexIfEELi2ELi1ELi1EEEJNS0_4CopyIS7_S9_EEEEEvT_T0_DpT1_
    .private_segment_fixed_size: 0
    .sgpr_count:     22
    .sgpr_spill_count: 0
    .symbol:         _ZN2at6native12_GLOBAL__N_125multi_tensor_apply_kernelINS1_18TensorListMetadataILi2EEENS1_11CopyFunctorIN3c104HalfENS6_7complexIfEELi2ELi1ELi1EEEJNS0_4CopyIS7_S9_EEEEEvT_T0_DpT1_.kd
    .uniform_work_group_size: 1
    .uses_dynamic_stack: false
    .vgpr_count:     31
    .vgpr_spill_count: 0
    .wavefront_size: 32
    .workgroup_processor_mode: 1
  - .args:
      - .offset:         0
        .size:           3144
        .value_kind:     by_value
      - .offset:         3144
        .size:           1
        .value_kind:     by_value
      - .offset:         3145
        .size:           1
        .value_kind:     by_value
      - .offset:         3152
        .size:           4
        .value_kind:     hidden_block_count_x
      - .offset:         3156
        .size:           4
        .value_kind:     hidden_block_count_y
      - .offset:         3160
        .size:           4
        .value_kind:     hidden_block_count_z
      - .offset:         3164
        .size:           2
        .value_kind:     hidden_group_size_x
      - .offset:         3166
        .size:           2
        .value_kind:     hidden_group_size_y
      - .offset:         3168
        .size:           2
        .value_kind:     hidden_group_size_z
      - .offset:         3170
        .size:           2
        .value_kind:     hidden_remainder_x
      - .offset:         3172
        .size:           2
        .value_kind:     hidden_remainder_y
      - .offset:         3174
        .size:           2
        .value_kind:     hidden_remainder_z
      - .offset:         3192
        .size:           8
        .value_kind:     hidden_global_offset_x
      - .offset:         3200
        .size:           8
        .value_kind:     hidden_global_offset_y
      - .offset:         3208
        .size:           8
        .value_kind:     hidden_global_offset_z
      - .offset:         3216
        .size:           2
        .value_kind:     hidden_grid_dims
    .group_segment_fixed_size: 0
    .kernarg_segment_align: 8
    .kernarg_segment_size: 3408
    .language:       OpenCL C
    .language_version:
      - 2
      - 0
    .max_flat_workgroup_size: 512
    .name:           _ZN2at6native12_GLOBAL__N_125multi_tensor_apply_kernelINS1_18TensorListMetadataILi2EEENS1_14UnaryOpFunctorIN3c104HalfELi2ELi1ELi1EEEJNS0_4CopyIS7_S7_EEEEEvT_T0_DpT1_
    .private_segment_fixed_size: 0
    .sgpr_count:     20
    .sgpr_spill_count: 0
    .symbol:         _ZN2at6native12_GLOBAL__N_125multi_tensor_apply_kernelINS1_18TensorListMetadataILi2EEENS1_14UnaryOpFunctorIN3c104HalfELi2ELi1ELi1EEEJNS0_4CopyIS7_S7_EEEEEvT_T0_DpT1_.kd
    .uniform_work_group_size: 1
    .uses_dynamic_stack: false
    .vgpr_count:     29
    .vgpr_spill_count: 0
    .wavefront_size: 32
    .workgroup_processor_mode: 1
  - .args:
      - .offset:         0
        .size:           3144
        .value_kind:     by_value
      - .offset:         3144
        .size:           1
        .value_kind:     by_value
      - .offset:         3145
        .size:           1
        .value_kind:     by_value
      - .offset:         3152
        .size:           4
        .value_kind:     hidden_block_count_x
      - .offset:         3156
        .size:           4
        .value_kind:     hidden_block_count_y
      - .offset:         3160
        .size:           4
        .value_kind:     hidden_block_count_z
      - .offset:         3164
        .size:           2
        .value_kind:     hidden_group_size_x
      - .offset:         3166
        .size:           2
        .value_kind:     hidden_group_size_y
      - .offset:         3168
        .size:           2
        .value_kind:     hidden_group_size_z
      - .offset:         3170
        .size:           2
        .value_kind:     hidden_remainder_x
      - .offset:         3172
        .size:           2
        .value_kind:     hidden_remainder_y
      - .offset:         3174
        .size:           2
        .value_kind:     hidden_remainder_z
      - .offset:         3192
        .size:           8
        .value_kind:     hidden_global_offset_x
      - .offset:         3200
        .size:           8
        .value_kind:     hidden_global_offset_y
      - .offset:         3208
        .size:           8
        .value_kind:     hidden_global_offset_z
      - .offset:         3216
        .size:           2
        .value_kind:     hidden_grid_dims
    .group_segment_fixed_size: 0
    .kernarg_segment_align: 8
    .kernarg_segment_size: 3408
    .language:       OpenCL C
    .language_version:
      - 2
      - 0
    .max_flat_workgroup_size: 512
    .name:           _ZN2at6native12_GLOBAL__N_125multi_tensor_apply_kernelINS1_18TensorListMetadataILi2EEENS1_11CopyFunctorIN3c104HalfENS6_8BFloat16ELi2ELi1ELi1EEEJNS0_4CopyIS7_S8_EEEEEvT_T0_DpT1_
    .private_segment_fixed_size: 0
    .sgpr_count:     18
    .sgpr_spill_count: 0
    .symbol:         _ZN2at6native12_GLOBAL__N_125multi_tensor_apply_kernelINS1_18TensorListMetadataILi2EEENS1_11CopyFunctorIN3c104HalfENS6_8BFloat16ELi2ELi1ELi1EEEJNS0_4CopyIS7_S8_EEEEEvT_T0_DpT1_.kd
    .uniform_work_group_size: 1
    .uses_dynamic_stack: false
    .vgpr_count:     31
    .vgpr_spill_count: 0
    .wavefront_size: 32
    .workgroup_processor_mode: 1
  - .args:
      - .offset:         0
        .size:           3144
        .value_kind:     by_value
      - .offset:         3144
        .size:           1
        .value_kind:     by_value
      - .offset:         3145
        .size:           1
        .value_kind:     by_value
      - .offset:         3152
        .size:           4
        .value_kind:     hidden_block_count_x
      - .offset:         3156
        .size:           4
        .value_kind:     hidden_block_count_y
      - .offset:         3160
        .size:           4
        .value_kind:     hidden_block_count_z
      - .offset:         3164
        .size:           2
        .value_kind:     hidden_group_size_x
      - .offset:         3166
        .size:           2
        .value_kind:     hidden_group_size_y
      - .offset:         3168
        .size:           2
        .value_kind:     hidden_group_size_z
      - .offset:         3170
        .size:           2
        .value_kind:     hidden_remainder_x
      - .offset:         3172
        .size:           2
        .value_kind:     hidden_remainder_y
      - .offset:         3174
        .size:           2
        .value_kind:     hidden_remainder_z
      - .offset:         3192
        .size:           8
        .value_kind:     hidden_global_offset_x
      - .offset:         3200
        .size:           8
        .value_kind:     hidden_global_offset_y
      - .offset:         3208
        .size:           8
        .value_kind:     hidden_global_offset_z
      - .offset:         3216
        .size:           2
        .value_kind:     hidden_grid_dims
    .group_segment_fixed_size: 0
    .kernarg_segment_align: 8
    .kernarg_segment_size: 3408
    .language:       OpenCL C
    .language_version:
      - 2
      - 0
    .max_flat_workgroup_size: 512
    .name:           _ZN2at6native12_GLOBAL__N_125multi_tensor_apply_kernelINS1_18TensorListMetadataILi2EEENS1_11CopyFunctorIN3c104HalfEbLi2ELi1ELi1EEEJNS0_4CopyIS7_bEEEEEvT_T0_DpT1_
    .private_segment_fixed_size: 0
    .sgpr_count:     22
    .sgpr_spill_count: 0
    .symbol:         _ZN2at6native12_GLOBAL__N_125multi_tensor_apply_kernelINS1_18TensorListMetadataILi2EEENS1_11CopyFunctorIN3c104HalfEbLi2ELi1ELi1EEEJNS0_4CopyIS7_bEEEEEvT_T0_DpT1_.kd
    .uniform_work_group_size: 1
    .uses_dynamic_stack: false
    .vgpr_count:     35
    .vgpr_spill_count: 0
    .wavefront_size: 32
    .workgroup_processor_mode: 1
  - .args:
      - .offset:         0
        .size:           3144
        .value_kind:     by_value
      - .offset:         3144
        .size:           1
        .value_kind:     by_value
      - .offset:         3145
        .size:           1
        .value_kind:     by_value
      - .offset:         3152
        .size:           4
        .value_kind:     hidden_block_count_x
      - .offset:         3156
        .size:           4
        .value_kind:     hidden_block_count_y
      - .offset:         3160
        .size:           4
        .value_kind:     hidden_block_count_z
      - .offset:         3164
        .size:           2
        .value_kind:     hidden_group_size_x
      - .offset:         3166
        .size:           2
        .value_kind:     hidden_group_size_y
      - .offset:         3168
        .size:           2
        .value_kind:     hidden_group_size_z
      - .offset:         3170
        .size:           2
        .value_kind:     hidden_remainder_x
      - .offset:         3172
        .size:           2
        .value_kind:     hidden_remainder_y
      - .offset:         3174
        .size:           2
        .value_kind:     hidden_remainder_z
      - .offset:         3192
        .size:           8
        .value_kind:     hidden_global_offset_x
      - .offset:         3200
        .size:           8
        .value_kind:     hidden_global_offset_y
      - .offset:         3208
        .size:           8
        .value_kind:     hidden_global_offset_z
      - .offset:         3216
        .size:           2
        .value_kind:     hidden_grid_dims
    .group_segment_fixed_size: 0
    .kernarg_segment_align: 8
    .kernarg_segment_size: 3408
    .language:       OpenCL C
    .language_version:
      - 2
      - 0
    .max_flat_workgroup_size: 512
    .name:           _ZN2at6native12_GLOBAL__N_125multi_tensor_apply_kernelINS1_18TensorListMetadataILi2EEENS1_11CopyFunctorIN3c104HalfENS6_13Float8_e4m3fnELi2ELi1ELi1EEEJNS0_4CopyIS7_S8_EEEEEvT_T0_DpT1_
    .private_segment_fixed_size: 0
    .sgpr_count:     23
    .sgpr_spill_count: 0
    .symbol:         _ZN2at6native12_GLOBAL__N_125multi_tensor_apply_kernelINS1_18TensorListMetadataILi2EEENS1_11CopyFunctorIN3c104HalfENS6_13Float8_e4m3fnELi2ELi1ELi1EEEJNS0_4CopyIS7_S8_EEEEEvT_T0_DpT1_.kd
    .uniform_work_group_size: 1
    .uses_dynamic_stack: false
    .vgpr_count:     33
    .vgpr_spill_count: 0
    .wavefront_size: 32
    .workgroup_processor_mode: 1
  - .args:
      - .offset:         0
        .size:           3144
        .value_kind:     by_value
      - .offset:         3144
        .size:           1
        .value_kind:     by_value
      - .offset:         3145
        .size:           1
        .value_kind:     by_value
      - .offset:         3152
        .size:           4
        .value_kind:     hidden_block_count_x
      - .offset:         3156
        .size:           4
        .value_kind:     hidden_block_count_y
      - .offset:         3160
        .size:           4
        .value_kind:     hidden_block_count_z
      - .offset:         3164
        .size:           2
        .value_kind:     hidden_group_size_x
      - .offset:         3166
        .size:           2
        .value_kind:     hidden_group_size_y
      - .offset:         3168
        .size:           2
        .value_kind:     hidden_group_size_z
      - .offset:         3170
        .size:           2
        .value_kind:     hidden_remainder_x
      - .offset:         3172
        .size:           2
        .value_kind:     hidden_remainder_y
      - .offset:         3174
        .size:           2
        .value_kind:     hidden_remainder_z
      - .offset:         3192
        .size:           8
        .value_kind:     hidden_global_offset_x
      - .offset:         3200
        .size:           8
        .value_kind:     hidden_global_offset_y
      - .offset:         3208
        .size:           8
        .value_kind:     hidden_global_offset_z
      - .offset:         3216
        .size:           2
        .value_kind:     hidden_grid_dims
    .group_segment_fixed_size: 0
    .kernarg_segment_align: 8
    .kernarg_segment_size: 3408
    .language:       OpenCL C
    .language_version:
      - 2
      - 0
    .max_flat_workgroup_size: 512
    .name:           _ZN2at6native12_GLOBAL__N_125multi_tensor_apply_kernelINS1_18TensorListMetadataILi2EEENS1_11CopyFunctorIN3c104HalfENS6_15Float8_e4m3fnuzELi2ELi1ELi1EEEJNS0_4CopyIS7_S8_EEEEEvT_T0_DpT1_
    .private_segment_fixed_size: 0
    .sgpr_count:     24
    .sgpr_spill_count: 0
    .symbol:         _ZN2at6native12_GLOBAL__N_125multi_tensor_apply_kernelINS1_18TensorListMetadataILi2EEENS1_11CopyFunctorIN3c104HalfENS6_15Float8_e4m3fnuzELi2ELi1ELi1EEEJNS0_4CopyIS7_S8_EEEEEvT_T0_DpT1_.kd
    .uniform_work_group_size: 1
    .uses_dynamic_stack: false
    .vgpr_count:     39
    .vgpr_spill_count: 0
    .wavefront_size: 32
    .workgroup_processor_mode: 1
  - .args:
      - .offset:         0
        .size:           3144
        .value_kind:     by_value
      - .offset:         3144
        .size:           1
        .value_kind:     by_value
      - .offset:         3145
        .size:           1
        .value_kind:     by_value
      - .offset:         3152
        .size:           4
        .value_kind:     hidden_block_count_x
      - .offset:         3156
        .size:           4
        .value_kind:     hidden_block_count_y
      - .offset:         3160
        .size:           4
        .value_kind:     hidden_block_count_z
      - .offset:         3164
        .size:           2
        .value_kind:     hidden_group_size_x
      - .offset:         3166
        .size:           2
        .value_kind:     hidden_group_size_y
      - .offset:         3168
        .size:           2
        .value_kind:     hidden_group_size_z
      - .offset:         3170
        .size:           2
        .value_kind:     hidden_remainder_x
      - .offset:         3172
        .size:           2
        .value_kind:     hidden_remainder_y
      - .offset:         3174
        .size:           2
        .value_kind:     hidden_remainder_z
      - .offset:         3192
        .size:           8
        .value_kind:     hidden_global_offset_x
      - .offset:         3200
        .size:           8
        .value_kind:     hidden_global_offset_y
      - .offset:         3208
        .size:           8
        .value_kind:     hidden_global_offset_z
      - .offset:         3216
        .size:           2
        .value_kind:     hidden_grid_dims
    .group_segment_fixed_size: 0
    .kernarg_segment_align: 8
    .kernarg_segment_size: 3408
    .language:       OpenCL C
    .language_version:
      - 2
      - 0
    .max_flat_workgroup_size: 512
    .name:           _ZN2at6native12_GLOBAL__N_125multi_tensor_apply_kernelINS1_18TensorListMetadataILi2EEENS1_11CopyFunctorIN3c104HalfENS6_11Float8_e5m2ELi2ELi1ELi1EEEJNS0_4CopyIS7_S8_EEEEEvT_T0_DpT1_
    .private_segment_fixed_size: 0
    .sgpr_count:     24
    .sgpr_spill_count: 0
    .symbol:         _ZN2at6native12_GLOBAL__N_125multi_tensor_apply_kernelINS1_18TensorListMetadataILi2EEENS1_11CopyFunctorIN3c104HalfENS6_11Float8_e5m2ELi2ELi1ELi1EEEJNS0_4CopyIS7_S8_EEEEEvT_T0_DpT1_.kd
    .uniform_work_group_size: 1
    .uses_dynamic_stack: false
    .vgpr_count:     33
    .vgpr_spill_count: 0
    .wavefront_size: 32
    .workgroup_processor_mode: 1
  - .args:
      - .offset:         0
        .size:           3144
        .value_kind:     by_value
      - .offset:         3144
        .size:           1
        .value_kind:     by_value
      - .offset:         3145
        .size:           1
        .value_kind:     by_value
      - .offset:         3152
        .size:           4
        .value_kind:     hidden_block_count_x
      - .offset:         3156
        .size:           4
        .value_kind:     hidden_block_count_y
      - .offset:         3160
        .size:           4
        .value_kind:     hidden_block_count_z
      - .offset:         3164
        .size:           2
        .value_kind:     hidden_group_size_x
      - .offset:         3166
        .size:           2
        .value_kind:     hidden_group_size_y
      - .offset:         3168
        .size:           2
        .value_kind:     hidden_group_size_z
      - .offset:         3170
        .size:           2
        .value_kind:     hidden_remainder_x
      - .offset:         3172
        .size:           2
        .value_kind:     hidden_remainder_y
      - .offset:         3174
        .size:           2
        .value_kind:     hidden_remainder_z
      - .offset:         3192
        .size:           8
        .value_kind:     hidden_global_offset_x
      - .offset:         3200
        .size:           8
        .value_kind:     hidden_global_offset_y
      - .offset:         3208
        .size:           8
        .value_kind:     hidden_global_offset_z
      - .offset:         3216
        .size:           2
        .value_kind:     hidden_grid_dims
    .group_segment_fixed_size: 0
    .kernarg_segment_align: 8
    .kernarg_segment_size: 3408
    .language:       OpenCL C
    .language_version:
      - 2
      - 0
    .max_flat_workgroup_size: 512
    .name:           _ZN2at6native12_GLOBAL__N_125multi_tensor_apply_kernelINS1_18TensorListMetadataILi2EEENS1_11CopyFunctorIN3c104HalfENS6_15Float8_e5m2fnuzELi2ELi1ELi1EEEJNS0_4CopyIS7_S8_EEEEEvT_T0_DpT1_
    .private_segment_fixed_size: 0
    .sgpr_count:     24
    .sgpr_spill_count: 0
    .symbol:         _ZN2at6native12_GLOBAL__N_125multi_tensor_apply_kernelINS1_18TensorListMetadataILi2EEENS1_11CopyFunctorIN3c104HalfENS6_15Float8_e5m2fnuzELi2ELi1ELi1EEEJNS0_4CopyIS7_S8_EEEEEvT_T0_DpT1_.kd
    .uniform_work_group_size: 1
    .uses_dynamic_stack: false
    .vgpr_count:     39
    .vgpr_spill_count: 0
    .wavefront_size: 32
    .workgroup_processor_mode: 1
  - .args:
      - .offset:         0
        .size:           3144
        .value_kind:     by_value
      - .offset:         3144
        .size:           1
        .value_kind:     by_value
      - .offset:         3145
        .size:           1
        .value_kind:     by_value
      - .offset:         3152
        .size:           4
        .value_kind:     hidden_block_count_x
      - .offset:         3156
        .size:           4
        .value_kind:     hidden_block_count_y
      - .offset:         3160
        .size:           4
        .value_kind:     hidden_block_count_z
      - .offset:         3164
        .size:           2
        .value_kind:     hidden_group_size_x
      - .offset:         3166
        .size:           2
        .value_kind:     hidden_group_size_y
      - .offset:         3168
        .size:           2
        .value_kind:     hidden_group_size_z
      - .offset:         3170
        .size:           2
        .value_kind:     hidden_remainder_x
      - .offset:         3172
        .size:           2
        .value_kind:     hidden_remainder_y
      - .offset:         3174
        .size:           2
        .value_kind:     hidden_remainder_z
      - .offset:         3192
        .size:           8
        .value_kind:     hidden_global_offset_x
      - .offset:         3200
        .size:           8
        .value_kind:     hidden_global_offset_y
      - .offset:         3208
        .size:           8
        .value_kind:     hidden_global_offset_z
      - .offset:         3216
        .size:           2
        .value_kind:     hidden_grid_dims
    .group_segment_fixed_size: 0
    .kernarg_segment_align: 8
    .kernarg_segment_size: 3408
    .language:       OpenCL C
    .language_version:
      - 2
      - 0
    .max_flat_workgroup_size: 512
    .name:           _ZN2at6native12_GLOBAL__N_125multi_tensor_apply_kernelINS1_18TensorListMetadataILi2EEENS1_11CopyFunctorIN3c108BFloat16EhLi2ELi1ELi1EEEJNS0_4CopyIS7_hEEEEEvT_T0_DpT1_
    .private_segment_fixed_size: 0
    .sgpr_count:     22
    .sgpr_spill_count: 0
    .symbol:         _ZN2at6native12_GLOBAL__N_125multi_tensor_apply_kernelINS1_18TensorListMetadataILi2EEENS1_11CopyFunctorIN3c108BFloat16EhLi2ELi1ELi1EEEJNS0_4CopyIS7_hEEEEEvT_T0_DpT1_.kd
    .uniform_work_group_size: 1
    .uses_dynamic_stack: false
    .vgpr_count:     32
    .vgpr_spill_count: 0
    .wavefront_size: 32
    .workgroup_processor_mode: 1
  - .args:
      - .offset:         0
        .size:           3144
        .value_kind:     by_value
      - .offset:         3144
        .size:           1
        .value_kind:     by_value
      - .offset:         3145
        .size:           1
        .value_kind:     by_value
      - .offset:         3152
        .size:           4
        .value_kind:     hidden_block_count_x
      - .offset:         3156
        .size:           4
        .value_kind:     hidden_block_count_y
      - .offset:         3160
        .size:           4
        .value_kind:     hidden_block_count_z
      - .offset:         3164
        .size:           2
        .value_kind:     hidden_group_size_x
      - .offset:         3166
        .size:           2
        .value_kind:     hidden_group_size_y
      - .offset:         3168
        .size:           2
        .value_kind:     hidden_group_size_z
      - .offset:         3170
        .size:           2
        .value_kind:     hidden_remainder_x
      - .offset:         3172
        .size:           2
        .value_kind:     hidden_remainder_y
      - .offset:         3174
        .size:           2
        .value_kind:     hidden_remainder_z
      - .offset:         3192
        .size:           8
        .value_kind:     hidden_global_offset_x
      - .offset:         3200
        .size:           8
        .value_kind:     hidden_global_offset_y
      - .offset:         3208
        .size:           8
        .value_kind:     hidden_global_offset_z
      - .offset:         3216
        .size:           2
        .value_kind:     hidden_grid_dims
    .group_segment_fixed_size: 0
    .kernarg_segment_align: 8
    .kernarg_segment_size: 3408
    .language:       OpenCL C
    .language_version:
      - 2
      - 0
    .max_flat_workgroup_size: 512
    .name:           _ZN2at6native12_GLOBAL__N_125multi_tensor_apply_kernelINS1_18TensorListMetadataILi2EEENS1_11CopyFunctorIN3c108BFloat16EaLi2ELi1ELi1EEEJNS0_4CopyIS7_aEEEEEvT_T0_DpT1_
    .private_segment_fixed_size: 0
    .sgpr_count:     22
    .sgpr_spill_count: 0
    .symbol:         _ZN2at6native12_GLOBAL__N_125multi_tensor_apply_kernelINS1_18TensorListMetadataILi2EEENS1_11CopyFunctorIN3c108BFloat16EaLi2ELi1ELi1EEEJNS0_4CopyIS7_aEEEEEvT_T0_DpT1_.kd
    .uniform_work_group_size: 1
    .uses_dynamic_stack: false
    .vgpr_count:     32
    .vgpr_spill_count: 0
    .wavefront_size: 32
    .workgroup_processor_mode: 1
  - .args:
      - .offset:         0
        .size:           3144
        .value_kind:     by_value
      - .offset:         3144
        .size:           1
        .value_kind:     by_value
      - .offset:         3145
        .size:           1
        .value_kind:     by_value
      - .offset:         3152
        .size:           4
        .value_kind:     hidden_block_count_x
      - .offset:         3156
        .size:           4
        .value_kind:     hidden_block_count_y
      - .offset:         3160
        .size:           4
        .value_kind:     hidden_block_count_z
      - .offset:         3164
        .size:           2
        .value_kind:     hidden_group_size_x
      - .offset:         3166
        .size:           2
        .value_kind:     hidden_group_size_y
      - .offset:         3168
        .size:           2
        .value_kind:     hidden_group_size_z
      - .offset:         3170
        .size:           2
        .value_kind:     hidden_remainder_x
      - .offset:         3172
        .size:           2
        .value_kind:     hidden_remainder_y
      - .offset:         3174
        .size:           2
        .value_kind:     hidden_remainder_z
      - .offset:         3192
        .size:           8
        .value_kind:     hidden_global_offset_x
      - .offset:         3200
        .size:           8
        .value_kind:     hidden_global_offset_y
      - .offset:         3208
        .size:           8
        .value_kind:     hidden_global_offset_z
      - .offset:         3216
        .size:           2
        .value_kind:     hidden_grid_dims
    .group_segment_fixed_size: 0
    .kernarg_segment_align: 8
    .kernarg_segment_size: 3408
    .language:       OpenCL C
    .language_version:
      - 2
      - 0
    .max_flat_workgroup_size: 512
    .name:           _ZN2at6native12_GLOBAL__N_125multi_tensor_apply_kernelINS1_18TensorListMetadataILi2EEENS1_11CopyFunctorIN3c108BFloat16ElLi2ELi1ELi1EEEJNS0_4CopyIS7_lEEEEEvT_T0_DpT1_
    .private_segment_fixed_size: 0
    .sgpr_count:     22
    .sgpr_spill_count: 0
    .symbol:         _ZN2at6native12_GLOBAL__N_125multi_tensor_apply_kernelINS1_18TensorListMetadataILi2EEENS1_11CopyFunctorIN3c108BFloat16ElLi2ELi1ELi1EEEJNS0_4CopyIS7_lEEEEEvT_T0_DpT1_.kd
    .uniform_work_group_size: 1
    .uses_dynamic_stack: false
    .vgpr_count:     34
    .vgpr_spill_count: 0
    .wavefront_size: 32
    .workgroup_processor_mode: 1
  - .args:
      - .offset:         0
        .size:           3144
        .value_kind:     by_value
      - .offset:         3144
        .size:           1
        .value_kind:     by_value
      - .offset:         3145
        .size:           1
        .value_kind:     by_value
      - .offset:         3152
        .size:           4
        .value_kind:     hidden_block_count_x
      - .offset:         3156
        .size:           4
        .value_kind:     hidden_block_count_y
      - .offset:         3160
        .size:           4
        .value_kind:     hidden_block_count_z
      - .offset:         3164
        .size:           2
        .value_kind:     hidden_group_size_x
      - .offset:         3166
        .size:           2
        .value_kind:     hidden_group_size_y
      - .offset:         3168
        .size:           2
        .value_kind:     hidden_group_size_z
      - .offset:         3170
        .size:           2
        .value_kind:     hidden_remainder_x
      - .offset:         3172
        .size:           2
        .value_kind:     hidden_remainder_y
      - .offset:         3174
        .size:           2
        .value_kind:     hidden_remainder_z
      - .offset:         3192
        .size:           8
        .value_kind:     hidden_global_offset_x
      - .offset:         3200
        .size:           8
        .value_kind:     hidden_global_offset_y
      - .offset:         3208
        .size:           8
        .value_kind:     hidden_global_offset_z
      - .offset:         3216
        .size:           2
        .value_kind:     hidden_grid_dims
    .group_segment_fixed_size: 0
    .kernarg_segment_align: 8
    .kernarg_segment_size: 3408
    .language:       OpenCL C
    .language_version:
      - 2
      - 0
    .max_flat_workgroup_size: 512
    .name:           _ZN2at6native12_GLOBAL__N_125multi_tensor_apply_kernelINS1_18TensorListMetadataILi2EEENS1_11CopyFunctorIN3c108BFloat16EsLi2ELi1ELi1EEEJNS0_4CopyIS7_sEEEEEvT_T0_DpT1_
    .private_segment_fixed_size: 0
    .sgpr_count:     18
    .sgpr_spill_count: 0
    .symbol:         _ZN2at6native12_GLOBAL__N_125multi_tensor_apply_kernelINS1_18TensorListMetadataILi2EEENS1_11CopyFunctorIN3c108BFloat16EsLi2ELi1ELi1EEEJNS0_4CopyIS7_sEEEEEvT_T0_DpT1_.kd
    .uniform_work_group_size: 1
    .uses_dynamic_stack: false
    .vgpr_count:     29
    .vgpr_spill_count: 0
    .wavefront_size: 32
    .workgroup_processor_mode: 1
  - .args:
      - .offset:         0
        .size:           3144
        .value_kind:     by_value
      - .offset:         3144
        .size:           1
        .value_kind:     by_value
      - .offset:         3145
        .size:           1
        .value_kind:     by_value
      - .offset:         3152
        .size:           4
        .value_kind:     hidden_block_count_x
      - .offset:         3156
        .size:           4
        .value_kind:     hidden_block_count_y
      - .offset:         3160
        .size:           4
        .value_kind:     hidden_block_count_z
      - .offset:         3164
        .size:           2
        .value_kind:     hidden_group_size_x
      - .offset:         3166
        .size:           2
        .value_kind:     hidden_group_size_y
      - .offset:         3168
        .size:           2
        .value_kind:     hidden_group_size_z
      - .offset:         3170
        .size:           2
        .value_kind:     hidden_remainder_x
      - .offset:         3172
        .size:           2
        .value_kind:     hidden_remainder_y
      - .offset:         3174
        .size:           2
        .value_kind:     hidden_remainder_z
      - .offset:         3192
        .size:           8
        .value_kind:     hidden_global_offset_x
      - .offset:         3200
        .size:           8
        .value_kind:     hidden_global_offset_y
      - .offset:         3208
        .size:           8
        .value_kind:     hidden_global_offset_z
      - .offset:         3216
        .size:           2
        .value_kind:     hidden_grid_dims
    .group_segment_fixed_size: 0
    .kernarg_segment_align: 8
    .kernarg_segment_size: 3408
    .language:       OpenCL C
    .language_version:
      - 2
      - 0
    .max_flat_workgroup_size: 512
    .name:           _ZN2at6native12_GLOBAL__N_125multi_tensor_apply_kernelINS1_18TensorListMetadataILi2EEENS1_11CopyFunctorIN3c108BFloat16EiLi2ELi1ELi1EEEJNS0_4CopyIS7_iEEEEEvT_T0_DpT1_
    .private_segment_fixed_size: 0
    .sgpr_count:     22
    .sgpr_spill_count: 0
    .symbol:         _ZN2at6native12_GLOBAL__N_125multi_tensor_apply_kernelINS1_18TensorListMetadataILi2EEENS1_11CopyFunctorIN3c108BFloat16EiLi2ELi1ELi1EEEJNS0_4CopyIS7_iEEEEEvT_T0_DpT1_.kd
    .uniform_work_group_size: 1
    .uses_dynamic_stack: false
    .vgpr_count:     31
    .vgpr_spill_count: 0
    .wavefront_size: 32
    .workgroup_processor_mode: 1
  - .args:
      - .offset:         0
        .size:           3144
        .value_kind:     by_value
      - .offset:         3144
        .size:           1
        .value_kind:     by_value
      - .offset:         3145
        .size:           1
        .value_kind:     by_value
      - .offset:         3152
        .size:           4
        .value_kind:     hidden_block_count_x
      - .offset:         3156
        .size:           4
        .value_kind:     hidden_block_count_y
      - .offset:         3160
        .size:           4
        .value_kind:     hidden_block_count_z
      - .offset:         3164
        .size:           2
        .value_kind:     hidden_group_size_x
      - .offset:         3166
        .size:           2
        .value_kind:     hidden_group_size_y
      - .offset:         3168
        .size:           2
        .value_kind:     hidden_group_size_z
      - .offset:         3170
        .size:           2
        .value_kind:     hidden_remainder_x
      - .offset:         3172
        .size:           2
        .value_kind:     hidden_remainder_y
      - .offset:         3174
        .size:           2
        .value_kind:     hidden_remainder_z
      - .offset:         3192
        .size:           8
        .value_kind:     hidden_global_offset_x
      - .offset:         3200
        .size:           8
        .value_kind:     hidden_global_offset_y
      - .offset:         3208
        .size:           8
        .value_kind:     hidden_global_offset_z
      - .offset:         3216
        .size:           2
        .value_kind:     hidden_grid_dims
    .group_segment_fixed_size: 0
    .kernarg_segment_align: 8
    .kernarg_segment_size: 3408
    .language:       OpenCL C
    .language_version:
      - 2
      - 0
    .max_flat_workgroup_size: 512
    .name:           _ZN2at6native12_GLOBAL__N_125multi_tensor_apply_kernelINS1_18TensorListMetadataILi2EEENS1_11CopyFunctorIN3c108BFloat16EdLi2ELi1ELi1EEEJNS0_4CopyIS7_dEEEEEvT_T0_DpT1_
    .private_segment_fixed_size: 0
    .sgpr_count:     22
    .sgpr_spill_count: 0
    .symbol:         _ZN2at6native12_GLOBAL__N_125multi_tensor_apply_kernelINS1_18TensorListMetadataILi2EEENS1_11CopyFunctorIN3c108BFloat16EdLi2ELi1ELi1EEEJNS0_4CopyIS7_dEEEEEvT_T0_DpT1_.kd
    .uniform_work_group_size: 1
    .uses_dynamic_stack: false
    .vgpr_count:     33
    .vgpr_spill_count: 0
    .wavefront_size: 32
    .workgroup_processor_mode: 1
  - .args:
      - .offset:         0
        .size:           3144
        .value_kind:     by_value
      - .offset:         3144
        .size:           1
        .value_kind:     by_value
      - .offset:         3145
        .size:           1
        .value_kind:     by_value
      - .offset:         3152
        .size:           4
        .value_kind:     hidden_block_count_x
      - .offset:         3156
        .size:           4
        .value_kind:     hidden_block_count_y
      - .offset:         3160
        .size:           4
        .value_kind:     hidden_block_count_z
      - .offset:         3164
        .size:           2
        .value_kind:     hidden_group_size_x
      - .offset:         3166
        .size:           2
        .value_kind:     hidden_group_size_y
      - .offset:         3168
        .size:           2
        .value_kind:     hidden_group_size_z
      - .offset:         3170
        .size:           2
        .value_kind:     hidden_remainder_x
      - .offset:         3172
        .size:           2
        .value_kind:     hidden_remainder_y
      - .offset:         3174
        .size:           2
        .value_kind:     hidden_remainder_z
      - .offset:         3192
        .size:           8
        .value_kind:     hidden_global_offset_x
      - .offset:         3200
        .size:           8
        .value_kind:     hidden_global_offset_y
      - .offset:         3208
        .size:           8
        .value_kind:     hidden_global_offset_z
      - .offset:         3216
        .size:           2
        .value_kind:     hidden_grid_dims
    .group_segment_fixed_size: 0
    .kernarg_segment_align: 8
    .kernarg_segment_size: 3408
    .language:       OpenCL C
    .language_version:
      - 2
      - 0
    .max_flat_workgroup_size: 512
    .name:           _ZN2at6native12_GLOBAL__N_125multi_tensor_apply_kernelINS1_18TensorListMetadataILi2EEENS1_11CopyFunctorIN3c108BFloat16EfLi2ELi1ELi1EEEJNS0_4CopyIS7_fEEEEEvT_T0_DpT1_
    .private_segment_fixed_size: 0
    .sgpr_count:     22
    .sgpr_spill_count: 0
    .symbol:         _ZN2at6native12_GLOBAL__N_125multi_tensor_apply_kernelINS1_18TensorListMetadataILi2EEENS1_11CopyFunctorIN3c108BFloat16EfLi2ELi1ELi1EEEJNS0_4CopyIS7_fEEEEEvT_T0_DpT1_.kd
    .uniform_work_group_size: 1
    .uses_dynamic_stack: false
    .vgpr_count:     31
    .vgpr_spill_count: 0
    .wavefront_size: 32
    .workgroup_processor_mode: 1
  - .args:
      - .offset:         0
        .size:           3144
        .value_kind:     by_value
      - .offset:         3144
        .size:           1
        .value_kind:     by_value
      - .offset:         3145
        .size:           1
        .value_kind:     by_value
      - .offset:         3152
        .size:           4
        .value_kind:     hidden_block_count_x
      - .offset:         3156
        .size:           4
        .value_kind:     hidden_block_count_y
      - .offset:         3160
        .size:           4
        .value_kind:     hidden_block_count_z
      - .offset:         3164
        .size:           2
        .value_kind:     hidden_group_size_x
      - .offset:         3166
        .size:           2
        .value_kind:     hidden_group_size_y
      - .offset:         3168
        .size:           2
        .value_kind:     hidden_group_size_z
      - .offset:         3170
        .size:           2
        .value_kind:     hidden_remainder_x
      - .offset:         3172
        .size:           2
        .value_kind:     hidden_remainder_y
      - .offset:         3174
        .size:           2
        .value_kind:     hidden_remainder_z
      - .offset:         3192
        .size:           8
        .value_kind:     hidden_global_offset_x
      - .offset:         3200
        .size:           8
        .value_kind:     hidden_global_offset_y
      - .offset:         3208
        .size:           8
        .value_kind:     hidden_global_offset_z
      - .offset:         3216
        .size:           2
        .value_kind:     hidden_grid_dims
    .group_segment_fixed_size: 0
    .kernarg_segment_align: 8
    .kernarg_segment_size: 3408
    .language:       OpenCL C
    .language_version:
      - 2
      - 0
    .max_flat_workgroup_size: 512
    .name:           _ZN2at6native12_GLOBAL__N_125multi_tensor_apply_kernelINS1_18TensorListMetadataILi2EEENS1_11CopyFunctorIN3c108BFloat16ENS6_7complexIdEELi2ELi1ELi1EEEJNS0_4CopyIS7_S9_EEEEEvT_T0_DpT1_
    .private_segment_fixed_size: 0
    .sgpr_count:     22
    .sgpr_spill_count: 0
    .symbol:         _ZN2at6native12_GLOBAL__N_125multi_tensor_apply_kernelINS1_18TensorListMetadataILi2EEENS1_11CopyFunctorIN3c108BFloat16ENS6_7complexIdEELi2ELi1ELi1EEEJNS0_4CopyIS7_S9_EEEEEvT_T0_DpT1_.kd
    .uniform_work_group_size: 1
    .uses_dynamic_stack: false
    .vgpr_count:     33
    .vgpr_spill_count: 0
    .wavefront_size: 32
    .workgroup_processor_mode: 1
  - .args:
      - .offset:         0
        .size:           3144
        .value_kind:     by_value
      - .offset:         3144
        .size:           1
        .value_kind:     by_value
      - .offset:         3145
        .size:           1
        .value_kind:     by_value
      - .offset:         3152
        .size:           4
        .value_kind:     hidden_block_count_x
      - .offset:         3156
        .size:           4
        .value_kind:     hidden_block_count_y
      - .offset:         3160
        .size:           4
        .value_kind:     hidden_block_count_z
      - .offset:         3164
        .size:           2
        .value_kind:     hidden_group_size_x
      - .offset:         3166
        .size:           2
        .value_kind:     hidden_group_size_y
      - .offset:         3168
        .size:           2
        .value_kind:     hidden_group_size_z
      - .offset:         3170
        .size:           2
        .value_kind:     hidden_remainder_x
      - .offset:         3172
        .size:           2
        .value_kind:     hidden_remainder_y
      - .offset:         3174
        .size:           2
        .value_kind:     hidden_remainder_z
      - .offset:         3192
        .size:           8
        .value_kind:     hidden_global_offset_x
      - .offset:         3200
        .size:           8
        .value_kind:     hidden_global_offset_y
      - .offset:         3208
        .size:           8
        .value_kind:     hidden_global_offset_z
      - .offset:         3216
        .size:           2
        .value_kind:     hidden_grid_dims
    .group_segment_fixed_size: 0
    .kernarg_segment_align: 8
    .kernarg_segment_size: 3408
    .language:       OpenCL C
    .language_version:
      - 2
      - 0
    .max_flat_workgroup_size: 512
    .name:           _ZN2at6native12_GLOBAL__N_125multi_tensor_apply_kernelINS1_18TensorListMetadataILi2EEENS1_11CopyFunctorIN3c108BFloat16ENS6_7complexIfEELi2ELi1ELi1EEEJNS0_4CopyIS7_S9_EEEEEvT_T0_DpT1_
    .private_segment_fixed_size: 0
    .sgpr_count:     22
    .sgpr_spill_count: 0
    .symbol:         _ZN2at6native12_GLOBAL__N_125multi_tensor_apply_kernelINS1_18TensorListMetadataILi2EEENS1_11CopyFunctorIN3c108BFloat16ENS6_7complexIfEELi2ELi1ELi1EEEJNS0_4CopyIS7_S9_EEEEEvT_T0_DpT1_.kd
    .uniform_work_group_size: 1
    .uses_dynamic_stack: false
    .vgpr_count:     31
    .vgpr_spill_count: 0
    .wavefront_size: 32
    .workgroup_processor_mode: 1
  - .args:
      - .offset:         0
        .size:           3144
        .value_kind:     by_value
      - .offset:         3144
        .size:           1
        .value_kind:     by_value
      - .offset:         3145
        .size:           1
        .value_kind:     by_value
      - .offset:         3152
        .size:           4
        .value_kind:     hidden_block_count_x
      - .offset:         3156
        .size:           4
        .value_kind:     hidden_block_count_y
      - .offset:         3160
        .size:           4
        .value_kind:     hidden_block_count_z
      - .offset:         3164
        .size:           2
        .value_kind:     hidden_group_size_x
      - .offset:         3166
        .size:           2
        .value_kind:     hidden_group_size_y
      - .offset:         3168
        .size:           2
        .value_kind:     hidden_group_size_z
      - .offset:         3170
        .size:           2
        .value_kind:     hidden_remainder_x
      - .offset:         3172
        .size:           2
        .value_kind:     hidden_remainder_y
      - .offset:         3174
        .size:           2
        .value_kind:     hidden_remainder_z
      - .offset:         3192
        .size:           8
        .value_kind:     hidden_global_offset_x
      - .offset:         3200
        .size:           8
        .value_kind:     hidden_global_offset_y
      - .offset:         3208
        .size:           8
        .value_kind:     hidden_global_offset_z
      - .offset:         3216
        .size:           2
        .value_kind:     hidden_grid_dims
    .group_segment_fixed_size: 0
    .kernarg_segment_align: 8
    .kernarg_segment_size: 3408
    .language:       OpenCL C
    .language_version:
      - 2
      - 0
    .max_flat_workgroup_size: 512
    .name:           _ZN2at6native12_GLOBAL__N_125multi_tensor_apply_kernelINS1_18TensorListMetadataILi2EEENS1_11CopyFunctorIN3c108BFloat16ENS6_4HalfELi2ELi1ELi1EEEJNS0_4CopyIS7_S8_EEEEEvT_T0_DpT1_
    .private_segment_fixed_size: 0
    .sgpr_count:     19
    .sgpr_spill_count: 0
    .symbol:         _ZN2at6native12_GLOBAL__N_125multi_tensor_apply_kernelINS1_18TensorListMetadataILi2EEENS1_11CopyFunctorIN3c108BFloat16ENS6_4HalfELi2ELi1ELi1EEEJNS0_4CopyIS7_S8_EEEEEvT_T0_DpT1_.kd
    .uniform_work_group_size: 1
    .uses_dynamic_stack: false
    .vgpr_count:     31
    .vgpr_spill_count: 0
    .wavefront_size: 32
    .workgroup_processor_mode: 1
  - .args:
      - .offset:         0
        .size:           3144
        .value_kind:     by_value
      - .offset:         3144
        .size:           1
        .value_kind:     by_value
      - .offset:         3145
        .size:           1
        .value_kind:     by_value
      - .offset:         3152
        .size:           4
        .value_kind:     hidden_block_count_x
      - .offset:         3156
        .size:           4
        .value_kind:     hidden_block_count_y
      - .offset:         3160
        .size:           4
        .value_kind:     hidden_block_count_z
      - .offset:         3164
        .size:           2
        .value_kind:     hidden_group_size_x
      - .offset:         3166
        .size:           2
        .value_kind:     hidden_group_size_y
      - .offset:         3168
        .size:           2
        .value_kind:     hidden_group_size_z
      - .offset:         3170
        .size:           2
        .value_kind:     hidden_remainder_x
      - .offset:         3172
        .size:           2
        .value_kind:     hidden_remainder_y
      - .offset:         3174
        .size:           2
        .value_kind:     hidden_remainder_z
      - .offset:         3192
        .size:           8
        .value_kind:     hidden_global_offset_x
      - .offset:         3200
        .size:           8
        .value_kind:     hidden_global_offset_y
      - .offset:         3208
        .size:           8
        .value_kind:     hidden_global_offset_z
      - .offset:         3216
        .size:           2
        .value_kind:     hidden_grid_dims
    .group_segment_fixed_size: 0
    .kernarg_segment_align: 8
    .kernarg_segment_size: 3408
    .language:       OpenCL C
    .language_version:
      - 2
      - 0
    .max_flat_workgroup_size: 512
    .name:           _ZN2at6native12_GLOBAL__N_125multi_tensor_apply_kernelINS1_18TensorListMetadataILi2EEENS1_14UnaryOpFunctorIN3c108BFloat16ELi2ELi1ELi1EEEJNS0_4CopyIS7_S7_EEEEEvT_T0_DpT1_
    .private_segment_fixed_size: 0
    .sgpr_count:     20
    .sgpr_spill_count: 0
    .symbol:         _ZN2at6native12_GLOBAL__N_125multi_tensor_apply_kernelINS1_18TensorListMetadataILi2EEENS1_14UnaryOpFunctorIN3c108BFloat16ELi2ELi1ELi1EEEJNS0_4CopyIS7_S7_EEEEEvT_T0_DpT1_.kd
    .uniform_work_group_size: 1
    .uses_dynamic_stack: false
    .vgpr_count:     30
    .vgpr_spill_count: 0
    .wavefront_size: 32
    .workgroup_processor_mode: 1
  - .args:
      - .offset:         0
        .size:           3144
        .value_kind:     by_value
      - .offset:         3144
        .size:           1
        .value_kind:     by_value
      - .offset:         3145
        .size:           1
        .value_kind:     by_value
      - .offset:         3152
        .size:           4
        .value_kind:     hidden_block_count_x
      - .offset:         3156
        .size:           4
        .value_kind:     hidden_block_count_y
      - .offset:         3160
        .size:           4
        .value_kind:     hidden_block_count_z
      - .offset:         3164
        .size:           2
        .value_kind:     hidden_group_size_x
      - .offset:         3166
        .size:           2
        .value_kind:     hidden_group_size_y
      - .offset:         3168
        .size:           2
        .value_kind:     hidden_group_size_z
      - .offset:         3170
        .size:           2
        .value_kind:     hidden_remainder_x
      - .offset:         3172
        .size:           2
        .value_kind:     hidden_remainder_y
      - .offset:         3174
        .size:           2
        .value_kind:     hidden_remainder_z
      - .offset:         3192
        .size:           8
        .value_kind:     hidden_global_offset_x
      - .offset:         3200
        .size:           8
        .value_kind:     hidden_global_offset_y
      - .offset:         3208
        .size:           8
        .value_kind:     hidden_global_offset_z
      - .offset:         3216
        .size:           2
        .value_kind:     hidden_grid_dims
    .group_segment_fixed_size: 0
    .kernarg_segment_align: 8
    .kernarg_segment_size: 3408
    .language:       OpenCL C
    .language_version:
      - 2
      - 0
    .max_flat_workgroup_size: 512
    .name:           _ZN2at6native12_GLOBAL__N_125multi_tensor_apply_kernelINS1_18TensorListMetadataILi2EEENS1_11CopyFunctorIN3c108BFloat16EbLi2ELi1ELi1EEEJNS0_4CopyIS7_bEEEEEvT_T0_DpT1_
    .private_segment_fixed_size: 0
    .sgpr_count:     22
    .sgpr_spill_count: 0
    .symbol:         _ZN2at6native12_GLOBAL__N_125multi_tensor_apply_kernelINS1_18TensorListMetadataILi2EEENS1_11CopyFunctorIN3c108BFloat16EbLi2ELi1ELi1EEEJNS0_4CopyIS7_bEEEEEvT_T0_DpT1_.kd
    .uniform_work_group_size: 1
    .uses_dynamic_stack: false
    .vgpr_count:     35
    .vgpr_spill_count: 0
    .wavefront_size: 32
    .workgroup_processor_mode: 1
  - .args:
      - .offset:         0
        .size:           3144
        .value_kind:     by_value
      - .offset:         3144
        .size:           1
        .value_kind:     by_value
      - .offset:         3145
        .size:           1
        .value_kind:     by_value
      - .offset:         3152
        .size:           4
        .value_kind:     hidden_block_count_x
      - .offset:         3156
        .size:           4
        .value_kind:     hidden_block_count_y
      - .offset:         3160
        .size:           4
        .value_kind:     hidden_block_count_z
      - .offset:         3164
        .size:           2
        .value_kind:     hidden_group_size_x
      - .offset:         3166
        .size:           2
        .value_kind:     hidden_group_size_y
      - .offset:         3168
        .size:           2
        .value_kind:     hidden_group_size_z
      - .offset:         3170
        .size:           2
        .value_kind:     hidden_remainder_x
      - .offset:         3172
        .size:           2
        .value_kind:     hidden_remainder_y
      - .offset:         3174
        .size:           2
        .value_kind:     hidden_remainder_z
      - .offset:         3192
        .size:           8
        .value_kind:     hidden_global_offset_x
      - .offset:         3200
        .size:           8
        .value_kind:     hidden_global_offset_y
      - .offset:         3208
        .size:           8
        .value_kind:     hidden_global_offset_z
      - .offset:         3216
        .size:           2
        .value_kind:     hidden_grid_dims
    .group_segment_fixed_size: 0
    .kernarg_segment_align: 8
    .kernarg_segment_size: 3408
    .language:       OpenCL C
    .language_version:
      - 2
      - 0
    .max_flat_workgroup_size: 512
    .name:           _ZN2at6native12_GLOBAL__N_125multi_tensor_apply_kernelINS1_18TensorListMetadataILi2EEENS1_11CopyFunctorIN3c108BFloat16ENS6_13Float8_e4m3fnELi2ELi1ELi1EEEJNS0_4CopyIS7_S8_EEEEEvT_T0_DpT1_
    .private_segment_fixed_size: 0
    .sgpr_count:     23
    .sgpr_spill_count: 0
    .symbol:         _ZN2at6native12_GLOBAL__N_125multi_tensor_apply_kernelINS1_18TensorListMetadataILi2EEENS1_11CopyFunctorIN3c108BFloat16ENS6_13Float8_e4m3fnELi2ELi1ELi1EEEJNS0_4CopyIS7_S8_EEEEEvT_T0_DpT1_.kd
    .uniform_work_group_size: 1
    .uses_dynamic_stack: false
    .vgpr_count:     34
    .vgpr_spill_count: 0
    .wavefront_size: 32
    .workgroup_processor_mode: 1
  - .args:
      - .offset:         0
        .size:           3144
        .value_kind:     by_value
      - .offset:         3144
        .size:           1
        .value_kind:     by_value
      - .offset:         3145
        .size:           1
        .value_kind:     by_value
      - .offset:         3152
        .size:           4
        .value_kind:     hidden_block_count_x
      - .offset:         3156
        .size:           4
        .value_kind:     hidden_block_count_y
      - .offset:         3160
        .size:           4
        .value_kind:     hidden_block_count_z
      - .offset:         3164
        .size:           2
        .value_kind:     hidden_group_size_x
      - .offset:         3166
        .size:           2
        .value_kind:     hidden_group_size_y
      - .offset:         3168
        .size:           2
        .value_kind:     hidden_group_size_z
      - .offset:         3170
        .size:           2
        .value_kind:     hidden_remainder_x
      - .offset:         3172
        .size:           2
        .value_kind:     hidden_remainder_y
      - .offset:         3174
        .size:           2
        .value_kind:     hidden_remainder_z
      - .offset:         3192
        .size:           8
        .value_kind:     hidden_global_offset_x
      - .offset:         3200
        .size:           8
        .value_kind:     hidden_global_offset_y
      - .offset:         3208
        .size:           8
        .value_kind:     hidden_global_offset_z
      - .offset:         3216
        .size:           2
        .value_kind:     hidden_grid_dims
    .group_segment_fixed_size: 0
    .kernarg_segment_align: 8
    .kernarg_segment_size: 3408
    .language:       OpenCL C
    .language_version:
      - 2
      - 0
    .max_flat_workgroup_size: 512
    .name:           _ZN2at6native12_GLOBAL__N_125multi_tensor_apply_kernelINS1_18TensorListMetadataILi2EEENS1_11CopyFunctorIN3c108BFloat16ENS6_15Float8_e4m3fnuzELi2ELi1ELi1EEEJNS0_4CopyIS7_S8_EEEEEvT_T0_DpT1_
    .private_segment_fixed_size: 0
    .sgpr_count:     24
    .sgpr_spill_count: 0
    .symbol:         _ZN2at6native12_GLOBAL__N_125multi_tensor_apply_kernelINS1_18TensorListMetadataILi2EEENS1_11CopyFunctorIN3c108BFloat16ENS6_15Float8_e4m3fnuzELi2ELi1ELi1EEEJNS0_4CopyIS7_S8_EEEEEvT_T0_DpT1_.kd
    .uniform_work_group_size: 1
    .uses_dynamic_stack: false
    .vgpr_count:     39
    .vgpr_spill_count: 0
    .wavefront_size: 32
    .workgroup_processor_mode: 1
  - .args:
      - .offset:         0
        .size:           3144
        .value_kind:     by_value
      - .offset:         3144
        .size:           1
        .value_kind:     by_value
      - .offset:         3145
        .size:           1
        .value_kind:     by_value
      - .offset:         3152
        .size:           4
        .value_kind:     hidden_block_count_x
      - .offset:         3156
        .size:           4
        .value_kind:     hidden_block_count_y
      - .offset:         3160
        .size:           4
        .value_kind:     hidden_block_count_z
      - .offset:         3164
        .size:           2
        .value_kind:     hidden_group_size_x
      - .offset:         3166
        .size:           2
        .value_kind:     hidden_group_size_y
      - .offset:         3168
        .size:           2
        .value_kind:     hidden_group_size_z
      - .offset:         3170
        .size:           2
        .value_kind:     hidden_remainder_x
      - .offset:         3172
        .size:           2
        .value_kind:     hidden_remainder_y
      - .offset:         3174
        .size:           2
        .value_kind:     hidden_remainder_z
      - .offset:         3192
        .size:           8
        .value_kind:     hidden_global_offset_x
      - .offset:         3200
        .size:           8
        .value_kind:     hidden_global_offset_y
      - .offset:         3208
        .size:           8
        .value_kind:     hidden_global_offset_z
      - .offset:         3216
        .size:           2
        .value_kind:     hidden_grid_dims
    .group_segment_fixed_size: 0
    .kernarg_segment_align: 8
    .kernarg_segment_size: 3408
    .language:       OpenCL C
    .language_version:
      - 2
      - 0
    .max_flat_workgroup_size: 512
    .name:           _ZN2at6native12_GLOBAL__N_125multi_tensor_apply_kernelINS1_18TensorListMetadataILi2EEENS1_11CopyFunctorIN3c108BFloat16ENS6_11Float8_e5m2ELi2ELi1ELi1EEEJNS0_4CopyIS7_S8_EEEEEvT_T0_DpT1_
    .private_segment_fixed_size: 0
    .sgpr_count:     24
    .sgpr_spill_count: 0
    .symbol:         _ZN2at6native12_GLOBAL__N_125multi_tensor_apply_kernelINS1_18TensorListMetadataILi2EEENS1_11CopyFunctorIN3c108BFloat16ENS6_11Float8_e5m2ELi2ELi1ELi1EEEJNS0_4CopyIS7_S8_EEEEEvT_T0_DpT1_.kd
    .uniform_work_group_size: 1
    .uses_dynamic_stack: false
    .vgpr_count:     33
    .vgpr_spill_count: 0
    .wavefront_size: 32
    .workgroup_processor_mode: 1
  - .args:
      - .offset:         0
        .size:           3144
        .value_kind:     by_value
      - .offset:         3144
        .size:           1
        .value_kind:     by_value
      - .offset:         3145
        .size:           1
        .value_kind:     by_value
      - .offset:         3152
        .size:           4
        .value_kind:     hidden_block_count_x
      - .offset:         3156
        .size:           4
        .value_kind:     hidden_block_count_y
      - .offset:         3160
        .size:           4
        .value_kind:     hidden_block_count_z
      - .offset:         3164
        .size:           2
        .value_kind:     hidden_group_size_x
      - .offset:         3166
        .size:           2
        .value_kind:     hidden_group_size_y
      - .offset:         3168
        .size:           2
        .value_kind:     hidden_group_size_z
      - .offset:         3170
        .size:           2
        .value_kind:     hidden_remainder_x
      - .offset:         3172
        .size:           2
        .value_kind:     hidden_remainder_y
      - .offset:         3174
        .size:           2
        .value_kind:     hidden_remainder_z
      - .offset:         3192
        .size:           8
        .value_kind:     hidden_global_offset_x
      - .offset:         3200
        .size:           8
        .value_kind:     hidden_global_offset_y
      - .offset:         3208
        .size:           8
        .value_kind:     hidden_global_offset_z
      - .offset:         3216
        .size:           2
        .value_kind:     hidden_grid_dims
    .group_segment_fixed_size: 0
    .kernarg_segment_align: 8
    .kernarg_segment_size: 3408
    .language:       OpenCL C
    .language_version:
      - 2
      - 0
    .max_flat_workgroup_size: 512
    .name:           _ZN2at6native12_GLOBAL__N_125multi_tensor_apply_kernelINS1_18TensorListMetadataILi2EEENS1_11CopyFunctorIN3c108BFloat16ENS6_15Float8_e5m2fnuzELi2ELi1ELi1EEEJNS0_4CopyIS7_S8_EEEEEvT_T0_DpT1_
    .private_segment_fixed_size: 0
    .sgpr_count:     24
    .sgpr_spill_count: 0
    .symbol:         _ZN2at6native12_GLOBAL__N_125multi_tensor_apply_kernelINS1_18TensorListMetadataILi2EEENS1_11CopyFunctorIN3c108BFloat16ENS6_15Float8_e5m2fnuzELi2ELi1ELi1EEEJNS0_4CopyIS7_S8_EEEEEvT_T0_DpT1_.kd
    .uniform_work_group_size: 1
    .uses_dynamic_stack: false
    .vgpr_count:     39
    .vgpr_spill_count: 0
    .wavefront_size: 32
    .workgroup_processor_mode: 1
  - .args:
      - .offset:         0
        .size:           3144
        .value_kind:     by_value
      - .offset:         3144
        .size:           1
        .value_kind:     by_value
      - .offset:         3145
        .size:           1
        .value_kind:     by_value
      - .offset:         3152
        .size:           4
        .value_kind:     hidden_block_count_x
      - .offset:         3156
        .size:           4
        .value_kind:     hidden_block_count_y
      - .offset:         3160
        .size:           4
        .value_kind:     hidden_block_count_z
      - .offset:         3164
        .size:           2
        .value_kind:     hidden_group_size_x
      - .offset:         3166
        .size:           2
        .value_kind:     hidden_group_size_y
      - .offset:         3168
        .size:           2
        .value_kind:     hidden_group_size_z
      - .offset:         3170
        .size:           2
        .value_kind:     hidden_remainder_x
      - .offset:         3172
        .size:           2
        .value_kind:     hidden_remainder_y
      - .offset:         3174
        .size:           2
        .value_kind:     hidden_remainder_z
      - .offset:         3192
        .size:           8
        .value_kind:     hidden_global_offset_x
      - .offset:         3200
        .size:           8
        .value_kind:     hidden_global_offset_y
      - .offset:         3208
        .size:           8
        .value_kind:     hidden_global_offset_z
      - .offset:         3216
        .size:           2
        .value_kind:     hidden_grid_dims
    .group_segment_fixed_size: 0
    .kernarg_segment_align: 8
    .kernarg_segment_size: 3408
    .language:       OpenCL C
    .language_version:
      - 2
      - 0
    .max_flat_workgroup_size: 512
    .name:           _ZN2at6native12_GLOBAL__N_125multi_tensor_apply_kernelINS1_18TensorListMetadataILi2EEENS1_11CopyFunctorIbhLi2ELi1ELi1EEEJNS0_4CopyIbhEEEEEvT_T0_DpT1_
    .private_segment_fixed_size: 0
    .sgpr_count:     22
    .sgpr_spill_count: 0
    .symbol:         _ZN2at6native12_GLOBAL__N_125multi_tensor_apply_kernelINS1_18TensorListMetadataILi2EEENS1_11CopyFunctorIbhLi2ELi1ELi1EEEJNS0_4CopyIbhEEEEEvT_T0_DpT1_.kd
    .uniform_work_group_size: 1
    .uses_dynamic_stack: false
    .vgpr_count:     36
    .vgpr_spill_count: 0
    .wavefront_size: 32
    .workgroup_processor_mode: 1
  - .args:
      - .offset:         0
        .size:           3144
        .value_kind:     by_value
      - .offset:         3144
        .size:           1
        .value_kind:     by_value
      - .offset:         3145
        .size:           1
        .value_kind:     by_value
      - .offset:         3152
        .size:           4
        .value_kind:     hidden_block_count_x
      - .offset:         3156
        .size:           4
        .value_kind:     hidden_block_count_y
      - .offset:         3160
        .size:           4
        .value_kind:     hidden_block_count_z
      - .offset:         3164
        .size:           2
        .value_kind:     hidden_group_size_x
      - .offset:         3166
        .size:           2
        .value_kind:     hidden_group_size_y
      - .offset:         3168
        .size:           2
        .value_kind:     hidden_group_size_z
      - .offset:         3170
        .size:           2
        .value_kind:     hidden_remainder_x
      - .offset:         3172
        .size:           2
        .value_kind:     hidden_remainder_y
      - .offset:         3174
        .size:           2
        .value_kind:     hidden_remainder_z
      - .offset:         3192
        .size:           8
        .value_kind:     hidden_global_offset_x
      - .offset:         3200
        .size:           8
        .value_kind:     hidden_global_offset_y
      - .offset:         3208
        .size:           8
        .value_kind:     hidden_global_offset_z
      - .offset:         3216
        .size:           2
        .value_kind:     hidden_grid_dims
    .group_segment_fixed_size: 0
    .kernarg_segment_align: 8
    .kernarg_segment_size: 3408
    .language:       OpenCL C
    .language_version:
      - 2
      - 0
    .max_flat_workgroup_size: 512
    .name:           _ZN2at6native12_GLOBAL__N_125multi_tensor_apply_kernelINS1_18TensorListMetadataILi2EEENS1_11CopyFunctorIbaLi2ELi1ELi1EEEJNS0_4CopyIbaEEEEEvT_T0_DpT1_
    .private_segment_fixed_size: 0
    .sgpr_count:     22
    .sgpr_spill_count: 0
    .symbol:         _ZN2at6native12_GLOBAL__N_125multi_tensor_apply_kernelINS1_18TensorListMetadataILi2EEENS1_11CopyFunctorIbaLi2ELi1ELi1EEEJNS0_4CopyIbaEEEEEvT_T0_DpT1_.kd
    .uniform_work_group_size: 1
    .uses_dynamic_stack: false
    .vgpr_count:     36
    .vgpr_spill_count: 0
    .wavefront_size: 32
    .workgroup_processor_mode: 1
  - .args:
      - .offset:         0
        .size:           3144
        .value_kind:     by_value
      - .offset:         3144
        .size:           1
        .value_kind:     by_value
      - .offset:         3145
        .size:           1
        .value_kind:     by_value
      - .offset:         3152
        .size:           4
        .value_kind:     hidden_block_count_x
      - .offset:         3156
        .size:           4
        .value_kind:     hidden_block_count_y
      - .offset:         3160
        .size:           4
        .value_kind:     hidden_block_count_z
      - .offset:         3164
        .size:           2
        .value_kind:     hidden_group_size_x
      - .offset:         3166
        .size:           2
        .value_kind:     hidden_group_size_y
      - .offset:         3168
        .size:           2
        .value_kind:     hidden_group_size_z
      - .offset:         3170
        .size:           2
        .value_kind:     hidden_remainder_x
      - .offset:         3172
        .size:           2
        .value_kind:     hidden_remainder_y
      - .offset:         3174
        .size:           2
        .value_kind:     hidden_remainder_z
      - .offset:         3192
        .size:           8
        .value_kind:     hidden_global_offset_x
      - .offset:         3200
        .size:           8
        .value_kind:     hidden_global_offset_y
      - .offset:         3208
        .size:           8
        .value_kind:     hidden_global_offset_z
      - .offset:         3216
        .size:           2
        .value_kind:     hidden_grid_dims
    .group_segment_fixed_size: 0
    .kernarg_segment_align: 8
    .kernarg_segment_size: 3408
    .language:       OpenCL C
    .language_version:
      - 2
      - 0
    .max_flat_workgroup_size: 512
    .name:           _ZN2at6native12_GLOBAL__N_125multi_tensor_apply_kernelINS1_18TensorListMetadataILi2EEENS1_11CopyFunctorIblLi2ELi1ELi1EEEJNS0_4CopyIblEEEEEvT_T0_DpT1_
    .private_segment_fixed_size: 0
    .sgpr_count:     22
    .sgpr_spill_count: 0
    .symbol:         _ZN2at6native12_GLOBAL__N_125multi_tensor_apply_kernelINS1_18TensorListMetadataILi2EEENS1_11CopyFunctorIblLi2ELi1ELi1EEEJNS0_4CopyIblEEEEEvT_T0_DpT1_.kd
    .uniform_work_group_size: 1
    .uses_dynamic_stack: false
    .vgpr_count:     36
    .vgpr_spill_count: 0
    .wavefront_size: 32
    .workgroup_processor_mode: 1
  - .args:
      - .offset:         0
        .size:           3144
        .value_kind:     by_value
      - .offset:         3144
        .size:           1
        .value_kind:     by_value
      - .offset:         3145
        .size:           1
        .value_kind:     by_value
      - .offset:         3152
        .size:           4
        .value_kind:     hidden_block_count_x
      - .offset:         3156
        .size:           4
        .value_kind:     hidden_block_count_y
      - .offset:         3160
        .size:           4
        .value_kind:     hidden_block_count_z
      - .offset:         3164
        .size:           2
        .value_kind:     hidden_group_size_x
      - .offset:         3166
        .size:           2
        .value_kind:     hidden_group_size_y
      - .offset:         3168
        .size:           2
        .value_kind:     hidden_group_size_z
      - .offset:         3170
        .size:           2
        .value_kind:     hidden_remainder_x
      - .offset:         3172
        .size:           2
        .value_kind:     hidden_remainder_y
      - .offset:         3174
        .size:           2
        .value_kind:     hidden_remainder_z
      - .offset:         3192
        .size:           8
        .value_kind:     hidden_global_offset_x
      - .offset:         3200
        .size:           8
        .value_kind:     hidden_global_offset_y
      - .offset:         3208
        .size:           8
        .value_kind:     hidden_global_offset_z
      - .offset:         3216
        .size:           2
        .value_kind:     hidden_grid_dims
    .group_segment_fixed_size: 0
    .kernarg_segment_align: 8
    .kernarg_segment_size: 3408
    .language:       OpenCL C
    .language_version:
      - 2
      - 0
    .max_flat_workgroup_size: 512
    .name:           _ZN2at6native12_GLOBAL__N_125multi_tensor_apply_kernelINS1_18TensorListMetadataILi2EEENS1_11CopyFunctorIbsLi2ELi1ELi1EEEJNS0_4CopyIbsEEEEEvT_T0_DpT1_
    .private_segment_fixed_size: 0
    .sgpr_count:     22
    .sgpr_spill_count: 0
    .symbol:         _ZN2at6native12_GLOBAL__N_125multi_tensor_apply_kernelINS1_18TensorListMetadataILi2EEENS1_11CopyFunctorIbsLi2ELi1ELi1EEEJNS0_4CopyIbsEEEEEvT_T0_DpT1_.kd
    .uniform_work_group_size: 1
    .uses_dynamic_stack: false
    .vgpr_count:     31
    .vgpr_spill_count: 0
    .wavefront_size: 32
    .workgroup_processor_mode: 1
  - .args:
      - .offset:         0
        .size:           3144
        .value_kind:     by_value
      - .offset:         3144
        .size:           1
        .value_kind:     by_value
      - .offset:         3145
        .size:           1
        .value_kind:     by_value
      - .offset:         3152
        .size:           4
        .value_kind:     hidden_block_count_x
      - .offset:         3156
        .size:           4
        .value_kind:     hidden_block_count_y
      - .offset:         3160
        .size:           4
        .value_kind:     hidden_block_count_z
      - .offset:         3164
        .size:           2
        .value_kind:     hidden_group_size_x
      - .offset:         3166
        .size:           2
        .value_kind:     hidden_group_size_y
      - .offset:         3168
        .size:           2
        .value_kind:     hidden_group_size_z
      - .offset:         3170
        .size:           2
        .value_kind:     hidden_remainder_x
      - .offset:         3172
        .size:           2
        .value_kind:     hidden_remainder_y
      - .offset:         3174
        .size:           2
        .value_kind:     hidden_remainder_z
      - .offset:         3192
        .size:           8
        .value_kind:     hidden_global_offset_x
      - .offset:         3200
        .size:           8
        .value_kind:     hidden_global_offset_y
      - .offset:         3208
        .size:           8
        .value_kind:     hidden_global_offset_z
      - .offset:         3216
        .size:           2
        .value_kind:     hidden_grid_dims
    .group_segment_fixed_size: 0
    .kernarg_segment_align: 8
    .kernarg_segment_size: 3408
    .language:       OpenCL C
    .language_version:
      - 2
      - 0
    .max_flat_workgroup_size: 512
    .name:           _ZN2at6native12_GLOBAL__N_125multi_tensor_apply_kernelINS1_18TensorListMetadataILi2EEENS1_11CopyFunctorIbiLi2ELi1ELi1EEEJNS0_4CopyIbiEEEEEvT_T0_DpT1_
    .private_segment_fixed_size: 0
    .sgpr_count:     22
    .sgpr_spill_count: 0
    .symbol:         _ZN2at6native12_GLOBAL__N_125multi_tensor_apply_kernelINS1_18TensorListMetadataILi2EEENS1_11CopyFunctorIbiLi2ELi1ELi1EEEJNS0_4CopyIbiEEEEEvT_T0_DpT1_.kd
    .uniform_work_group_size: 1
    .uses_dynamic_stack: false
    .vgpr_count:     33
    .vgpr_spill_count: 0
    .wavefront_size: 32
    .workgroup_processor_mode: 1
  - .args:
      - .offset:         0
        .size:           3144
        .value_kind:     by_value
      - .offset:         3144
        .size:           1
        .value_kind:     by_value
      - .offset:         3145
        .size:           1
        .value_kind:     by_value
      - .offset:         3152
        .size:           4
        .value_kind:     hidden_block_count_x
      - .offset:         3156
        .size:           4
        .value_kind:     hidden_block_count_y
      - .offset:         3160
        .size:           4
        .value_kind:     hidden_block_count_z
      - .offset:         3164
        .size:           2
        .value_kind:     hidden_group_size_x
      - .offset:         3166
        .size:           2
        .value_kind:     hidden_group_size_y
      - .offset:         3168
        .size:           2
        .value_kind:     hidden_group_size_z
      - .offset:         3170
        .size:           2
        .value_kind:     hidden_remainder_x
      - .offset:         3172
        .size:           2
        .value_kind:     hidden_remainder_y
      - .offset:         3174
        .size:           2
        .value_kind:     hidden_remainder_z
      - .offset:         3192
        .size:           8
        .value_kind:     hidden_global_offset_x
      - .offset:         3200
        .size:           8
        .value_kind:     hidden_global_offset_y
      - .offset:         3208
        .size:           8
        .value_kind:     hidden_global_offset_z
      - .offset:         3216
        .size:           2
        .value_kind:     hidden_grid_dims
    .group_segment_fixed_size: 0
    .kernarg_segment_align: 8
    .kernarg_segment_size: 3408
    .language:       OpenCL C
    .language_version:
      - 2
      - 0
    .max_flat_workgroup_size: 512
    .name:           _ZN2at6native12_GLOBAL__N_125multi_tensor_apply_kernelINS1_18TensorListMetadataILi2EEENS1_11CopyFunctorIbdLi2ELi1ELi1EEEJNS0_4CopyIbdEEEEEvT_T0_DpT1_
    .private_segment_fixed_size: 0
    .sgpr_count:     22
    .sgpr_spill_count: 0
    .symbol:         _ZN2at6native12_GLOBAL__N_125multi_tensor_apply_kernelINS1_18TensorListMetadataILi2EEENS1_11CopyFunctorIbdLi2ELi1ELi1EEEJNS0_4CopyIbdEEEEEvT_T0_DpT1_.kd
    .uniform_work_group_size: 1
    .uses_dynamic_stack: false
    .vgpr_count:     36
    .vgpr_spill_count: 0
    .wavefront_size: 32
    .workgroup_processor_mode: 1
  - .args:
      - .offset:         0
        .size:           3144
        .value_kind:     by_value
      - .offset:         3144
        .size:           1
        .value_kind:     by_value
      - .offset:         3145
        .size:           1
        .value_kind:     by_value
      - .offset:         3152
        .size:           4
        .value_kind:     hidden_block_count_x
      - .offset:         3156
        .size:           4
        .value_kind:     hidden_block_count_y
      - .offset:         3160
        .size:           4
        .value_kind:     hidden_block_count_z
      - .offset:         3164
        .size:           2
        .value_kind:     hidden_group_size_x
      - .offset:         3166
        .size:           2
        .value_kind:     hidden_group_size_y
      - .offset:         3168
        .size:           2
        .value_kind:     hidden_group_size_z
      - .offset:         3170
        .size:           2
        .value_kind:     hidden_remainder_x
      - .offset:         3172
        .size:           2
        .value_kind:     hidden_remainder_y
      - .offset:         3174
        .size:           2
        .value_kind:     hidden_remainder_z
      - .offset:         3192
        .size:           8
        .value_kind:     hidden_global_offset_x
      - .offset:         3200
        .size:           8
        .value_kind:     hidden_global_offset_y
      - .offset:         3208
        .size:           8
        .value_kind:     hidden_global_offset_z
      - .offset:         3216
        .size:           2
        .value_kind:     hidden_grid_dims
    .group_segment_fixed_size: 0
    .kernarg_segment_align: 8
    .kernarg_segment_size: 3408
    .language:       OpenCL C
    .language_version:
      - 2
      - 0
    .max_flat_workgroup_size: 512
    .name:           _ZN2at6native12_GLOBAL__N_125multi_tensor_apply_kernelINS1_18TensorListMetadataILi2EEENS1_11CopyFunctorIbfLi2ELi1ELi1EEEJNS0_4CopyIbfEEEEEvT_T0_DpT1_
    .private_segment_fixed_size: 0
    .sgpr_count:     22
    .sgpr_spill_count: 0
    .symbol:         _ZN2at6native12_GLOBAL__N_125multi_tensor_apply_kernelINS1_18TensorListMetadataILi2EEENS1_11CopyFunctorIbfLi2ELi1ELi1EEEJNS0_4CopyIbfEEEEEvT_T0_DpT1_.kd
    .uniform_work_group_size: 1
    .uses_dynamic_stack: false
    .vgpr_count:     33
    .vgpr_spill_count: 0
    .wavefront_size: 32
    .workgroup_processor_mode: 1
  - .args:
      - .offset:         0
        .size:           3144
        .value_kind:     by_value
      - .offset:         3144
        .size:           1
        .value_kind:     by_value
      - .offset:         3145
        .size:           1
        .value_kind:     by_value
      - .offset:         3152
        .size:           4
        .value_kind:     hidden_block_count_x
      - .offset:         3156
        .size:           4
        .value_kind:     hidden_block_count_y
      - .offset:         3160
        .size:           4
        .value_kind:     hidden_block_count_z
      - .offset:         3164
        .size:           2
        .value_kind:     hidden_group_size_x
      - .offset:         3166
        .size:           2
        .value_kind:     hidden_group_size_y
      - .offset:         3168
        .size:           2
        .value_kind:     hidden_group_size_z
      - .offset:         3170
        .size:           2
        .value_kind:     hidden_remainder_x
      - .offset:         3172
        .size:           2
        .value_kind:     hidden_remainder_y
      - .offset:         3174
        .size:           2
        .value_kind:     hidden_remainder_z
      - .offset:         3192
        .size:           8
        .value_kind:     hidden_global_offset_x
      - .offset:         3200
        .size:           8
        .value_kind:     hidden_global_offset_y
      - .offset:         3208
        .size:           8
        .value_kind:     hidden_global_offset_z
      - .offset:         3216
        .size:           2
        .value_kind:     hidden_grid_dims
    .group_segment_fixed_size: 0
    .kernarg_segment_align: 8
    .kernarg_segment_size: 3408
    .language:       OpenCL C
    .language_version:
      - 2
      - 0
    .max_flat_workgroup_size: 512
    .name:           _ZN2at6native12_GLOBAL__N_125multi_tensor_apply_kernelINS1_18TensorListMetadataILi2EEENS1_11CopyFunctorIbN3c107complexIdEELi2ELi1ELi1EEEJNS0_4CopyIbS8_EEEEEvT_T0_DpT1_
    .private_segment_fixed_size: 0
    .sgpr_count:     22
    .sgpr_spill_count: 0
    .symbol:         _ZN2at6native12_GLOBAL__N_125multi_tensor_apply_kernelINS1_18TensorListMetadataILi2EEENS1_11CopyFunctorIbN3c107complexIdEELi2ELi1ELi1EEEJNS0_4CopyIbS8_EEEEEvT_T0_DpT1_.kd
    .uniform_work_group_size: 1
    .uses_dynamic_stack: false
    .vgpr_count:     36
    .vgpr_spill_count: 0
    .wavefront_size: 32
    .workgroup_processor_mode: 1
  - .args:
      - .offset:         0
        .size:           3144
        .value_kind:     by_value
      - .offset:         3144
        .size:           1
        .value_kind:     by_value
      - .offset:         3145
        .size:           1
        .value_kind:     by_value
      - .offset:         3152
        .size:           4
        .value_kind:     hidden_block_count_x
      - .offset:         3156
        .size:           4
        .value_kind:     hidden_block_count_y
      - .offset:         3160
        .size:           4
        .value_kind:     hidden_block_count_z
      - .offset:         3164
        .size:           2
        .value_kind:     hidden_group_size_x
      - .offset:         3166
        .size:           2
        .value_kind:     hidden_group_size_y
      - .offset:         3168
        .size:           2
        .value_kind:     hidden_group_size_z
      - .offset:         3170
        .size:           2
        .value_kind:     hidden_remainder_x
      - .offset:         3172
        .size:           2
        .value_kind:     hidden_remainder_y
      - .offset:         3174
        .size:           2
        .value_kind:     hidden_remainder_z
      - .offset:         3192
        .size:           8
        .value_kind:     hidden_global_offset_x
      - .offset:         3200
        .size:           8
        .value_kind:     hidden_global_offset_y
      - .offset:         3208
        .size:           8
        .value_kind:     hidden_global_offset_z
      - .offset:         3216
        .size:           2
        .value_kind:     hidden_grid_dims
    .group_segment_fixed_size: 0
    .kernarg_segment_align: 8
    .kernarg_segment_size: 3408
    .language:       OpenCL C
    .language_version:
      - 2
      - 0
    .max_flat_workgroup_size: 512
    .name:           _ZN2at6native12_GLOBAL__N_125multi_tensor_apply_kernelINS1_18TensorListMetadataILi2EEENS1_11CopyFunctorIbN3c107complexIfEELi2ELi1ELi1EEEJNS0_4CopyIbS8_EEEEEvT_T0_DpT1_
    .private_segment_fixed_size: 0
    .sgpr_count:     22
    .sgpr_spill_count: 0
    .symbol:         _ZN2at6native12_GLOBAL__N_125multi_tensor_apply_kernelINS1_18TensorListMetadataILi2EEENS1_11CopyFunctorIbN3c107complexIfEELi2ELi1ELi1EEEJNS0_4CopyIbS8_EEEEEvT_T0_DpT1_.kd
    .uniform_work_group_size: 1
    .uses_dynamic_stack: false
    .vgpr_count:     33
    .vgpr_spill_count: 0
    .wavefront_size: 32
    .workgroup_processor_mode: 1
  - .args:
      - .offset:         0
        .size:           3144
        .value_kind:     by_value
      - .offset:         3144
        .size:           1
        .value_kind:     by_value
      - .offset:         3145
        .size:           1
        .value_kind:     by_value
      - .offset:         3152
        .size:           4
        .value_kind:     hidden_block_count_x
      - .offset:         3156
        .size:           4
        .value_kind:     hidden_block_count_y
      - .offset:         3160
        .size:           4
        .value_kind:     hidden_block_count_z
      - .offset:         3164
        .size:           2
        .value_kind:     hidden_group_size_x
      - .offset:         3166
        .size:           2
        .value_kind:     hidden_group_size_y
      - .offset:         3168
        .size:           2
        .value_kind:     hidden_group_size_z
      - .offset:         3170
        .size:           2
        .value_kind:     hidden_remainder_x
      - .offset:         3172
        .size:           2
        .value_kind:     hidden_remainder_y
      - .offset:         3174
        .size:           2
        .value_kind:     hidden_remainder_z
      - .offset:         3192
        .size:           8
        .value_kind:     hidden_global_offset_x
      - .offset:         3200
        .size:           8
        .value_kind:     hidden_global_offset_y
      - .offset:         3208
        .size:           8
        .value_kind:     hidden_global_offset_z
      - .offset:         3216
        .size:           2
        .value_kind:     hidden_grid_dims
    .group_segment_fixed_size: 0
    .kernarg_segment_align: 8
    .kernarg_segment_size: 3408
    .language:       OpenCL C
    .language_version:
      - 2
      - 0
    .max_flat_workgroup_size: 512
    .name:           _ZN2at6native12_GLOBAL__N_125multi_tensor_apply_kernelINS1_18TensorListMetadataILi2EEENS1_11CopyFunctorIbN3c104HalfELi2ELi1ELi1EEEJNS0_4CopyIbS7_EEEEEvT_T0_DpT1_
    .private_segment_fixed_size: 0
    .sgpr_count:     22
    .sgpr_spill_count: 0
    .symbol:         _ZN2at6native12_GLOBAL__N_125multi_tensor_apply_kernelINS1_18TensorListMetadataILi2EEENS1_11CopyFunctorIbN3c104HalfELi2ELi1ELi1EEEJNS0_4CopyIbS7_EEEEEvT_T0_DpT1_.kd
    .uniform_work_group_size: 1
    .uses_dynamic_stack: false
    .vgpr_count:     33
    .vgpr_spill_count: 0
    .wavefront_size: 32
    .workgroup_processor_mode: 1
  - .args:
      - .offset:         0
        .size:           3144
        .value_kind:     by_value
      - .offset:         3144
        .size:           1
        .value_kind:     by_value
      - .offset:         3145
        .size:           1
        .value_kind:     by_value
      - .offset:         3152
        .size:           4
        .value_kind:     hidden_block_count_x
      - .offset:         3156
        .size:           4
        .value_kind:     hidden_block_count_y
      - .offset:         3160
        .size:           4
        .value_kind:     hidden_block_count_z
      - .offset:         3164
        .size:           2
        .value_kind:     hidden_group_size_x
      - .offset:         3166
        .size:           2
        .value_kind:     hidden_group_size_y
      - .offset:         3168
        .size:           2
        .value_kind:     hidden_group_size_z
      - .offset:         3170
        .size:           2
        .value_kind:     hidden_remainder_x
      - .offset:         3172
        .size:           2
        .value_kind:     hidden_remainder_y
      - .offset:         3174
        .size:           2
        .value_kind:     hidden_remainder_z
      - .offset:         3192
        .size:           8
        .value_kind:     hidden_global_offset_x
      - .offset:         3200
        .size:           8
        .value_kind:     hidden_global_offset_y
      - .offset:         3208
        .size:           8
        .value_kind:     hidden_global_offset_z
      - .offset:         3216
        .size:           2
        .value_kind:     hidden_grid_dims
    .group_segment_fixed_size: 0
    .kernarg_segment_align: 8
    .kernarg_segment_size: 3408
    .language:       OpenCL C
    .language_version:
      - 2
      - 0
    .max_flat_workgroup_size: 512
    .name:           _ZN2at6native12_GLOBAL__N_125multi_tensor_apply_kernelINS1_18TensorListMetadataILi2EEENS1_11CopyFunctorIbN3c108BFloat16ELi2ELi1ELi1EEEJNS0_4CopyIbS7_EEEEEvT_T0_DpT1_
    .private_segment_fixed_size: 0
    .sgpr_count:     22
    .sgpr_spill_count: 0
    .symbol:         _ZN2at6native12_GLOBAL__N_125multi_tensor_apply_kernelINS1_18TensorListMetadataILi2EEENS1_11CopyFunctorIbN3c108BFloat16ELi2ELi1ELi1EEEJNS0_4CopyIbS7_EEEEEvT_T0_DpT1_.kd
    .uniform_work_group_size: 1
    .uses_dynamic_stack: false
    .vgpr_count:     33
    .vgpr_spill_count: 0
    .wavefront_size: 32
    .workgroup_processor_mode: 1
  - .args:
      - .offset:         0
        .size:           3144
        .value_kind:     by_value
      - .offset:         3144
        .size:           1
        .value_kind:     by_value
      - .offset:         3145
        .size:           1
        .value_kind:     by_value
      - .offset:         3152
        .size:           4
        .value_kind:     hidden_block_count_x
      - .offset:         3156
        .size:           4
        .value_kind:     hidden_block_count_y
      - .offset:         3160
        .size:           4
        .value_kind:     hidden_block_count_z
      - .offset:         3164
        .size:           2
        .value_kind:     hidden_group_size_x
      - .offset:         3166
        .size:           2
        .value_kind:     hidden_group_size_y
      - .offset:         3168
        .size:           2
        .value_kind:     hidden_group_size_z
      - .offset:         3170
        .size:           2
        .value_kind:     hidden_remainder_x
      - .offset:         3172
        .size:           2
        .value_kind:     hidden_remainder_y
      - .offset:         3174
        .size:           2
        .value_kind:     hidden_remainder_z
      - .offset:         3192
        .size:           8
        .value_kind:     hidden_global_offset_x
      - .offset:         3200
        .size:           8
        .value_kind:     hidden_global_offset_y
      - .offset:         3208
        .size:           8
        .value_kind:     hidden_global_offset_z
      - .offset:         3216
        .size:           2
        .value_kind:     hidden_grid_dims
    .group_segment_fixed_size: 0
    .kernarg_segment_align: 8
    .kernarg_segment_size: 3408
    .language:       OpenCL C
    .language_version:
      - 2
      - 0
    .max_flat_workgroup_size: 512
    .name:           _ZN2at6native12_GLOBAL__N_125multi_tensor_apply_kernelINS1_18TensorListMetadataILi2EEENS1_14UnaryOpFunctorIbLi2ELi1ELi1EEEJNS0_4CopyIbbEEEEEvT_T0_DpT1_
    .private_segment_fixed_size: 0
    .sgpr_count:     20
    .sgpr_spill_count: 0
    .symbol:         _ZN2at6native12_GLOBAL__N_125multi_tensor_apply_kernelINS1_18TensorListMetadataILi2EEENS1_14UnaryOpFunctorIbLi2ELi1ELi1EEEJNS0_4CopyIbbEEEEEvT_T0_DpT1_.kd
    .uniform_work_group_size: 1
    .uses_dynamic_stack: false
    .vgpr_count:     29
    .vgpr_spill_count: 0
    .wavefront_size: 32
    .workgroup_processor_mode: 1
  - .args:
      - .offset:         0
        .size:           3144
        .value_kind:     by_value
      - .offset:         3144
        .size:           1
        .value_kind:     by_value
      - .offset:         3145
        .size:           1
        .value_kind:     by_value
      - .offset:         3152
        .size:           4
        .value_kind:     hidden_block_count_x
      - .offset:         3156
        .size:           4
        .value_kind:     hidden_block_count_y
      - .offset:         3160
        .size:           4
        .value_kind:     hidden_block_count_z
      - .offset:         3164
        .size:           2
        .value_kind:     hidden_group_size_x
      - .offset:         3166
        .size:           2
        .value_kind:     hidden_group_size_y
      - .offset:         3168
        .size:           2
        .value_kind:     hidden_group_size_z
      - .offset:         3170
        .size:           2
        .value_kind:     hidden_remainder_x
      - .offset:         3172
        .size:           2
        .value_kind:     hidden_remainder_y
      - .offset:         3174
        .size:           2
        .value_kind:     hidden_remainder_z
      - .offset:         3192
        .size:           8
        .value_kind:     hidden_global_offset_x
      - .offset:         3200
        .size:           8
        .value_kind:     hidden_global_offset_y
      - .offset:         3208
        .size:           8
        .value_kind:     hidden_global_offset_z
      - .offset:         3216
        .size:           2
        .value_kind:     hidden_grid_dims
    .group_segment_fixed_size: 0
    .kernarg_segment_align: 8
    .kernarg_segment_size: 3408
    .language:       OpenCL C
    .language_version:
      - 2
      - 0
    .max_flat_workgroup_size: 512
    .name:           _ZN2at6native12_GLOBAL__N_125multi_tensor_apply_kernelINS1_18TensorListMetadataILi2EEENS1_11CopyFunctorIbN3c1013Float8_e4m3fnELi2ELi1ELi1EEEJNS0_4CopyIbS7_EEEEEvT_T0_DpT1_
    .private_segment_fixed_size: 0
    .sgpr_count:     27
    .sgpr_spill_count: 0
    .symbol:         _ZN2at6native12_GLOBAL__N_125multi_tensor_apply_kernelINS1_18TensorListMetadataILi2EEENS1_11CopyFunctorIbN3c1013Float8_e4m3fnELi2ELi1ELi1EEEJNS0_4CopyIbS7_EEEEEvT_T0_DpT1_.kd
    .uniform_work_group_size: 1
    .uses_dynamic_stack: false
    .vgpr_count:     37
    .vgpr_spill_count: 0
    .wavefront_size: 32
    .workgroup_processor_mode: 1
  - .args:
      - .offset:         0
        .size:           3144
        .value_kind:     by_value
      - .offset:         3144
        .size:           1
        .value_kind:     by_value
      - .offset:         3145
        .size:           1
        .value_kind:     by_value
      - .offset:         3152
        .size:           4
        .value_kind:     hidden_block_count_x
      - .offset:         3156
        .size:           4
        .value_kind:     hidden_block_count_y
      - .offset:         3160
        .size:           4
        .value_kind:     hidden_block_count_z
      - .offset:         3164
        .size:           2
        .value_kind:     hidden_group_size_x
      - .offset:         3166
        .size:           2
        .value_kind:     hidden_group_size_y
      - .offset:         3168
        .size:           2
        .value_kind:     hidden_group_size_z
      - .offset:         3170
        .size:           2
        .value_kind:     hidden_remainder_x
      - .offset:         3172
        .size:           2
        .value_kind:     hidden_remainder_y
      - .offset:         3174
        .size:           2
        .value_kind:     hidden_remainder_z
      - .offset:         3192
        .size:           8
        .value_kind:     hidden_global_offset_x
      - .offset:         3200
        .size:           8
        .value_kind:     hidden_global_offset_y
      - .offset:         3208
        .size:           8
        .value_kind:     hidden_global_offset_z
      - .offset:         3216
        .size:           2
        .value_kind:     hidden_grid_dims
    .group_segment_fixed_size: 0
    .kernarg_segment_align: 8
    .kernarg_segment_size: 3408
    .language:       OpenCL C
    .language_version:
      - 2
      - 0
    .max_flat_workgroup_size: 512
    .name:           _ZN2at6native12_GLOBAL__N_125multi_tensor_apply_kernelINS1_18TensorListMetadataILi2EEENS1_11CopyFunctorIbN3c1015Float8_e4m3fnuzELi2ELi1ELi1EEEJNS0_4CopyIbS7_EEEEEvT_T0_DpT1_
    .private_segment_fixed_size: 0
    .sgpr_count:     26
    .sgpr_spill_count: 0
    .symbol:         _ZN2at6native12_GLOBAL__N_125multi_tensor_apply_kernelINS1_18TensorListMetadataILi2EEENS1_11CopyFunctorIbN3c1015Float8_e4m3fnuzELi2ELi1ELi1EEEJNS0_4CopyIbS7_EEEEEvT_T0_DpT1_.kd
    .uniform_work_group_size: 1
    .uses_dynamic_stack: false
    .vgpr_count:     39
    .vgpr_spill_count: 0
    .wavefront_size: 32
    .workgroup_processor_mode: 1
  - .args:
      - .offset:         0
        .size:           3144
        .value_kind:     by_value
      - .offset:         3144
        .size:           1
        .value_kind:     by_value
      - .offset:         3145
        .size:           1
        .value_kind:     by_value
      - .offset:         3152
        .size:           4
        .value_kind:     hidden_block_count_x
      - .offset:         3156
        .size:           4
        .value_kind:     hidden_block_count_y
      - .offset:         3160
        .size:           4
        .value_kind:     hidden_block_count_z
      - .offset:         3164
        .size:           2
        .value_kind:     hidden_group_size_x
      - .offset:         3166
        .size:           2
        .value_kind:     hidden_group_size_y
      - .offset:         3168
        .size:           2
        .value_kind:     hidden_group_size_z
      - .offset:         3170
        .size:           2
        .value_kind:     hidden_remainder_x
      - .offset:         3172
        .size:           2
        .value_kind:     hidden_remainder_y
      - .offset:         3174
        .size:           2
        .value_kind:     hidden_remainder_z
      - .offset:         3192
        .size:           8
        .value_kind:     hidden_global_offset_x
      - .offset:         3200
        .size:           8
        .value_kind:     hidden_global_offset_y
      - .offset:         3208
        .size:           8
        .value_kind:     hidden_global_offset_z
      - .offset:         3216
        .size:           2
        .value_kind:     hidden_grid_dims
    .group_segment_fixed_size: 0
    .kernarg_segment_align: 8
    .kernarg_segment_size: 3408
    .language:       OpenCL C
    .language_version:
      - 2
      - 0
    .max_flat_workgroup_size: 512
    .name:           _ZN2at6native12_GLOBAL__N_125multi_tensor_apply_kernelINS1_18TensorListMetadataILi2EEENS1_11CopyFunctorIbN3c1011Float8_e5m2ELi2ELi1ELi1EEEJNS0_4CopyIbS7_EEEEEvT_T0_DpT1_
    .private_segment_fixed_size: 0
    .sgpr_count:     22
    .sgpr_spill_count: 0
    .symbol:         _ZN2at6native12_GLOBAL__N_125multi_tensor_apply_kernelINS1_18TensorListMetadataILi2EEENS1_11CopyFunctorIbN3c1011Float8_e5m2ELi2ELi1ELi1EEEJNS0_4CopyIbS7_EEEEEvT_T0_DpT1_.kd
    .uniform_work_group_size: 1
    .uses_dynamic_stack: false
    .vgpr_count:     37
    .vgpr_spill_count: 0
    .wavefront_size: 32
    .workgroup_processor_mode: 1
  - .args:
      - .offset:         0
        .size:           3144
        .value_kind:     by_value
      - .offset:         3144
        .size:           1
        .value_kind:     by_value
      - .offset:         3145
        .size:           1
        .value_kind:     by_value
      - .offset:         3152
        .size:           4
        .value_kind:     hidden_block_count_x
      - .offset:         3156
        .size:           4
        .value_kind:     hidden_block_count_y
      - .offset:         3160
        .size:           4
        .value_kind:     hidden_block_count_z
      - .offset:         3164
        .size:           2
        .value_kind:     hidden_group_size_x
      - .offset:         3166
        .size:           2
        .value_kind:     hidden_group_size_y
      - .offset:         3168
        .size:           2
        .value_kind:     hidden_group_size_z
      - .offset:         3170
        .size:           2
        .value_kind:     hidden_remainder_x
      - .offset:         3172
        .size:           2
        .value_kind:     hidden_remainder_y
      - .offset:         3174
        .size:           2
        .value_kind:     hidden_remainder_z
      - .offset:         3192
        .size:           8
        .value_kind:     hidden_global_offset_x
      - .offset:         3200
        .size:           8
        .value_kind:     hidden_global_offset_y
      - .offset:         3208
        .size:           8
        .value_kind:     hidden_global_offset_z
      - .offset:         3216
        .size:           2
        .value_kind:     hidden_grid_dims
    .group_segment_fixed_size: 0
    .kernarg_segment_align: 8
    .kernarg_segment_size: 3408
    .language:       OpenCL C
    .language_version:
      - 2
      - 0
    .max_flat_workgroup_size: 512
    .name:           _ZN2at6native12_GLOBAL__N_125multi_tensor_apply_kernelINS1_18TensorListMetadataILi2EEENS1_11CopyFunctorIbN3c1015Float8_e5m2fnuzELi2ELi1ELi1EEEJNS0_4CopyIbS7_EEEEEvT_T0_DpT1_
    .private_segment_fixed_size: 0
    .sgpr_count:     26
    .sgpr_spill_count: 0
    .symbol:         _ZN2at6native12_GLOBAL__N_125multi_tensor_apply_kernelINS1_18TensorListMetadataILi2EEENS1_11CopyFunctorIbN3c1015Float8_e5m2fnuzELi2ELi1ELi1EEEJNS0_4CopyIbS7_EEEEEvT_T0_DpT1_.kd
    .uniform_work_group_size: 1
    .uses_dynamic_stack: false
    .vgpr_count:     39
    .vgpr_spill_count: 0
    .wavefront_size: 32
    .workgroup_processor_mode: 1
  - .args:
      - .offset:         0
        .size:           3144
        .value_kind:     by_value
      - .offset:         3144
        .size:           1
        .value_kind:     by_value
      - .offset:         3145
        .size:           1
        .value_kind:     by_value
      - .offset:         3152
        .size:           4
        .value_kind:     hidden_block_count_x
      - .offset:         3156
        .size:           4
        .value_kind:     hidden_block_count_y
      - .offset:         3160
        .size:           4
        .value_kind:     hidden_block_count_z
      - .offset:         3164
        .size:           2
        .value_kind:     hidden_group_size_x
      - .offset:         3166
        .size:           2
        .value_kind:     hidden_group_size_y
      - .offset:         3168
        .size:           2
        .value_kind:     hidden_group_size_z
      - .offset:         3170
        .size:           2
        .value_kind:     hidden_remainder_x
      - .offset:         3172
        .size:           2
        .value_kind:     hidden_remainder_y
      - .offset:         3174
        .size:           2
        .value_kind:     hidden_remainder_z
      - .offset:         3192
        .size:           8
        .value_kind:     hidden_global_offset_x
      - .offset:         3200
        .size:           8
        .value_kind:     hidden_global_offset_y
      - .offset:         3208
        .size:           8
        .value_kind:     hidden_global_offset_z
      - .offset:         3216
        .size:           2
        .value_kind:     hidden_grid_dims
    .group_segment_fixed_size: 0
    .kernarg_segment_align: 8
    .kernarg_segment_size: 3408
    .language:       OpenCL C
    .language_version:
      - 2
      - 0
    .max_flat_workgroup_size: 512
    .name:           _ZN2at6native12_GLOBAL__N_125multi_tensor_apply_kernelINS1_18TensorListMetadataILi2EEENS1_11CopyFunctorIN3c1013Float8_e4m3fnEhLi2ELi1ELi1EEEJNS0_4CopyIS7_hEEEEEvT_T0_DpT1_
    .private_segment_fixed_size: 0
    .sgpr_count:     21
    .sgpr_spill_count: 0
    .symbol:         _ZN2at6native12_GLOBAL__N_125multi_tensor_apply_kernelINS1_18TensorListMetadataILi2EEENS1_11CopyFunctorIN3c1013Float8_e4m3fnEhLi2ELi1ELi1EEEJNS0_4CopyIS7_hEEEEEvT_T0_DpT1_.kd
    .uniform_work_group_size: 1
    .uses_dynamic_stack: false
    .vgpr_count:     41
    .vgpr_spill_count: 0
    .wavefront_size: 32
    .workgroup_processor_mode: 1
  - .args:
      - .offset:         0
        .size:           3144
        .value_kind:     by_value
      - .offset:         3144
        .size:           1
        .value_kind:     by_value
      - .offset:         3145
        .size:           1
        .value_kind:     by_value
      - .offset:         3152
        .size:           4
        .value_kind:     hidden_block_count_x
      - .offset:         3156
        .size:           4
        .value_kind:     hidden_block_count_y
      - .offset:         3160
        .size:           4
        .value_kind:     hidden_block_count_z
      - .offset:         3164
        .size:           2
        .value_kind:     hidden_group_size_x
      - .offset:         3166
        .size:           2
        .value_kind:     hidden_group_size_y
      - .offset:         3168
        .size:           2
        .value_kind:     hidden_group_size_z
      - .offset:         3170
        .size:           2
        .value_kind:     hidden_remainder_x
      - .offset:         3172
        .size:           2
        .value_kind:     hidden_remainder_y
      - .offset:         3174
        .size:           2
        .value_kind:     hidden_remainder_z
      - .offset:         3192
        .size:           8
        .value_kind:     hidden_global_offset_x
      - .offset:         3200
        .size:           8
        .value_kind:     hidden_global_offset_y
      - .offset:         3208
        .size:           8
        .value_kind:     hidden_global_offset_z
      - .offset:         3216
        .size:           2
        .value_kind:     hidden_grid_dims
    .group_segment_fixed_size: 0
    .kernarg_segment_align: 8
    .kernarg_segment_size: 3408
    .language:       OpenCL C
    .language_version:
      - 2
      - 0
    .max_flat_workgroup_size: 512
    .name:           _ZN2at6native12_GLOBAL__N_125multi_tensor_apply_kernelINS1_18TensorListMetadataILi2EEENS1_11CopyFunctorIN3c1013Float8_e4m3fnEaLi2ELi1ELi1EEEJNS0_4CopyIS7_aEEEEEvT_T0_DpT1_
    .private_segment_fixed_size: 0
    .sgpr_count:     21
    .sgpr_spill_count: 0
    .symbol:         _ZN2at6native12_GLOBAL__N_125multi_tensor_apply_kernelINS1_18TensorListMetadataILi2EEENS1_11CopyFunctorIN3c1013Float8_e4m3fnEaLi2ELi1ELi1EEEJNS0_4CopyIS7_aEEEEEvT_T0_DpT1_.kd
    .uniform_work_group_size: 1
    .uses_dynamic_stack: false
    .vgpr_count:     45
    .vgpr_spill_count: 0
    .wavefront_size: 32
    .workgroup_processor_mode: 1
  - .args:
      - .offset:         0
        .size:           3144
        .value_kind:     by_value
      - .offset:         3144
        .size:           1
        .value_kind:     by_value
      - .offset:         3145
        .size:           1
        .value_kind:     by_value
      - .offset:         3152
        .size:           4
        .value_kind:     hidden_block_count_x
      - .offset:         3156
        .size:           4
        .value_kind:     hidden_block_count_y
      - .offset:         3160
        .size:           4
        .value_kind:     hidden_block_count_z
      - .offset:         3164
        .size:           2
        .value_kind:     hidden_group_size_x
      - .offset:         3166
        .size:           2
        .value_kind:     hidden_group_size_y
      - .offset:         3168
        .size:           2
        .value_kind:     hidden_group_size_z
      - .offset:         3170
        .size:           2
        .value_kind:     hidden_remainder_x
      - .offset:         3172
        .size:           2
        .value_kind:     hidden_remainder_y
      - .offset:         3174
        .size:           2
        .value_kind:     hidden_remainder_z
      - .offset:         3192
        .size:           8
        .value_kind:     hidden_global_offset_x
      - .offset:         3200
        .size:           8
        .value_kind:     hidden_global_offset_y
      - .offset:         3208
        .size:           8
        .value_kind:     hidden_global_offset_z
      - .offset:         3216
        .size:           2
        .value_kind:     hidden_grid_dims
    .group_segment_fixed_size: 0
    .kernarg_segment_align: 8
    .kernarg_segment_size: 3408
    .language:       OpenCL C
    .language_version:
      - 2
      - 0
    .max_flat_workgroup_size: 512
    .name:           _ZN2at6native12_GLOBAL__N_125multi_tensor_apply_kernelINS1_18TensorListMetadataILi2EEENS1_11CopyFunctorIN3c1013Float8_e4m3fnElLi2ELi1ELi1EEEJNS0_4CopyIS7_lEEEEEvT_T0_DpT1_
    .private_segment_fixed_size: 0
    .sgpr_count:     22
    .sgpr_spill_count: 0
    .symbol:         _ZN2at6native12_GLOBAL__N_125multi_tensor_apply_kernelINS1_18TensorListMetadataILi2EEENS1_11CopyFunctorIN3c1013Float8_e4m3fnElLi2ELi1ELi1EEEJNS0_4CopyIS7_lEEEEEvT_T0_DpT1_.kd
    .uniform_work_group_size: 1
    .uses_dynamic_stack: false
    .vgpr_count:     45
    .vgpr_spill_count: 0
    .wavefront_size: 32
    .workgroup_processor_mode: 1
  - .args:
      - .offset:         0
        .size:           3144
        .value_kind:     by_value
      - .offset:         3144
        .size:           1
        .value_kind:     by_value
      - .offset:         3145
        .size:           1
        .value_kind:     by_value
      - .offset:         3152
        .size:           4
        .value_kind:     hidden_block_count_x
      - .offset:         3156
        .size:           4
        .value_kind:     hidden_block_count_y
      - .offset:         3160
        .size:           4
        .value_kind:     hidden_block_count_z
      - .offset:         3164
        .size:           2
        .value_kind:     hidden_group_size_x
      - .offset:         3166
        .size:           2
        .value_kind:     hidden_group_size_y
      - .offset:         3168
        .size:           2
        .value_kind:     hidden_group_size_z
      - .offset:         3170
        .size:           2
        .value_kind:     hidden_remainder_x
      - .offset:         3172
        .size:           2
        .value_kind:     hidden_remainder_y
      - .offset:         3174
        .size:           2
        .value_kind:     hidden_remainder_z
      - .offset:         3192
        .size:           8
        .value_kind:     hidden_global_offset_x
      - .offset:         3200
        .size:           8
        .value_kind:     hidden_global_offset_y
      - .offset:         3208
        .size:           8
        .value_kind:     hidden_global_offset_z
      - .offset:         3216
        .size:           2
        .value_kind:     hidden_grid_dims
    .group_segment_fixed_size: 0
    .kernarg_segment_align: 8
    .kernarg_segment_size: 3408
    .language:       OpenCL C
    .language_version:
      - 2
      - 0
    .max_flat_workgroup_size: 512
    .name:           _ZN2at6native12_GLOBAL__N_125multi_tensor_apply_kernelINS1_18TensorListMetadataILi2EEENS1_11CopyFunctorIN3c1013Float8_e4m3fnEsLi2ELi1ELi1EEEJNS0_4CopyIS7_sEEEEEvT_T0_DpT1_
    .private_segment_fixed_size: 0
    .sgpr_count:     22
    .sgpr_spill_count: 0
    .symbol:         _ZN2at6native12_GLOBAL__N_125multi_tensor_apply_kernelINS1_18TensorListMetadataILi2EEENS1_11CopyFunctorIN3c1013Float8_e4m3fnEsLi2ELi1ELi1EEEJNS0_4CopyIS7_sEEEEEvT_T0_DpT1_.kd
    .uniform_work_group_size: 1
    .uses_dynamic_stack: false
    .vgpr_count:     39
    .vgpr_spill_count: 0
    .wavefront_size: 32
    .workgroup_processor_mode: 1
  - .args:
      - .offset:         0
        .size:           3144
        .value_kind:     by_value
      - .offset:         3144
        .size:           1
        .value_kind:     by_value
      - .offset:         3145
        .size:           1
        .value_kind:     by_value
      - .offset:         3152
        .size:           4
        .value_kind:     hidden_block_count_x
      - .offset:         3156
        .size:           4
        .value_kind:     hidden_block_count_y
      - .offset:         3160
        .size:           4
        .value_kind:     hidden_block_count_z
      - .offset:         3164
        .size:           2
        .value_kind:     hidden_group_size_x
      - .offset:         3166
        .size:           2
        .value_kind:     hidden_group_size_y
      - .offset:         3168
        .size:           2
        .value_kind:     hidden_group_size_z
      - .offset:         3170
        .size:           2
        .value_kind:     hidden_remainder_x
      - .offset:         3172
        .size:           2
        .value_kind:     hidden_remainder_y
      - .offset:         3174
        .size:           2
        .value_kind:     hidden_remainder_z
      - .offset:         3192
        .size:           8
        .value_kind:     hidden_global_offset_x
      - .offset:         3200
        .size:           8
        .value_kind:     hidden_global_offset_y
      - .offset:         3208
        .size:           8
        .value_kind:     hidden_global_offset_z
      - .offset:         3216
        .size:           2
        .value_kind:     hidden_grid_dims
    .group_segment_fixed_size: 0
    .kernarg_segment_align: 8
    .kernarg_segment_size: 3408
    .language:       OpenCL C
    .language_version:
      - 2
      - 0
    .max_flat_workgroup_size: 512
    .name:           _ZN2at6native12_GLOBAL__N_125multi_tensor_apply_kernelINS1_18TensorListMetadataILi2EEENS1_11CopyFunctorIN3c1013Float8_e4m3fnEiLi2ELi1ELi1EEEJNS0_4CopyIS7_iEEEEEvT_T0_DpT1_
    .private_segment_fixed_size: 0
    .sgpr_count:     22
    .sgpr_spill_count: 0
    .symbol:         _ZN2at6native12_GLOBAL__N_125multi_tensor_apply_kernelINS1_18TensorListMetadataILi2EEENS1_11CopyFunctorIN3c1013Float8_e4m3fnEiLi2ELi1ELi1EEEJNS0_4CopyIS7_iEEEEEvT_T0_DpT1_.kd
    .uniform_work_group_size: 1
    .uses_dynamic_stack: false
    .vgpr_count:     41
    .vgpr_spill_count: 0
    .wavefront_size: 32
    .workgroup_processor_mode: 1
  - .args:
      - .offset:         0
        .size:           3144
        .value_kind:     by_value
      - .offset:         3144
        .size:           1
        .value_kind:     by_value
      - .offset:         3145
        .size:           1
        .value_kind:     by_value
      - .offset:         3152
        .size:           4
        .value_kind:     hidden_block_count_x
      - .offset:         3156
        .size:           4
        .value_kind:     hidden_block_count_y
      - .offset:         3160
        .size:           4
        .value_kind:     hidden_block_count_z
      - .offset:         3164
        .size:           2
        .value_kind:     hidden_group_size_x
      - .offset:         3166
        .size:           2
        .value_kind:     hidden_group_size_y
      - .offset:         3168
        .size:           2
        .value_kind:     hidden_group_size_z
      - .offset:         3170
        .size:           2
        .value_kind:     hidden_remainder_x
      - .offset:         3172
        .size:           2
        .value_kind:     hidden_remainder_y
      - .offset:         3174
        .size:           2
        .value_kind:     hidden_remainder_z
      - .offset:         3192
        .size:           8
        .value_kind:     hidden_global_offset_x
      - .offset:         3200
        .size:           8
        .value_kind:     hidden_global_offset_y
      - .offset:         3208
        .size:           8
        .value_kind:     hidden_global_offset_z
      - .offset:         3216
        .size:           2
        .value_kind:     hidden_grid_dims
    .group_segment_fixed_size: 0
    .kernarg_segment_align: 8
    .kernarg_segment_size: 3408
    .language:       OpenCL C
    .language_version:
      - 2
      - 0
    .max_flat_workgroup_size: 512
    .name:           _ZN2at6native12_GLOBAL__N_125multi_tensor_apply_kernelINS1_18TensorListMetadataILi2EEENS1_11CopyFunctorIN3c1013Float8_e4m3fnEdLi2ELi1ELi1EEEJNS0_4CopyIS7_dEEEEEvT_T0_DpT1_
    .private_segment_fixed_size: 0
    .sgpr_count:     22
    .sgpr_spill_count: 0
    .symbol:         _ZN2at6native12_GLOBAL__N_125multi_tensor_apply_kernelINS1_18TensorListMetadataILi2EEENS1_11CopyFunctorIN3c1013Float8_e4m3fnEdLi2ELi1ELi1EEEJNS0_4CopyIS7_dEEEEEvT_T0_DpT1_.kd
    .uniform_work_group_size: 1
    .uses_dynamic_stack: false
    .vgpr_count:     45
    .vgpr_spill_count: 0
    .wavefront_size: 32
    .workgroup_processor_mode: 1
  - .args:
      - .offset:         0
        .size:           3144
        .value_kind:     by_value
      - .offset:         3144
        .size:           1
        .value_kind:     by_value
      - .offset:         3145
        .size:           1
        .value_kind:     by_value
      - .offset:         3152
        .size:           4
        .value_kind:     hidden_block_count_x
      - .offset:         3156
        .size:           4
        .value_kind:     hidden_block_count_y
      - .offset:         3160
        .size:           4
        .value_kind:     hidden_block_count_z
      - .offset:         3164
        .size:           2
        .value_kind:     hidden_group_size_x
      - .offset:         3166
        .size:           2
        .value_kind:     hidden_group_size_y
      - .offset:         3168
        .size:           2
        .value_kind:     hidden_group_size_z
      - .offset:         3170
        .size:           2
        .value_kind:     hidden_remainder_x
      - .offset:         3172
        .size:           2
        .value_kind:     hidden_remainder_y
      - .offset:         3174
        .size:           2
        .value_kind:     hidden_remainder_z
      - .offset:         3192
        .size:           8
        .value_kind:     hidden_global_offset_x
      - .offset:         3200
        .size:           8
        .value_kind:     hidden_global_offset_y
      - .offset:         3208
        .size:           8
        .value_kind:     hidden_global_offset_z
      - .offset:         3216
        .size:           2
        .value_kind:     hidden_grid_dims
    .group_segment_fixed_size: 0
    .kernarg_segment_align: 8
    .kernarg_segment_size: 3408
    .language:       OpenCL C
    .language_version:
      - 2
      - 0
    .max_flat_workgroup_size: 512
    .name:           _ZN2at6native12_GLOBAL__N_125multi_tensor_apply_kernelINS1_18TensorListMetadataILi2EEENS1_11CopyFunctorIN3c1013Float8_e4m3fnEfLi2ELi1ELi1EEEJNS0_4CopyIS7_fEEEEEvT_T0_DpT1_
    .private_segment_fixed_size: 0
    .sgpr_count:     22
    .sgpr_spill_count: 0
    .symbol:         _ZN2at6native12_GLOBAL__N_125multi_tensor_apply_kernelINS1_18TensorListMetadataILi2EEENS1_11CopyFunctorIN3c1013Float8_e4m3fnEfLi2ELi1ELi1EEEJNS0_4CopyIS7_fEEEEEvT_T0_DpT1_.kd
    .uniform_work_group_size: 1
    .uses_dynamic_stack: false
    .vgpr_count:     37
    .vgpr_spill_count: 0
    .wavefront_size: 32
    .workgroup_processor_mode: 1
  - .args:
      - .offset:         0
        .size:           3144
        .value_kind:     by_value
      - .offset:         3144
        .size:           1
        .value_kind:     by_value
      - .offset:         3145
        .size:           1
        .value_kind:     by_value
      - .offset:         3152
        .size:           4
        .value_kind:     hidden_block_count_x
      - .offset:         3156
        .size:           4
        .value_kind:     hidden_block_count_y
      - .offset:         3160
        .size:           4
        .value_kind:     hidden_block_count_z
      - .offset:         3164
        .size:           2
        .value_kind:     hidden_group_size_x
      - .offset:         3166
        .size:           2
        .value_kind:     hidden_group_size_y
      - .offset:         3168
        .size:           2
        .value_kind:     hidden_group_size_z
      - .offset:         3170
        .size:           2
        .value_kind:     hidden_remainder_x
      - .offset:         3172
        .size:           2
        .value_kind:     hidden_remainder_y
      - .offset:         3174
        .size:           2
        .value_kind:     hidden_remainder_z
      - .offset:         3192
        .size:           8
        .value_kind:     hidden_global_offset_x
      - .offset:         3200
        .size:           8
        .value_kind:     hidden_global_offset_y
      - .offset:         3208
        .size:           8
        .value_kind:     hidden_global_offset_z
      - .offset:         3216
        .size:           2
        .value_kind:     hidden_grid_dims
    .group_segment_fixed_size: 0
    .kernarg_segment_align: 8
    .kernarg_segment_size: 3408
    .language:       OpenCL C
    .language_version:
      - 2
      - 0
    .max_flat_workgroup_size: 512
    .name:           _ZN2at6native12_GLOBAL__N_125multi_tensor_apply_kernelINS1_18TensorListMetadataILi2EEENS1_11CopyFunctorIN3c1013Float8_e4m3fnENS6_7complexIdEELi2ELi1ELi1EEEJNS0_4CopyIS7_S9_EEEEEvT_T0_DpT1_
    .private_segment_fixed_size: 0
    .sgpr_count:     22
    .sgpr_spill_count: 0
    .symbol:         _ZN2at6native12_GLOBAL__N_125multi_tensor_apply_kernelINS1_18TensorListMetadataILi2EEENS1_11CopyFunctorIN3c1013Float8_e4m3fnENS6_7complexIdEELi2ELi1ELi1EEEJNS0_4CopyIS7_S9_EEEEEvT_T0_DpT1_.kd
    .uniform_work_group_size: 1
    .uses_dynamic_stack: false
    .vgpr_count:     45
    .vgpr_spill_count: 0
    .wavefront_size: 32
    .workgroup_processor_mode: 1
  - .args:
      - .offset:         0
        .size:           3144
        .value_kind:     by_value
      - .offset:         3144
        .size:           1
        .value_kind:     by_value
      - .offset:         3145
        .size:           1
        .value_kind:     by_value
      - .offset:         3152
        .size:           4
        .value_kind:     hidden_block_count_x
      - .offset:         3156
        .size:           4
        .value_kind:     hidden_block_count_y
      - .offset:         3160
        .size:           4
        .value_kind:     hidden_block_count_z
      - .offset:         3164
        .size:           2
        .value_kind:     hidden_group_size_x
      - .offset:         3166
        .size:           2
        .value_kind:     hidden_group_size_y
      - .offset:         3168
        .size:           2
        .value_kind:     hidden_group_size_z
      - .offset:         3170
        .size:           2
        .value_kind:     hidden_remainder_x
      - .offset:         3172
        .size:           2
        .value_kind:     hidden_remainder_y
      - .offset:         3174
        .size:           2
        .value_kind:     hidden_remainder_z
      - .offset:         3192
        .size:           8
        .value_kind:     hidden_global_offset_x
      - .offset:         3200
        .size:           8
        .value_kind:     hidden_global_offset_y
      - .offset:         3208
        .size:           8
        .value_kind:     hidden_global_offset_z
      - .offset:         3216
        .size:           2
        .value_kind:     hidden_grid_dims
    .group_segment_fixed_size: 0
    .kernarg_segment_align: 8
    .kernarg_segment_size: 3408
    .language:       OpenCL C
    .language_version:
      - 2
      - 0
    .max_flat_workgroup_size: 512
    .name:           _ZN2at6native12_GLOBAL__N_125multi_tensor_apply_kernelINS1_18TensorListMetadataILi2EEENS1_11CopyFunctorIN3c1013Float8_e4m3fnENS6_7complexIfEELi2ELi1ELi1EEEJNS0_4CopyIS7_S9_EEEEEvT_T0_DpT1_
    .private_segment_fixed_size: 0
    .sgpr_count:     22
    .sgpr_spill_count: 0
    .symbol:         _ZN2at6native12_GLOBAL__N_125multi_tensor_apply_kernelINS1_18TensorListMetadataILi2EEENS1_11CopyFunctorIN3c1013Float8_e4m3fnENS6_7complexIfEELi2ELi1ELi1EEEJNS0_4CopyIS7_S9_EEEEEvT_T0_DpT1_.kd
    .uniform_work_group_size: 1
    .uses_dynamic_stack: false
    .vgpr_count:     37
    .vgpr_spill_count: 0
    .wavefront_size: 32
    .workgroup_processor_mode: 1
  - .args:
      - .offset:         0
        .size:           3144
        .value_kind:     by_value
      - .offset:         3144
        .size:           1
        .value_kind:     by_value
      - .offset:         3145
        .size:           1
        .value_kind:     by_value
      - .offset:         3152
        .size:           4
        .value_kind:     hidden_block_count_x
      - .offset:         3156
        .size:           4
        .value_kind:     hidden_block_count_y
      - .offset:         3160
        .size:           4
        .value_kind:     hidden_block_count_z
      - .offset:         3164
        .size:           2
        .value_kind:     hidden_group_size_x
      - .offset:         3166
        .size:           2
        .value_kind:     hidden_group_size_y
      - .offset:         3168
        .size:           2
        .value_kind:     hidden_group_size_z
      - .offset:         3170
        .size:           2
        .value_kind:     hidden_remainder_x
      - .offset:         3172
        .size:           2
        .value_kind:     hidden_remainder_y
      - .offset:         3174
        .size:           2
        .value_kind:     hidden_remainder_z
      - .offset:         3192
        .size:           8
        .value_kind:     hidden_global_offset_x
      - .offset:         3200
        .size:           8
        .value_kind:     hidden_global_offset_y
      - .offset:         3208
        .size:           8
        .value_kind:     hidden_global_offset_z
      - .offset:         3216
        .size:           2
        .value_kind:     hidden_grid_dims
    .group_segment_fixed_size: 0
    .kernarg_segment_align: 8
    .kernarg_segment_size: 3408
    .language:       OpenCL C
    .language_version:
      - 2
      - 0
    .max_flat_workgroup_size: 512
    .name:           _ZN2at6native12_GLOBAL__N_125multi_tensor_apply_kernelINS1_18TensorListMetadataILi2EEENS1_11CopyFunctorIN3c1013Float8_e4m3fnENS6_4HalfELi2ELi1ELi1EEEJNS0_4CopyIS7_S8_EEEEEvT_T0_DpT1_
    .private_segment_fixed_size: 0
    .sgpr_count:     22
    .sgpr_spill_count: 0
    .symbol:         _ZN2at6native12_GLOBAL__N_125multi_tensor_apply_kernelINS1_18TensorListMetadataILi2EEENS1_11CopyFunctorIN3c1013Float8_e4m3fnENS6_4HalfELi2ELi1ELi1EEEJNS0_4CopyIS7_S8_EEEEEvT_T0_DpT1_.kd
    .uniform_work_group_size: 1
    .uses_dynamic_stack: false
    .vgpr_count:     41
    .vgpr_spill_count: 0
    .wavefront_size: 32
    .workgroup_processor_mode: 1
  - .args:
      - .offset:         0
        .size:           3144
        .value_kind:     by_value
      - .offset:         3144
        .size:           1
        .value_kind:     by_value
      - .offset:         3145
        .size:           1
        .value_kind:     by_value
      - .offset:         3152
        .size:           4
        .value_kind:     hidden_block_count_x
      - .offset:         3156
        .size:           4
        .value_kind:     hidden_block_count_y
      - .offset:         3160
        .size:           4
        .value_kind:     hidden_block_count_z
      - .offset:         3164
        .size:           2
        .value_kind:     hidden_group_size_x
      - .offset:         3166
        .size:           2
        .value_kind:     hidden_group_size_y
      - .offset:         3168
        .size:           2
        .value_kind:     hidden_group_size_z
      - .offset:         3170
        .size:           2
        .value_kind:     hidden_remainder_x
      - .offset:         3172
        .size:           2
        .value_kind:     hidden_remainder_y
      - .offset:         3174
        .size:           2
        .value_kind:     hidden_remainder_z
      - .offset:         3192
        .size:           8
        .value_kind:     hidden_global_offset_x
      - .offset:         3200
        .size:           8
        .value_kind:     hidden_global_offset_y
      - .offset:         3208
        .size:           8
        .value_kind:     hidden_global_offset_z
      - .offset:         3216
        .size:           2
        .value_kind:     hidden_grid_dims
    .group_segment_fixed_size: 0
    .kernarg_segment_align: 8
    .kernarg_segment_size: 3408
    .language:       OpenCL C
    .language_version:
      - 2
      - 0
    .max_flat_workgroup_size: 512
    .name:           _ZN2at6native12_GLOBAL__N_125multi_tensor_apply_kernelINS1_18TensorListMetadataILi2EEENS1_11CopyFunctorIN3c1013Float8_e4m3fnENS6_8BFloat16ELi2ELi1ELi1EEEJNS0_4CopyIS7_S8_EEEEEvT_T0_DpT1_
    .private_segment_fixed_size: 0
    .sgpr_count:     22
    .sgpr_spill_count: 0
    .symbol:         _ZN2at6native12_GLOBAL__N_125multi_tensor_apply_kernelINS1_18TensorListMetadataILi2EEENS1_11CopyFunctorIN3c1013Float8_e4m3fnENS6_8BFloat16ELi2ELi1ELi1EEEJNS0_4CopyIS7_S8_EEEEEvT_T0_DpT1_.kd
    .uniform_work_group_size: 1
    .uses_dynamic_stack: false
    .vgpr_count:     42
    .vgpr_spill_count: 0
    .wavefront_size: 32
    .workgroup_processor_mode: 1
  - .args:
      - .offset:         0
        .size:           3144
        .value_kind:     by_value
      - .offset:         3144
        .size:           1
        .value_kind:     by_value
      - .offset:         3145
        .size:           1
        .value_kind:     by_value
      - .offset:         3152
        .size:           4
        .value_kind:     hidden_block_count_x
      - .offset:         3156
        .size:           4
        .value_kind:     hidden_block_count_y
      - .offset:         3160
        .size:           4
        .value_kind:     hidden_block_count_z
      - .offset:         3164
        .size:           2
        .value_kind:     hidden_group_size_x
      - .offset:         3166
        .size:           2
        .value_kind:     hidden_group_size_y
      - .offset:         3168
        .size:           2
        .value_kind:     hidden_group_size_z
      - .offset:         3170
        .size:           2
        .value_kind:     hidden_remainder_x
      - .offset:         3172
        .size:           2
        .value_kind:     hidden_remainder_y
      - .offset:         3174
        .size:           2
        .value_kind:     hidden_remainder_z
      - .offset:         3192
        .size:           8
        .value_kind:     hidden_global_offset_x
      - .offset:         3200
        .size:           8
        .value_kind:     hidden_global_offset_y
      - .offset:         3208
        .size:           8
        .value_kind:     hidden_global_offset_z
      - .offset:         3216
        .size:           2
        .value_kind:     hidden_grid_dims
    .group_segment_fixed_size: 0
    .kernarg_segment_align: 8
    .kernarg_segment_size: 3408
    .language:       OpenCL C
    .language_version:
      - 2
      - 0
    .max_flat_workgroup_size: 512
    .name:           _ZN2at6native12_GLOBAL__N_125multi_tensor_apply_kernelINS1_18TensorListMetadataILi2EEENS1_11CopyFunctorIN3c1013Float8_e4m3fnEbLi2ELi1ELi1EEEJNS0_4CopyIS7_bEEEEEvT_T0_DpT1_
    .private_segment_fixed_size: 0
    .sgpr_count:     24
    .sgpr_spill_count: 0
    .symbol:         _ZN2at6native12_GLOBAL__N_125multi_tensor_apply_kernelINS1_18TensorListMetadataILi2EEENS1_11CopyFunctorIN3c1013Float8_e4m3fnEbLi2ELi1ELi1EEEJNS0_4CopyIS7_bEEEEEvT_T0_DpT1_.kd
    .uniform_work_group_size: 1
    .uses_dynamic_stack: false
    .vgpr_count:     41
    .vgpr_spill_count: 0
    .wavefront_size: 32
    .workgroup_processor_mode: 1
  - .args:
      - .offset:         0
        .size:           3144
        .value_kind:     by_value
      - .offset:         3144
        .size:           1
        .value_kind:     by_value
      - .offset:         3145
        .size:           1
        .value_kind:     by_value
      - .offset:         3152
        .size:           4
        .value_kind:     hidden_block_count_x
      - .offset:         3156
        .size:           4
        .value_kind:     hidden_block_count_y
      - .offset:         3160
        .size:           4
        .value_kind:     hidden_block_count_z
      - .offset:         3164
        .size:           2
        .value_kind:     hidden_group_size_x
      - .offset:         3166
        .size:           2
        .value_kind:     hidden_group_size_y
      - .offset:         3168
        .size:           2
        .value_kind:     hidden_group_size_z
      - .offset:         3170
        .size:           2
        .value_kind:     hidden_remainder_x
      - .offset:         3172
        .size:           2
        .value_kind:     hidden_remainder_y
      - .offset:         3174
        .size:           2
        .value_kind:     hidden_remainder_z
      - .offset:         3192
        .size:           8
        .value_kind:     hidden_global_offset_x
      - .offset:         3200
        .size:           8
        .value_kind:     hidden_global_offset_y
      - .offset:         3208
        .size:           8
        .value_kind:     hidden_global_offset_z
      - .offset:         3216
        .size:           2
        .value_kind:     hidden_grid_dims
    .group_segment_fixed_size: 0
    .kernarg_segment_align: 8
    .kernarg_segment_size: 3408
    .language:       OpenCL C
    .language_version:
      - 2
      - 0
    .max_flat_workgroup_size: 512
    .name:           _ZN2at6native12_GLOBAL__N_125multi_tensor_apply_kernelINS1_18TensorListMetadataILi2EEENS1_14UnaryOpFunctorIN3c1013Float8_e4m3fnELi2ELi1ELi1EEEJNS0_4CopyIS7_S7_EEEEEvT_T0_DpT1_
    .private_segment_fixed_size: 0
    .sgpr_count:     21
    .sgpr_spill_count: 0
    .symbol:         _ZN2at6native12_GLOBAL__N_125multi_tensor_apply_kernelINS1_18TensorListMetadataILi2EEENS1_14UnaryOpFunctorIN3c1013Float8_e4m3fnELi2ELi1ELi1EEEJNS0_4CopyIS7_S7_EEEEEvT_T0_DpT1_.kd
    .uniform_work_group_size: 1
    .uses_dynamic_stack: false
    .vgpr_count:     35
    .vgpr_spill_count: 0
    .wavefront_size: 32
    .workgroup_processor_mode: 1
  - .args:
      - .offset:         0
        .size:           3144
        .value_kind:     by_value
      - .offset:         3144
        .size:           1
        .value_kind:     by_value
      - .offset:         3145
        .size:           1
        .value_kind:     by_value
      - .offset:         3152
        .size:           4
        .value_kind:     hidden_block_count_x
      - .offset:         3156
        .size:           4
        .value_kind:     hidden_block_count_y
      - .offset:         3160
        .size:           4
        .value_kind:     hidden_block_count_z
      - .offset:         3164
        .size:           2
        .value_kind:     hidden_group_size_x
      - .offset:         3166
        .size:           2
        .value_kind:     hidden_group_size_y
      - .offset:         3168
        .size:           2
        .value_kind:     hidden_group_size_z
      - .offset:         3170
        .size:           2
        .value_kind:     hidden_remainder_x
      - .offset:         3172
        .size:           2
        .value_kind:     hidden_remainder_y
      - .offset:         3174
        .size:           2
        .value_kind:     hidden_remainder_z
      - .offset:         3192
        .size:           8
        .value_kind:     hidden_global_offset_x
      - .offset:         3200
        .size:           8
        .value_kind:     hidden_global_offset_y
      - .offset:         3208
        .size:           8
        .value_kind:     hidden_global_offset_z
      - .offset:         3216
        .size:           2
        .value_kind:     hidden_grid_dims
    .group_segment_fixed_size: 0
    .kernarg_segment_align: 8
    .kernarg_segment_size: 3408
    .language:       OpenCL C
    .language_version:
      - 2
      - 0
    .max_flat_workgroup_size: 512
    .name:           _ZN2at6native12_GLOBAL__N_125multi_tensor_apply_kernelINS1_18TensorListMetadataILi2EEENS1_11CopyFunctorIN3c1013Float8_e4m3fnENS6_15Float8_e4m3fnuzELi2ELi1ELi1EEEJNS0_4CopyIS7_S8_EEEEEvT_T0_DpT1_
    .private_segment_fixed_size: 0
    .sgpr_count:     23
    .sgpr_spill_count: 0
    .symbol:         _ZN2at6native12_GLOBAL__N_125multi_tensor_apply_kernelINS1_18TensorListMetadataILi2EEENS1_11CopyFunctorIN3c1013Float8_e4m3fnENS6_15Float8_e4m3fnuzELi2ELi1ELi1EEEJNS0_4CopyIS7_S8_EEEEEvT_T0_DpT1_.kd
    .uniform_work_group_size: 1
    .uses_dynamic_stack: false
    .vgpr_count:     47
    .vgpr_spill_count: 0
    .wavefront_size: 32
    .workgroup_processor_mode: 1
  - .args:
      - .offset:         0
        .size:           3144
        .value_kind:     by_value
      - .offset:         3144
        .size:           1
        .value_kind:     by_value
      - .offset:         3145
        .size:           1
        .value_kind:     by_value
      - .offset:         3152
        .size:           4
        .value_kind:     hidden_block_count_x
      - .offset:         3156
        .size:           4
        .value_kind:     hidden_block_count_y
      - .offset:         3160
        .size:           4
        .value_kind:     hidden_block_count_z
      - .offset:         3164
        .size:           2
        .value_kind:     hidden_group_size_x
      - .offset:         3166
        .size:           2
        .value_kind:     hidden_group_size_y
      - .offset:         3168
        .size:           2
        .value_kind:     hidden_group_size_z
      - .offset:         3170
        .size:           2
        .value_kind:     hidden_remainder_x
      - .offset:         3172
        .size:           2
        .value_kind:     hidden_remainder_y
      - .offset:         3174
        .size:           2
        .value_kind:     hidden_remainder_z
      - .offset:         3192
        .size:           8
        .value_kind:     hidden_global_offset_x
      - .offset:         3200
        .size:           8
        .value_kind:     hidden_global_offset_y
      - .offset:         3208
        .size:           8
        .value_kind:     hidden_global_offset_z
      - .offset:         3216
        .size:           2
        .value_kind:     hidden_grid_dims
    .group_segment_fixed_size: 0
    .kernarg_segment_align: 8
    .kernarg_segment_size: 3408
    .language:       OpenCL C
    .language_version:
      - 2
      - 0
    .max_flat_workgroup_size: 512
    .name:           _ZN2at6native12_GLOBAL__N_125multi_tensor_apply_kernelINS1_18TensorListMetadataILi2EEENS1_11CopyFunctorIN3c1013Float8_e4m3fnENS6_11Float8_e5m2ELi2ELi1ELi1EEEJNS0_4CopyIS7_S8_EEEEEvT_T0_DpT1_
    .private_segment_fixed_size: 0
    .sgpr_count:     22
    .sgpr_spill_count: 0
    .symbol:         _ZN2at6native12_GLOBAL__N_125multi_tensor_apply_kernelINS1_18TensorListMetadataILi2EEENS1_11CopyFunctorIN3c1013Float8_e4m3fnENS6_11Float8_e5m2ELi2ELi1ELi1EEEJNS0_4CopyIS7_S8_EEEEEvT_T0_DpT1_.kd
    .uniform_work_group_size: 1
    .uses_dynamic_stack: false
    .vgpr_count:     46
    .vgpr_spill_count: 0
    .wavefront_size: 32
    .workgroup_processor_mode: 1
  - .args:
      - .offset:         0
        .size:           3144
        .value_kind:     by_value
      - .offset:         3144
        .size:           1
        .value_kind:     by_value
      - .offset:         3145
        .size:           1
        .value_kind:     by_value
      - .offset:         3152
        .size:           4
        .value_kind:     hidden_block_count_x
      - .offset:         3156
        .size:           4
        .value_kind:     hidden_block_count_y
      - .offset:         3160
        .size:           4
        .value_kind:     hidden_block_count_z
      - .offset:         3164
        .size:           2
        .value_kind:     hidden_group_size_x
      - .offset:         3166
        .size:           2
        .value_kind:     hidden_group_size_y
      - .offset:         3168
        .size:           2
        .value_kind:     hidden_group_size_z
      - .offset:         3170
        .size:           2
        .value_kind:     hidden_remainder_x
      - .offset:         3172
        .size:           2
        .value_kind:     hidden_remainder_y
      - .offset:         3174
        .size:           2
        .value_kind:     hidden_remainder_z
      - .offset:         3192
        .size:           8
        .value_kind:     hidden_global_offset_x
      - .offset:         3200
        .size:           8
        .value_kind:     hidden_global_offset_y
      - .offset:         3208
        .size:           8
        .value_kind:     hidden_global_offset_z
      - .offset:         3216
        .size:           2
        .value_kind:     hidden_grid_dims
    .group_segment_fixed_size: 0
    .kernarg_segment_align: 8
    .kernarg_segment_size: 3408
    .language:       OpenCL C
    .language_version:
      - 2
      - 0
    .max_flat_workgroup_size: 512
    .name:           _ZN2at6native12_GLOBAL__N_125multi_tensor_apply_kernelINS1_18TensorListMetadataILi2EEENS1_11CopyFunctorIN3c1013Float8_e4m3fnENS6_15Float8_e5m2fnuzELi2ELi1ELi1EEEJNS0_4CopyIS7_S8_EEEEEvT_T0_DpT1_
    .private_segment_fixed_size: 0
    .sgpr_count:     23
    .sgpr_spill_count: 0
    .symbol:         _ZN2at6native12_GLOBAL__N_125multi_tensor_apply_kernelINS1_18TensorListMetadataILi2EEENS1_11CopyFunctorIN3c1013Float8_e4m3fnENS6_15Float8_e5m2fnuzELi2ELi1ELi1EEEJNS0_4CopyIS7_S8_EEEEEvT_T0_DpT1_.kd
    .uniform_work_group_size: 1
    .uses_dynamic_stack: false
    .vgpr_count:     47
    .vgpr_spill_count: 0
    .wavefront_size: 32
    .workgroup_processor_mode: 1
  - .args:
      - .offset:         0
        .size:           3144
        .value_kind:     by_value
      - .offset:         3144
        .size:           1
        .value_kind:     by_value
      - .offset:         3145
        .size:           1
        .value_kind:     by_value
      - .offset:         3152
        .size:           4
        .value_kind:     hidden_block_count_x
      - .offset:         3156
        .size:           4
        .value_kind:     hidden_block_count_y
      - .offset:         3160
        .size:           4
        .value_kind:     hidden_block_count_z
      - .offset:         3164
        .size:           2
        .value_kind:     hidden_group_size_x
      - .offset:         3166
        .size:           2
        .value_kind:     hidden_group_size_y
      - .offset:         3168
        .size:           2
        .value_kind:     hidden_group_size_z
      - .offset:         3170
        .size:           2
        .value_kind:     hidden_remainder_x
      - .offset:         3172
        .size:           2
        .value_kind:     hidden_remainder_y
      - .offset:         3174
        .size:           2
        .value_kind:     hidden_remainder_z
      - .offset:         3192
        .size:           8
        .value_kind:     hidden_global_offset_x
      - .offset:         3200
        .size:           8
        .value_kind:     hidden_global_offset_y
      - .offset:         3208
        .size:           8
        .value_kind:     hidden_global_offset_z
      - .offset:         3216
        .size:           2
        .value_kind:     hidden_grid_dims
    .group_segment_fixed_size: 0
    .kernarg_segment_align: 8
    .kernarg_segment_size: 3408
    .language:       OpenCL C
    .language_version:
      - 2
      - 0
    .max_flat_workgroup_size: 512
    .name:           _ZN2at6native12_GLOBAL__N_125multi_tensor_apply_kernelINS1_18TensorListMetadataILi2EEENS1_11CopyFunctorIN3c1015Float8_e4m3fnuzEhLi2ELi1ELi1EEEJNS0_4CopyIS7_hEEEEEvT_T0_DpT1_
    .private_segment_fixed_size: 0
    .sgpr_count:     21
    .sgpr_spill_count: 0
    .symbol:         _ZN2at6native12_GLOBAL__N_125multi_tensor_apply_kernelINS1_18TensorListMetadataILi2EEENS1_11CopyFunctorIN3c1015Float8_e4m3fnuzEhLi2ELi1ELi1EEEJNS0_4CopyIS7_hEEEEEvT_T0_DpT1_.kd
    .uniform_work_group_size: 1
    .uses_dynamic_stack: false
    .vgpr_count:     41
    .vgpr_spill_count: 0
    .wavefront_size: 32
    .workgroup_processor_mode: 1
  - .args:
      - .offset:         0
        .size:           3144
        .value_kind:     by_value
      - .offset:         3144
        .size:           1
        .value_kind:     by_value
      - .offset:         3145
        .size:           1
        .value_kind:     by_value
      - .offset:         3152
        .size:           4
        .value_kind:     hidden_block_count_x
      - .offset:         3156
        .size:           4
        .value_kind:     hidden_block_count_y
      - .offset:         3160
        .size:           4
        .value_kind:     hidden_block_count_z
      - .offset:         3164
        .size:           2
        .value_kind:     hidden_group_size_x
      - .offset:         3166
        .size:           2
        .value_kind:     hidden_group_size_y
      - .offset:         3168
        .size:           2
        .value_kind:     hidden_group_size_z
      - .offset:         3170
        .size:           2
        .value_kind:     hidden_remainder_x
      - .offset:         3172
        .size:           2
        .value_kind:     hidden_remainder_y
      - .offset:         3174
        .size:           2
        .value_kind:     hidden_remainder_z
      - .offset:         3192
        .size:           8
        .value_kind:     hidden_global_offset_x
      - .offset:         3200
        .size:           8
        .value_kind:     hidden_global_offset_y
      - .offset:         3208
        .size:           8
        .value_kind:     hidden_global_offset_z
      - .offset:         3216
        .size:           2
        .value_kind:     hidden_grid_dims
    .group_segment_fixed_size: 0
    .kernarg_segment_align: 8
    .kernarg_segment_size: 3408
    .language:       OpenCL C
    .language_version:
      - 2
      - 0
    .max_flat_workgroup_size: 512
    .name:           _ZN2at6native12_GLOBAL__N_125multi_tensor_apply_kernelINS1_18TensorListMetadataILi2EEENS1_11CopyFunctorIN3c1015Float8_e4m3fnuzEaLi2ELi1ELi1EEEJNS0_4CopyIS7_aEEEEEvT_T0_DpT1_
    .private_segment_fixed_size: 0
    .sgpr_count:     24
    .sgpr_spill_count: 0
    .symbol:         _ZN2at6native12_GLOBAL__N_125multi_tensor_apply_kernelINS1_18TensorListMetadataILi2EEENS1_11CopyFunctorIN3c1015Float8_e4m3fnuzEaLi2ELi1ELi1EEEJNS0_4CopyIS7_aEEEEEvT_T0_DpT1_.kd
    .uniform_work_group_size: 1
    .uses_dynamic_stack: false
    .vgpr_count:     41
    .vgpr_spill_count: 0
    .wavefront_size: 32
    .workgroup_processor_mode: 1
  - .args:
      - .offset:         0
        .size:           3144
        .value_kind:     by_value
      - .offset:         3144
        .size:           1
        .value_kind:     by_value
      - .offset:         3145
        .size:           1
        .value_kind:     by_value
      - .offset:         3152
        .size:           4
        .value_kind:     hidden_block_count_x
      - .offset:         3156
        .size:           4
        .value_kind:     hidden_block_count_y
      - .offset:         3160
        .size:           4
        .value_kind:     hidden_block_count_z
      - .offset:         3164
        .size:           2
        .value_kind:     hidden_group_size_x
      - .offset:         3166
        .size:           2
        .value_kind:     hidden_group_size_y
      - .offset:         3168
        .size:           2
        .value_kind:     hidden_group_size_z
      - .offset:         3170
        .size:           2
        .value_kind:     hidden_remainder_x
      - .offset:         3172
        .size:           2
        .value_kind:     hidden_remainder_y
      - .offset:         3174
        .size:           2
        .value_kind:     hidden_remainder_z
      - .offset:         3192
        .size:           8
        .value_kind:     hidden_global_offset_x
      - .offset:         3200
        .size:           8
        .value_kind:     hidden_global_offset_y
      - .offset:         3208
        .size:           8
        .value_kind:     hidden_global_offset_z
      - .offset:         3216
        .size:           2
        .value_kind:     hidden_grid_dims
    .group_segment_fixed_size: 0
    .kernarg_segment_align: 8
    .kernarg_segment_size: 3408
    .language:       OpenCL C
    .language_version:
      - 2
      - 0
    .max_flat_workgroup_size: 512
    .name:           _ZN2at6native12_GLOBAL__N_125multi_tensor_apply_kernelINS1_18TensorListMetadataILi2EEENS1_11CopyFunctorIN3c1015Float8_e4m3fnuzElLi2ELi1ELi1EEEJNS0_4CopyIS7_lEEEEEvT_T0_DpT1_
    .private_segment_fixed_size: 0
    .sgpr_count:     25
    .sgpr_spill_count: 0
    .symbol:         _ZN2at6native12_GLOBAL__N_125multi_tensor_apply_kernelINS1_18TensorListMetadataILi2EEENS1_11CopyFunctorIN3c1015Float8_e4m3fnuzElLi2ELi1ELi1EEEJNS0_4CopyIS7_lEEEEEvT_T0_DpT1_.kd
    .uniform_work_group_size: 1
    .uses_dynamic_stack: false
    .vgpr_count:     42
    .vgpr_spill_count: 0
    .wavefront_size: 32
    .workgroup_processor_mode: 1
  - .args:
      - .offset:         0
        .size:           3144
        .value_kind:     by_value
      - .offset:         3144
        .size:           1
        .value_kind:     by_value
      - .offset:         3145
        .size:           1
        .value_kind:     by_value
      - .offset:         3152
        .size:           4
        .value_kind:     hidden_block_count_x
      - .offset:         3156
        .size:           4
        .value_kind:     hidden_block_count_y
      - .offset:         3160
        .size:           4
        .value_kind:     hidden_block_count_z
      - .offset:         3164
        .size:           2
        .value_kind:     hidden_group_size_x
      - .offset:         3166
        .size:           2
        .value_kind:     hidden_group_size_y
      - .offset:         3168
        .size:           2
        .value_kind:     hidden_group_size_z
      - .offset:         3170
        .size:           2
        .value_kind:     hidden_remainder_x
      - .offset:         3172
        .size:           2
        .value_kind:     hidden_remainder_y
      - .offset:         3174
        .size:           2
        .value_kind:     hidden_remainder_z
      - .offset:         3192
        .size:           8
        .value_kind:     hidden_global_offset_x
      - .offset:         3200
        .size:           8
        .value_kind:     hidden_global_offset_y
      - .offset:         3208
        .size:           8
        .value_kind:     hidden_global_offset_z
      - .offset:         3216
        .size:           2
        .value_kind:     hidden_grid_dims
    .group_segment_fixed_size: 0
    .kernarg_segment_align: 8
    .kernarg_segment_size: 3408
    .language:       OpenCL C
    .language_version:
      - 2
      - 0
    .max_flat_workgroup_size: 512
    .name:           _ZN2at6native12_GLOBAL__N_125multi_tensor_apply_kernelINS1_18TensorListMetadataILi2EEENS1_11CopyFunctorIN3c1015Float8_e4m3fnuzEsLi2ELi1ELi1EEEJNS0_4CopyIS7_sEEEEEvT_T0_DpT1_
    .private_segment_fixed_size: 0
    .sgpr_count:     25
    .sgpr_spill_count: 0
    .symbol:         _ZN2at6native12_GLOBAL__N_125multi_tensor_apply_kernelINS1_18TensorListMetadataILi2EEENS1_11CopyFunctorIN3c1015Float8_e4m3fnuzEsLi2ELi1ELi1EEEJNS0_4CopyIS7_sEEEEEvT_T0_DpT1_.kd
    .uniform_work_group_size: 1
    .uses_dynamic_stack: false
    .vgpr_count:     35
    .vgpr_spill_count: 0
    .wavefront_size: 32
    .workgroup_processor_mode: 1
  - .args:
      - .offset:         0
        .size:           3144
        .value_kind:     by_value
      - .offset:         3144
        .size:           1
        .value_kind:     by_value
      - .offset:         3145
        .size:           1
        .value_kind:     by_value
      - .offset:         3152
        .size:           4
        .value_kind:     hidden_block_count_x
      - .offset:         3156
        .size:           4
        .value_kind:     hidden_block_count_y
      - .offset:         3160
        .size:           4
        .value_kind:     hidden_block_count_z
      - .offset:         3164
        .size:           2
        .value_kind:     hidden_group_size_x
      - .offset:         3166
        .size:           2
        .value_kind:     hidden_group_size_y
      - .offset:         3168
        .size:           2
        .value_kind:     hidden_group_size_z
      - .offset:         3170
        .size:           2
        .value_kind:     hidden_remainder_x
      - .offset:         3172
        .size:           2
        .value_kind:     hidden_remainder_y
      - .offset:         3174
        .size:           2
        .value_kind:     hidden_remainder_z
      - .offset:         3192
        .size:           8
        .value_kind:     hidden_global_offset_x
      - .offset:         3200
        .size:           8
        .value_kind:     hidden_global_offset_y
      - .offset:         3208
        .size:           8
        .value_kind:     hidden_global_offset_z
      - .offset:         3216
        .size:           2
        .value_kind:     hidden_grid_dims
    .group_segment_fixed_size: 0
    .kernarg_segment_align: 8
    .kernarg_segment_size: 3408
    .language:       OpenCL C
    .language_version:
      - 2
      - 0
    .max_flat_workgroup_size: 512
    .name:           _ZN2at6native12_GLOBAL__N_125multi_tensor_apply_kernelINS1_18TensorListMetadataILi2EEENS1_11CopyFunctorIN3c1015Float8_e4m3fnuzEiLi2ELi1ELi1EEEJNS0_4CopyIS7_iEEEEEvT_T0_DpT1_
    .private_segment_fixed_size: 0
    .sgpr_count:     25
    .sgpr_spill_count: 0
    .symbol:         _ZN2at6native12_GLOBAL__N_125multi_tensor_apply_kernelINS1_18TensorListMetadataILi2EEENS1_11CopyFunctorIN3c1015Float8_e4m3fnuzEiLi2ELi1ELi1EEEJNS0_4CopyIS7_iEEEEEvT_T0_DpT1_.kd
    .uniform_work_group_size: 1
    .uses_dynamic_stack: false
    .vgpr_count:     37
    .vgpr_spill_count: 0
    .wavefront_size: 32
    .workgroup_processor_mode: 1
  - .args:
      - .offset:         0
        .size:           3144
        .value_kind:     by_value
      - .offset:         3144
        .size:           1
        .value_kind:     by_value
      - .offset:         3145
        .size:           1
        .value_kind:     by_value
      - .offset:         3152
        .size:           4
        .value_kind:     hidden_block_count_x
      - .offset:         3156
        .size:           4
        .value_kind:     hidden_block_count_y
      - .offset:         3160
        .size:           4
        .value_kind:     hidden_block_count_z
      - .offset:         3164
        .size:           2
        .value_kind:     hidden_group_size_x
      - .offset:         3166
        .size:           2
        .value_kind:     hidden_group_size_y
      - .offset:         3168
        .size:           2
        .value_kind:     hidden_group_size_z
      - .offset:         3170
        .size:           2
        .value_kind:     hidden_remainder_x
      - .offset:         3172
        .size:           2
        .value_kind:     hidden_remainder_y
      - .offset:         3174
        .size:           2
        .value_kind:     hidden_remainder_z
      - .offset:         3192
        .size:           8
        .value_kind:     hidden_global_offset_x
      - .offset:         3200
        .size:           8
        .value_kind:     hidden_global_offset_y
      - .offset:         3208
        .size:           8
        .value_kind:     hidden_global_offset_z
      - .offset:         3216
        .size:           2
        .value_kind:     hidden_grid_dims
    .group_segment_fixed_size: 0
    .kernarg_segment_align: 8
    .kernarg_segment_size: 3408
    .language:       OpenCL C
    .language_version:
      - 2
      - 0
    .max_flat_workgroup_size: 512
    .name:           _ZN2at6native12_GLOBAL__N_125multi_tensor_apply_kernelINS1_18TensorListMetadataILi2EEENS1_11CopyFunctorIN3c1015Float8_e4m3fnuzEdLi2ELi1ELi1EEEJNS0_4CopyIS7_dEEEEEvT_T0_DpT1_
    .private_segment_fixed_size: 0
    .sgpr_count:     25
    .sgpr_spill_count: 0
    .symbol:         _ZN2at6native12_GLOBAL__N_125multi_tensor_apply_kernelINS1_18TensorListMetadataILi2EEENS1_11CopyFunctorIN3c1015Float8_e4m3fnuzEdLi2ELi1ELi1EEEJNS0_4CopyIS7_dEEEEEvT_T0_DpT1_.kd
    .uniform_work_group_size: 1
    .uses_dynamic_stack: false
    .vgpr_count:     41
    .vgpr_spill_count: 0
    .wavefront_size: 32
    .workgroup_processor_mode: 1
  - .args:
      - .offset:         0
        .size:           3144
        .value_kind:     by_value
      - .offset:         3144
        .size:           1
        .value_kind:     by_value
      - .offset:         3145
        .size:           1
        .value_kind:     by_value
      - .offset:         3152
        .size:           4
        .value_kind:     hidden_block_count_x
      - .offset:         3156
        .size:           4
        .value_kind:     hidden_block_count_y
      - .offset:         3160
        .size:           4
        .value_kind:     hidden_block_count_z
      - .offset:         3164
        .size:           2
        .value_kind:     hidden_group_size_x
      - .offset:         3166
        .size:           2
        .value_kind:     hidden_group_size_y
      - .offset:         3168
        .size:           2
        .value_kind:     hidden_group_size_z
      - .offset:         3170
        .size:           2
        .value_kind:     hidden_remainder_x
      - .offset:         3172
        .size:           2
        .value_kind:     hidden_remainder_y
      - .offset:         3174
        .size:           2
        .value_kind:     hidden_remainder_z
      - .offset:         3192
        .size:           8
        .value_kind:     hidden_global_offset_x
      - .offset:         3200
        .size:           8
        .value_kind:     hidden_global_offset_y
      - .offset:         3208
        .size:           8
        .value_kind:     hidden_global_offset_z
      - .offset:         3216
        .size:           2
        .value_kind:     hidden_grid_dims
    .group_segment_fixed_size: 0
    .kernarg_segment_align: 8
    .kernarg_segment_size: 3408
    .language:       OpenCL C
    .language_version:
      - 2
      - 0
    .max_flat_workgroup_size: 512
    .name:           _ZN2at6native12_GLOBAL__N_125multi_tensor_apply_kernelINS1_18TensorListMetadataILi2EEENS1_11CopyFunctorIN3c1015Float8_e4m3fnuzEfLi2ELi1ELi1EEEJNS0_4CopyIS7_fEEEEEvT_T0_DpT1_
    .private_segment_fixed_size: 0
    .sgpr_count:     25
    .sgpr_spill_count: 0
    .symbol:         _ZN2at6native12_GLOBAL__N_125multi_tensor_apply_kernelINS1_18TensorListMetadataILi2EEENS1_11CopyFunctorIN3c1015Float8_e4m3fnuzEfLi2ELi1ELi1EEEJNS0_4CopyIS7_fEEEEEvT_T0_DpT1_.kd
    .uniform_work_group_size: 1
    .uses_dynamic_stack: false
    .vgpr_count:     36
    .vgpr_spill_count: 0
    .wavefront_size: 32
    .workgroup_processor_mode: 1
  - .args:
      - .offset:         0
        .size:           3144
        .value_kind:     by_value
      - .offset:         3144
        .size:           1
        .value_kind:     by_value
      - .offset:         3145
        .size:           1
        .value_kind:     by_value
      - .offset:         3152
        .size:           4
        .value_kind:     hidden_block_count_x
      - .offset:         3156
        .size:           4
        .value_kind:     hidden_block_count_y
      - .offset:         3160
        .size:           4
        .value_kind:     hidden_block_count_z
      - .offset:         3164
        .size:           2
        .value_kind:     hidden_group_size_x
      - .offset:         3166
        .size:           2
        .value_kind:     hidden_group_size_y
      - .offset:         3168
        .size:           2
        .value_kind:     hidden_group_size_z
      - .offset:         3170
        .size:           2
        .value_kind:     hidden_remainder_x
      - .offset:         3172
        .size:           2
        .value_kind:     hidden_remainder_y
      - .offset:         3174
        .size:           2
        .value_kind:     hidden_remainder_z
      - .offset:         3192
        .size:           8
        .value_kind:     hidden_global_offset_x
      - .offset:         3200
        .size:           8
        .value_kind:     hidden_global_offset_y
      - .offset:         3208
        .size:           8
        .value_kind:     hidden_global_offset_z
      - .offset:         3216
        .size:           2
        .value_kind:     hidden_grid_dims
    .group_segment_fixed_size: 0
    .kernarg_segment_align: 8
    .kernarg_segment_size: 3408
    .language:       OpenCL C
    .language_version:
      - 2
      - 0
    .max_flat_workgroup_size: 512
    .name:           _ZN2at6native12_GLOBAL__N_125multi_tensor_apply_kernelINS1_18TensorListMetadataILi2EEENS1_11CopyFunctorIN3c1015Float8_e4m3fnuzENS6_7complexIdEELi2ELi1ELi1EEEJNS0_4CopyIS7_S9_EEEEEvT_T0_DpT1_
    .private_segment_fixed_size: 0
    .sgpr_count:     25
    .sgpr_spill_count: 0
    .symbol:         _ZN2at6native12_GLOBAL__N_125multi_tensor_apply_kernelINS1_18TensorListMetadataILi2EEENS1_11CopyFunctorIN3c1015Float8_e4m3fnuzENS6_7complexIdEELi2ELi1ELi1EEEJNS0_4CopyIS7_S9_EEEEEvT_T0_DpT1_.kd
    .uniform_work_group_size: 1
    .uses_dynamic_stack: false
    .vgpr_count:     41
    .vgpr_spill_count: 0
    .wavefront_size: 32
    .workgroup_processor_mode: 1
  - .args:
      - .offset:         0
        .size:           3144
        .value_kind:     by_value
      - .offset:         3144
        .size:           1
        .value_kind:     by_value
      - .offset:         3145
        .size:           1
        .value_kind:     by_value
      - .offset:         3152
        .size:           4
        .value_kind:     hidden_block_count_x
      - .offset:         3156
        .size:           4
        .value_kind:     hidden_block_count_y
      - .offset:         3160
        .size:           4
        .value_kind:     hidden_block_count_z
      - .offset:         3164
        .size:           2
        .value_kind:     hidden_group_size_x
      - .offset:         3166
        .size:           2
        .value_kind:     hidden_group_size_y
      - .offset:         3168
        .size:           2
        .value_kind:     hidden_group_size_z
      - .offset:         3170
        .size:           2
        .value_kind:     hidden_remainder_x
      - .offset:         3172
        .size:           2
        .value_kind:     hidden_remainder_y
      - .offset:         3174
        .size:           2
        .value_kind:     hidden_remainder_z
      - .offset:         3192
        .size:           8
        .value_kind:     hidden_global_offset_x
      - .offset:         3200
        .size:           8
        .value_kind:     hidden_global_offset_y
      - .offset:         3208
        .size:           8
        .value_kind:     hidden_global_offset_z
      - .offset:         3216
        .size:           2
        .value_kind:     hidden_grid_dims
    .group_segment_fixed_size: 0
    .kernarg_segment_align: 8
    .kernarg_segment_size: 3408
    .language:       OpenCL C
    .language_version:
      - 2
      - 0
    .max_flat_workgroup_size: 512
    .name:           _ZN2at6native12_GLOBAL__N_125multi_tensor_apply_kernelINS1_18TensorListMetadataILi2EEENS1_11CopyFunctorIN3c1015Float8_e4m3fnuzENS6_7complexIfEELi2ELi1ELi1EEEJNS0_4CopyIS7_S9_EEEEEvT_T0_DpT1_
    .private_segment_fixed_size: 0
    .sgpr_count:     25
    .sgpr_spill_count: 0
    .symbol:         _ZN2at6native12_GLOBAL__N_125multi_tensor_apply_kernelINS1_18TensorListMetadataILi2EEENS1_11CopyFunctorIN3c1015Float8_e4m3fnuzENS6_7complexIfEELi2ELi1ELi1EEEJNS0_4CopyIS7_S9_EEEEEvT_T0_DpT1_.kd
    .uniform_work_group_size: 1
    .uses_dynamic_stack: false
    .vgpr_count:     36
    .vgpr_spill_count: 0
    .wavefront_size: 32
    .workgroup_processor_mode: 1
  - .args:
      - .offset:         0
        .size:           3144
        .value_kind:     by_value
      - .offset:         3144
        .size:           1
        .value_kind:     by_value
      - .offset:         3145
        .size:           1
        .value_kind:     by_value
      - .offset:         3152
        .size:           4
        .value_kind:     hidden_block_count_x
      - .offset:         3156
        .size:           4
        .value_kind:     hidden_block_count_y
      - .offset:         3160
        .size:           4
        .value_kind:     hidden_block_count_z
      - .offset:         3164
        .size:           2
        .value_kind:     hidden_group_size_x
      - .offset:         3166
        .size:           2
        .value_kind:     hidden_group_size_y
      - .offset:         3168
        .size:           2
        .value_kind:     hidden_group_size_z
      - .offset:         3170
        .size:           2
        .value_kind:     hidden_remainder_x
      - .offset:         3172
        .size:           2
        .value_kind:     hidden_remainder_y
      - .offset:         3174
        .size:           2
        .value_kind:     hidden_remainder_z
      - .offset:         3192
        .size:           8
        .value_kind:     hidden_global_offset_x
      - .offset:         3200
        .size:           8
        .value_kind:     hidden_global_offset_y
      - .offset:         3208
        .size:           8
        .value_kind:     hidden_global_offset_z
      - .offset:         3216
        .size:           2
        .value_kind:     hidden_grid_dims
    .group_segment_fixed_size: 0
    .kernarg_segment_align: 8
    .kernarg_segment_size: 3408
    .language:       OpenCL C
    .language_version:
      - 2
      - 0
    .max_flat_workgroup_size: 512
    .name:           _ZN2at6native12_GLOBAL__N_125multi_tensor_apply_kernelINS1_18TensorListMetadataILi2EEENS1_11CopyFunctorIN3c1015Float8_e4m3fnuzENS6_4HalfELi2ELi1ELi1EEEJNS0_4CopyIS7_S8_EEEEEvT_T0_DpT1_
    .private_segment_fixed_size: 0
    .sgpr_count:     25
    .sgpr_spill_count: 0
    .symbol:         _ZN2at6native12_GLOBAL__N_125multi_tensor_apply_kernelINS1_18TensorListMetadataILi2EEENS1_11CopyFunctorIN3c1015Float8_e4m3fnuzENS6_4HalfELi2ELi1ELi1EEEJNS0_4CopyIS7_S8_EEEEEvT_T0_DpT1_.kd
    .uniform_work_group_size: 1
    .uses_dynamic_stack: false
    .vgpr_count:     37
    .vgpr_spill_count: 0
    .wavefront_size: 32
    .workgroup_processor_mode: 1
  - .args:
      - .offset:         0
        .size:           3144
        .value_kind:     by_value
      - .offset:         3144
        .size:           1
        .value_kind:     by_value
      - .offset:         3145
        .size:           1
        .value_kind:     by_value
      - .offset:         3152
        .size:           4
        .value_kind:     hidden_block_count_x
      - .offset:         3156
        .size:           4
        .value_kind:     hidden_block_count_y
      - .offset:         3160
        .size:           4
        .value_kind:     hidden_block_count_z
      - .offset:         3164
        .size:           2
        .value_kind:     hidden_group_size_x
      - .offset:         3166
        .size:           2
        .value_kind:     hidden_group_size_y
      - .offset:         3168
        .size:           2
        .value_kind:     hidden_group_size_z
      - .offset:         3170
        .size:           2
        .value_kind:     hidden_remainder_x
      - .offset:         3172
        .size:           2
        .value_kind:     hidden_remainder_y
      - .offset:         3174
        .size:           2
        .value_kind:     hidden_remainder_z
      - .offset:         3192
        .size:           8
        .value_kind:     hidden_global_offset_x
      - .offset:         3200
        .size:           8
        .value_kind:     hidden_global_offset_y
      - .offset:         3208
        .size:           8
        .value_kind:     hidden_global_offset_z
      - .offset:         3216
        .size:           2
        .value_kind:     hidden_grid_dims
    .group_segment_fixed_size: 0
    .kernarg_segment_align: 8
    .kernarg_segment_size: 3408
    .language:       OpenCL C
    .language_version:
      - 2
      - 0
    .max_flat_workgroup_size: 512
    .name:           _ZN2at6native12_GLOBAL__N_125multi_tensor_apply_kernelINS1_18TensorListMetadataILi2EEENS1_11CopyFunctorIN3c1015Float8_e4m3fnuzENS6_8BFloat16ELi2ELi1ELi1EEEJNS0_4CopyIS7_S8_EEEEEvT_T0_DpT1_
    .private_segment_fixed_size: 0
    .sgpr_count:     25
    .sgpr_spill_count: 0
    .symbol:         _ZN2at6native12_GLOBAL__N_125multi_tensor_apply_kernelINS1_18TensorListMetadataILi2EEENS1_11CopyFunctorIN3c1015Float8_e4m3fnuzENS6_8BFloat16ELi2ELi1ELi1EEEJNS0_4CopyIS7_S8_EEEEEvT_T0_DpT1_.kd
    .uniform_work_group_size: 1
    .uses_dynamic_stack: false
    .vgpr_count:     38
    .vgpr_spill_count: 0
    .wavefront_size: 32
    .workgroup_processor_mode: 1
  - .args:
      - .offset:         0
        .size:           3144
        .value_kind:     by_value
      - .offset:         3144
        .size:           1
        .value_kind:     by_value
      - .offset:         3145
        .size:           1
        .value_kind:     by_value
      - .offset:         3152
        .size:           4
        .value_kind:     hidden_block_count_x
      - .offset:         3156
        .size:           4
        .value_kind:     hidden_block_count_y
      - .offset:         3160
        .size:           4
        .value_kind:     hidden_block_count_z
      - .offset:         3164
        .size:           2
        .value_kind:     hidden_group_size_x
      - .offset:         3166
        .size:           2
        .value_kind:     hidden_group_size_y
      - .offset:         3168
        .size:           2
        .value_kind:     hidden_group_size_z
      - .offset:         3170
        .size:           2
        .value_kind:     hidden_remainder_x
      - .offset:         3172
        .size:           2
        .value_kind:     hidden_remainder_y
      - .offset:         3174
        .size:           2
        .value_kind:     hidden_remainder_z
      - .offset:         3192
        .size:           8
        .value_kind:     hidden_global_offset_x
      - .offset:         3200
        .size:           8
        .value_kind:     hidden_global_offset_y
      - .offset:         3208
        .size:           8
        .value_kind:     hidden_global_offset_z
      - .offset:         3216
        .size:           2
        .value_kind:     hidden_grid_dims
    .group_segment_fixed_size: 0
    .kernarg_segment_align: 8
    .kernarg_segment_size: 3408
    .language:       OpenCL C
    .language_version:
      - 2
      - 0
    .max_flat_workgroup_size: 512
    .name:           _ZN2at6native12_GLOBAL__N_125multi_tensor_apply_kernelINS1_18TensorListMetadataILi2EEENS1_11CopyFunctorIN3c1015Float8_e4m3fnuzEbLi2ELi1ELi1EEEJNS0_4CopyIS7_bEEEEEvT_T0_DpT1_
    .private_segment_fixed_size: 0
    .sgpr_count:     24
    .sgpr_spill_count: 0
    .symbol:         _ZN2at6native12_GLOBAL__N_125multi_tensor_apply_kernelINS1_18TensorListMetadataILi2EEENS1_11CopyFunctorIN3c1015Float8_e4m3fnuzEbLi2ELi1ELi1EEEJNS0_4CopyIS7_bEEEEEvT_T0_DpT1_.kd
    .uniform_work_group_size: 1
    .uses_dynamic_stack: false
    .vgpr_count:     41
    .vgpr_spill_count: 0
    .wavefront_size: 32
    .workgroup_processor_mode: 1
  - .args:
      - .offset:         0
        .size:           3144
        .value_kind:     by_value
      - .offset:         3144
        .size:           1
        .value_kind:     by_value
      - .offset:         3145
        .size:           1
        .value_kind:     by_value
      - .offset:         3152
        .size:           4
        .value_kind:     hidden_block_count_x
      - .offset:         3156
        .size:           4
        .value_kind:     hidden_block_count_y
      - .offset:         3160
        .size:           4
        .value_kind:     hidden_block_count_z
      - .offset:         3164
        .size:           2
        .value_kind:     hidden_group_size_x
      - .offset:         3166
        .size:           2
        .value_kind:     hidden_group_size_y
      - .offset:         3168
        .size:           2
        .value_kind:     hidden_group_size_z
      - .offset:         3170
        .size:           2
        .value_kind:     hidden_remainder_x
      - .offset:         3172
        .size:           2
        .value_kind:     hidden_remainder_y
      - .offset:         3174
        .size:           2
        .value_kind:     hidden_remainder_z
      - .offset:         3192
        .size:           8
        .value_kind:     hidden_global_offset_x
      - .offset:         3200
        .size:           8
        .value_kind:     hidden_global_offset_y
      - .offset:         3208
        .size:           8
        .value_kind:     hidden_global_offset_z
      - .offset:         3216
        .size:           2
        .value_kind:     hidden_grid_dims
    .group_segment_fixed_size: 0
    .kernarg_segment_align: 8
    .kernarg_segment_size: 3408
    .language:       OpenCL C
    .language_version:
      - 2
      - 0
    .max_flat_workgroup_size: 512
    .name:           _ZN2at6native12_GLOBAL__N_125multi_tensor_apply_kernelINS1_18TensorListMetadataILi2EEENS1_11CopyFunctorIN3c1015Float8_e4m3fnuzENS6_13Float8_e4m3fnELi2ELi1ELi1EEEJNS0_4CopyIS7_S8_EEEEEvT_T0_DpT1_
    .private_segment_fixed_size: 0
    .sgpr_count:     24
    .sgpr_spill_count: 0
    .symbol:         _ZN2at6native12_GLOBAL__N_125multi_tensor_apply_kernelINS1_18TensorListMetadataILi2EEENS1_11CopyFunctorIN3c1015Float8_e4m3fnuzENS6_13Float8_e4m3fnELi2ELi1ELi1EEEJNS0_4CopyIS7_S8_EEEEEvT_T0_DpT1_.kd
    .uniform_work_group_size: 1
    .uses_dynamic_stack: false
    .vgpr_count:     44
    .vgpr_spill_count: 0
    .wavefront_size: 32
    .workgroup_processor_mode: 1
  - .args:
      - .offset:         0
        .size:           3144
        .value_kind:     by_value
      - .offset:         3144
        .size:           1
        .value_kind:     by_value
      - .offset:         3145
        .size:           1
        .value_kind:     by_value
      - .offset:         3152
        .size:           4
        .value_kind:     hidden_block_count_x
      - .offset:         3156
        .size:           4
        .value_kind:     hidden_block_count_y
      - .offset:         3160
        .size:           4
        .value_kind:     hidden_block_count_z
      - .offset:         3164
        .size:           2
        .value_kind:     hidden_group_size_x
      - .offset:         3166
        .size:           2
        .value_kind:     hidden_group_size_y
      - .offset:         3168
        .size:           2
        .value_kind:     hidden_group_size_z
      - .offset:         3170
        .size:           2
        .value_kind:     hidden_remainder_x
      - .offset:         3172
        .size:           2
        .value_kind:     hidden_remainder_y
      - .offset:         3174
        .size:           2
        .value_kind:     hidden_remainder_z
      - .offset:         3192
        .size:           8
        .value_kind:     hidden_global_offset_x
      - .offset:         3200
        .size:           8
        .value_kind:     hidden_global_offset_y
      - .offset:         3208
        .size:           8
        .value_kind:     hidden_global_offset_z
      - .offset:         3216
        .size:           2
        .value_kind:     hidden_grid_dims
    .group_segment_fixed_size: 0
    .kernarg_segment_align: 8
    .kernarg_segment_size: 3408
    .language:       OpenCL C
    .language_version:
      - 2
      - 0
    .max_flat_workgroup_size: 512
    .name:           _ZN2at6native12_GLOBAL__N_125multi_tensor_apply_kernelINS1_18TensorListMetadataILi2EEENS1_14UnaryOpFunctorIN3c1015Float8_e4m3fnuzELi2ELi1ELi1EEEJNS0_4CopyIS7_S7_EEEEEvT_T0_DpT1_
    .private_segment_fixed_size: 0
    .sgpr_count:     24
    .sgpr_spill_count: 0
    .symbol:         _ZN2at6native12_GLOBAL__N_125multi_tensor_apply_kernelINS1_18TensorListMetadataILi2EEENS1_14UnaryOpFunctorIN3c1015Float8_e4m3fnuzELi2ELi1ELi1EEEJNS0_4CopyIS7_S7_EEEEEvT_T0_DpT1_.kd
    .uniform_work_group_size: 1
    .uses_dynamic_stack: false
    .vgpr_count:     31
    .vgpr_spill_count: 0
    .wavefront_size: 32
    .workgroup_processor_mode: 1
  - .args:
      - .offset:         0
        .size:           3144
        .value_kind:     by_value
      - .offset:         3144
        .size:           1
        .value_kind:     by_value
      - .offset:         3145
        .size:           1
        .value_kind:     by_value
      - .offset:         3152
        .size:           4
        .value_kind:     hidden_block_count_x
      - .offset:         3156
        .size:           4
        .value_kind:     hidden_block_count_y
      - .offset:         3160
        .size:           4
        .value_kind:     hidden_block_count_z
      - .offset:         3164
        .size:           2
        .value_kind:     hidden_group_size_x
      - .offset:         3166
        .size:           2
        .value_kind:     hidden_group_size_y
      - .offset:         3168
        .size:           2
        .value_kind:     hidden_group_size_z
      - .offset:         3170
        .size:           2
        .value_kind:     hidden_remainder_x
      - .offset:         3172
        .size:           2
        .value_kind:     hidden_remainder_y
      - .offset:         3174
        .size:           2
        .value_kind:     hidden_remainder_z
      - .offset:         3192
        .size:           8
        .value_kind:     hidden_global_offset_x
      - .offset:         3200
        .size:           8
        .value_kind:     hidden_global_offset_y
      - .offset:         3208
        .size:           8
        .value_kind:     hidden_global_offset_z
      - .offset:         3216
        .size:           2
        .value_kind:     hidden_grid_dims
    .group_segment_fixed_size: 0
    .kernarg_segment_align: 8
    .kernarg_segment_size: 3408
    .language:       OpenCL C
    .language_version:
      - 2
      - 0
    .max_flat_workgroup_size: 512
    .name:           _ZN2at6native12_GLOBAL__N_125multi_tensor_apply_kernelINS1_18TensorListMetadataILi2EEENS1_11CopyFunctorIN3c1015Float8_e4m3fnuzENS6_11Float8_e5m2ELi2ELi1ELi1EEEJNS0_4CopyIS7_S8_EEEEEvT_T0_DpT1_
    .private_segment_fixed_size: 0
    .sgpr_count:     25
    .sgpr_spill_count: 0
    .symbol:         _ZN2at6native12_GLOBAL__N_125multi_tensor_apply_kernelINS1_18TensorListMetadataILi2EEENS1_11CopyFunctorIN3c1015Float8_e4m3fnuzENS6_11Float8_e5m2ELi2ELi1ELi1EEEJNS0_4CopyIS7_S8_EEEEEvT_T0_DpT1_.kd
    .uniform_work_group_size: 1
    .uses_dynamic_stack: false
    .vgpr_count:     43
    .vgpr_spill_count: 0
    .wavefront_size: 32
    .workgroup_processor_mode: 1
  - .args:
      - .offset:         0
        .size:           3144
        .value_kind:     by_value
      - .offset:         3144
        .size:           1
        .value_kind:     by_value
      - .offset:         3145
        .size:           1
        .value_kind:     by_value
      - .offset:         3152
        .size:           4
        .value_kind:     hidden_block_count_x
      - .offset:         3156
        .size:           4
        .value_kind:     hidden_block_count_y
      - .offset:         3160
        .size:           4
        .value_kind:     hidden_block_count_z
      - .offset:         3164
        .size:           2
        .value_kind:     hidden_group_size_x
      - .offset:         3166
        .size:           2
        .value_kind:     hidden_group_size_y
      - .offset:         3168
        .size:           2
        .value_kind:     hidden_group_size_z
      - .offset:         3170
        .size:           2
        .value_kind:     hidden_remainder_x
      - .offset:         3172
        .size:           2
        .value_kind:     hidden_remainder_y
      - .offset:         3174
        .size:           2
        .value_kind:     hidden_remainder_z
      - .offset:         3192
        .size:           8
        .value_kind:     hidden_global_offset_x
      - .offset:         3200
        .size:           8
        .value_kind:     hidden_global_offset_y
      - .offset:         3208
        .size:           8
        .value_kind:     hidden_global_offset_z
      - .offset:         3216
        .size:           2
        .value_kind:     hidden_grid_dims
    .group_segment_fixed_size: 0
    .kernarg_segment_align: 8
    .kernarg_segment_size: 3408
    .language:       OpenCL C
    .language_version:
      - 2
      - 0
    .max_flat_workgroup_size: 512
    .name:           _ZN2at6native12_GLOBAL__N_125multi_tensor_apply_kernelINS1_18TensorListMetadataILi2EEENS1_11CopyFunctorIN3c1015Float8_e4m3fnuzENS6_15Float8_e5m2fnuzELi2ELi1ELi1EEEJNS0_4CopyIS7_S8_EEEEEvT_T0_DpT1_
    .private_segment_fixed_size: 0
    .sgpr_count:     24
    .sgpr_spill_count: 0
    .symbol:         _ZN2at6native12_GLOBAL__N_125multi_tensor_apply_kernelINS1_18TensorListMetadataILi2EEENS1_11CopyFunctorIN3c1015Float8_e4m3fnuzENS6_15Float8_e5m2fnuzELi2ELi1ELi1EEEJNS0_4CopyIS7_S8_EEEEEvT_T0_DpT1_.kd
    .uniform_work_group_size: 1
    .uses_dynamic_stack: false
    .vgpr_count:     43
    .vgpr_spill_count: 0
    .wavefront_size: 32
    .workgroup_processor_mode: 1
  - .args:
      - .offset:         0
        .size:           3144
        .value_kind:     by_value
      - .offset:         3144
        .size:           1
        .value_kind:     by_value
      - .offset:         3145
        .size:           1
        .value_kind:     by_value
      - .offset:         3152
        .size:           4
        .value_kind:     hidden_block_count_x
      - .offset:         3156
        .size:           4
        .value_kind:     hidden_block_count_y
      - .offset:         3160
        .size:           4
        .value_kind:     hidden_block_count_z
      - .offset:         3164
        .size:           2
        .value_kind:     hidden_group_size_x
      - .offset:         3166
        .size:           2
        .value_kind:     hidden_group_size_y
      - .offset:         3168
        .size:           2
        .value_kind:     hidden_group_size_z
      - .offset:         3170
        .size:           2
        .value_kind:     hidden_remainder_x
      - .offset:         3172
        .size:           2
        .value_kind:     hidden_remainder_y
      - .offset:         3174
        .size:           2
        .value_kind:     hidden_remainder_z
      - .offset:         3192
        .size:           8
        .value_kind:     hidden_global_offset_x
      - .offset:         3200
        .size:           8
        .value_kind:     hidden_global_offset_y
      - .offset:         3208
        .size:           8
        .value_kind:     hidden_global_offset_z
      - .offset:         3216
        .size:           2
        .value_kind:     hidden_grid_dims
    .group_segment_fixed_size: 0
    .kernarg_segment_align: 8
    .kernarg_segment_size: 3408
    .language:       OpenCL C
    .language_version:
      - 2
      - 0
    .max_flat_workgroup_size: 512
    .name:           _ZN2at6native12_GLOBAL__N_125multi_tensor_apply_kernelINS1_18TensorListMetadataILi2EEENS1_11CopyFunctorIN3c1011Float8_e5m2EhLi2ELi1ELi1EEEJNS0_4CopyIS7_hEEEEEvT_T0_DpT1_
    .private_segment_fixed_size: 0
    .sgpr_count:     21
    .sgpr_spill_count: 0
    .symbol:         _ZN2at6native12_GLOBAL__N_125multi_tensor_apply_kernelINS1_18TensorListMetadataILi2EEENS1_11CopyFunctorIN3c1011Float8_e5m2EhLi2ELi1ELi1EEEJNS0_4CopyIS7_hEEEEEvT_T0_DpT1_.kd
    .uniform_work_group_size: 1
    .uses_dynamic_stack: false
    .vgpr_count:     41
    .vgpr_spill_count: 0
    .wavefront_size: 32
    .workgroup_processor_mode: 1
  - .args:
      - .offset:         0
        .size:           3144
        .value_kind:     by_value
      - .offset:         3144
        .size:           1
        .value_kind:     by_value
      - .offset:         3145
        .size:           1
        .value_kind:     by_value
      - .offset:         3152
        .size:           4
        .value_kind:     hidden_block_count_x
      - .offset:         3156
        .size:           4
        .value_kind:     hidden_block_count_y
      - .offset:         3160
        .size:           4
        .value_kind:     hidden_block_count_z
      - .offset:         3164
        .size:           2
        .value_kind:     hidden_group_size_x
      - .offset:         3166
        .size:           2
        .value_kind:     hidden_group_size_y
      - .offset:         3168
        .size:           2
        .value_kind:     hidden_group_size_z
      - .offset:         3170
        .size:           2
        .value_kind:     hidden_remainder_x
      - .offset:         3172
        .size:           2
        .value_kind:     hidden_remainder_y
      - .offset:         3174
        .size:           2
        .value_kind:     hidden_remainder_z
      - .offset:         3192
        .size:           8
        .value_kind:     hidden_global_offset_x
      - .offset:         3200
        .size:           8
        .value_kind:     hidden_global_offset_y
      - .offset:         3208
        .size:           8
        .value_kind:     hidden_global_offset_z
      - .offset:         3216
        .size:           2
        .value_kind:     hidden_grid_dims
    .group_segment_fixed_size: 0
    .kernarg_segment_align: 8
    .kernarg_segment_size: 3408
    .language:       OpenCL C
    .language_version:
      - 2
      - 0
    .max_flat_workgroup_size: 512
    .name:           _ZN2at6native12_GLOBAL__N_125multi_tensor_apply_kernelINS1_18TensorListMetadataILi2EEENS1_11CopyFunctorIN3c1011Float8_e5m2EaLi2ELi1ELi1EEEJNS0_4CopyIS7_aEEEEEvT_T0_DpT1_
    .private_segment_fixed_size: 0
    .sgpr_count:     21
    .sgpr_spill_count: 0
    .symbol:         _ZN2at6native12_GLOBAL__N_125multi_tensor_apply_kernelINS1_18TensorListMetadataILi2EEENS1_11CopyFunctorIN3c1011Float8_e5m2EaLi2ELi1ELi1EEEJNS0_4CopyIS7_aEEEEEvT_T0_DpT1_.kd
    .uniform_work_group_size: 1
    .uses_dynamic_stack: false
    .vgpr_count:     45
    .vgpr_spill_count: 0
    .wavefront_size: 32
    .workgroup_processor_mode: 1
  - .args:
      - .offset:         0
        .size:           3144
        .value_kind:     by_value
      - .offset:         3144
        .size:           1
        .value_kind:     by_value
      - .offset:         3145
        .size:           1
        .value_kind:     by_value
      - .offset:         3152
        .size:           4
        .value_kind:     hidden_block_count_x
      - .offset:         3156
        .size:           4
        .value_kind:     hidden_block_count_y
      - .offset:         3160
        .size:           4
        .value_kind:     hidden_block_count_z
      - .offset:         3164
        .size:           2
        .value_kind:     hidden_group_size_x
      - .offset:         3166
        .size:           2
        .value_kind:     hidden_group_size_y
      - .offset:         3168
        .size:           2
        .value_kind:     hidden_group_size_z
      - .offset:         3170
        .size:           2
        .value_kind:     hidden_remainder_x
      - .offset:         3172
        .size:           2
        .value_kind:     hidden_remainder_y
      - .offset:         3174
        .size:           2
        .value_kind:     hidden_remainder_z
      - .offset:         3192
        .size:           8
        .value_kind:     hidden_global_offset_x
      - .offset:         3200
        .size:           8
        .value_kind:     hidden_global_offset_y
      - .offset:         3208
        .size:           8
        .value_kind:     hidden_global_offset_z
      - .offset:         3216
        .size:           2
        .value_kind:     hidden_grid_dims
    .group_segment_fixed_size: 0
    .kernarg_segment_align: 8
    .kernarg_segment_size: 3408
    .language:       OpenCL C
    .language_version:
      - 2
      - 0
    .max_flat_workgroup_size: 512
    .name:           _ZN2at6native12_GLOBAL__N_125multi_tensor_apply_kernelINS1_18TensorListMetadataILi2EEENS1_11CopyFunctorIN3c1011Float8_e5m2ElLi2ELi1ELi1EEEJNS0_4CopyIS7_lEEEEEvT_T0_DpT1_
    .private_segment_fixed_size: 0
    .sgpr_count:     22
    .sgpr_spill_count: 0
    .symbol:         _ZN2at6native12_GLOBAL__N_125multi_tensor_apply_kernelINS1_18TensorListMetadataILi2EEENS1_11CopyFunctorIN3c1011Float8_e5m2ElLi2ELi1ELi1EEEJNS0_4CopyIS7_lEEEEEvT_T0_DpT1_.kd
    .uniform_work_group_size: 1
    .uses_dynamic_stack: false
    .vgpr_count:     45
    .vgpr_spill_count: 0
    .wavefront_size: 32
    .workgroup_processor_mode: 1
  - .args:
      - .offset:         0
        .size:           3144
        .value_kind:     by_value
      - .offset:         3144
        .size:           1
        .value_kind:     by_value
      - .offset:         3145
        .size:           1
        .value_kind:     by_value
      - .offset:         3152
        .size:           4
        .value_kind:     hidden_block_count_x
      - .offset:         3156
        .size:           4
        .value_kind:     hidden_block_count_y
      - .offset:         3160
        .size:           4
        .value_kind:     hidden_block_count_z
      - .offset:         3164
        .size:           2
        .value_kind:     hidden_group_size_x
      - .offset:         3166
        .size:           2
        .value_kind:     hidden_group_size_y
      - .offset:         3168
        .size:           2
        .value_kind:     hidden_group_size_z
      - .offset:         3170
        .size:           2
        .value_kind:     hidden_remainder_x
      - .offset:         3172
        .size:           2
        .value_kind:     hidden_remainder_y
      - .offset:         3174
        .size:           2
        .value_kind:     hidden_remainder_z
      - .offset:         3192
        .size:           8
        .value_kind:     hidden_global_offset_x
      - .offset:         3200
        .size:           8
        .value_kind:     hidden_global_offset_y
      - .offset:         3208
        .size:           8
        .value_kind:     hidden_global_offset_z
      - .offset:         3216
        .size:           2
        .value_kind:     hidden_grid_dims
    .group_segment_fixed_size: 0
    .kernarg_segment_align: 8
    .kernarg_segment_size: 3408
    .language:       OpenCL C
    .language_version:
      - 2
      - 0
    .max_flat_workgroup_size: 512
    .name:           _ZN2at6native12_GLOBAL__N_125multi_tensor_apply_kernelINS1_18TensorListMetadataILi2EEENS1_11CopyFunctorIN3c1011Float8_e5m2EsLi2ELi1ELi1EEEJNS0_4CopyIS7_sEEEEEvT_T0_DpT1_
    .private_segment_fixed_size: 0
    .sgpr_count:     22
    .sgpr_spill_count: 0
    .symbol:         _ZN2at6native12_GLOBAL__N_125multi_tensor_apply_kernelINS1_18TensorListMetadataILi2EEENS1_11CopyFunctorIN3c1011Float8_e5m2EsLi2ELi1ELi1EEEJNS0_4CopyIS7_sEEEEEvT_T0_DpT1_.kd
    .uniform_work_group_size: 1
    .uses_dynamic_stack: false
    .vgpr_count:     39
    .vgpr_spill_count: 0
    .wavefront_size: 32
    .workgroup_processor_mode: 1
  - .args:
      - .offset:         0
        .size:           3144
        .value_kind:     by_value
      - .offset:         3144
        .size:           1
        .value_kind:     by_value
      - .offset:         3145
        .size:           1
        .value_kind:     by_value
      - .offset:         3152
        .size:           4
        .value_kind:     hidden_block_count_x
      - .offset:         3156
        .size:           4
        .value_kind:     hidden_block_count_y
      - .offset:         3160
        .size:           4
        .value_kind:     hidden_block_count_z
      - .offset:         3164
        .size:           2
        .value_kind:     hidden_group_size_x
      - .offset:         3166
        .size:           2
        .value_kind:     hidden_group_size_y
      - .offset:         3168
        .size:           2
        .value_kind:     hidden_group_size_z
      - .offset:         3170
        .size:           2
        .value_kind:     hidden_remainder_x
      - .offset:         3172
        .size:           2
        .value_kind:     hidden_remainder_y
      - .offset:         3174
        .size:           2
        .value_kind:     hidden_remainder_z
      - .offset:         3192
        .size:           8
        .value_kind:     hidden_global_offset_x
      - .offset:         3200
        .size:           8
        .value_kind:     hidden_global_offset_y
      - .offset:         3208
        .size:           8
        .value_kind:     hidden_global_offset_z
      - .offset:         3216
        .size:           2
        .value_kind:     hidden_grid_dims
    .group_segment_fixed_size: 0
    .kernarg_segment_align: 8
    .kernarg_segment_size: 3408
    .language:       OpenCL C
    .language_version:
      - 2
      - 0
    .max_flat_workgroup_size: 512
    .name:           _ZN2at6native12_GLOBAL__N_125multi_tensor_apply_kernelINS1_18TensorListMetadataILi2EEENS1_11CopyFunctorIN3c1011Float8_e5m2EiLi2ELi1ELi1EEEJNS0_4CopyIS7_iEEEEEvT_T0_DpT1_
    .private_segment_fixed_size: 0
    .sgpr_count:     22
    .sgpr_spill_count: 0
    .symbol:         _ZN2at6native12_GLOBAL__N_125multi_tensor_apply_kernelINS1_18TensorListMetadataILi2EEENS1_11CopyFunctorIN3c1011Float8_e5m2EiLi2ELi1ELi1EEEJNS0_4CopyIS7_iEEEEEvT_T0_DpT1_.kd
    .uniform_work_group_size: 1
    .uses_dynamic_stack: false
    .vgpr_count:     41
    .vgpr_spill_count: 0
    .wavefront_size: 32
    .workgroup_processor_mode: 1
  - .args:
      - .offset:         0
        .size:           3144
        .value_kind:     by_value
      - .offset:         3144
        .size:           1
        .value_kind:     by_value
      - .offset:         3145
        .size:           1
        .value_kind:     by_value
      - .offset:         3152
        .size:           4
        .value_kind:     hidden_block_count_x
      - .offset:         3156
        .size:           4
        .value_kind:     hidden_block_count_y
      - .offset:         3160
        .size:           4
        .value_kind:     hidden_block_count_z
      - .offset:         3164
        .size:           2
        .value_kind:     hidden_group_size_x
      - .offset:         3166
        .size:           2
        .value_kind:     hidden_group_size_y
      - .offset:         3168
        .size:           2
        .value_kind:     hidden_group_size_z
      - .offset:         3170
        .size:           2
        .value_kind:     hidden_remainder_x
      - .offset:         3172
        .size:           2
        .value_kind:     hidden_remainder_y
      - .offset:         3174
        .size:           2
        .value_kind:     hidden_remainder_z
      - .offset:         3192
        .size:           8
        .value_kind:     hidden_global_offset_x
      - .offset:         3200
        .size:           8
        .value_kind:     hidden_global_offset_y
      - .offset:         3208
        .size:           8
        .value_kind:     hidden_global_offset_z
      - .offset:         3216
        .size:           2
        .value_kind:     hidden_grid_dims
    .group_segment_fixed_size: 0
    .kernarg_segment_align: 8
    .kernarg_segment_size: 3408
    .language:       OpenCL C
    .language_version:
      - 2
      - 0
    .max_flat_workgroup_size: 512
    .name:           _ZN2at6native12_GLOBAL__N_125multi_tensor_apply_kernelINS1_18TensorListMetadataILi2EEENS1_11CopyFunctorIN3c1011Float8_e5m2EdLi2ELi1ELi1EEEJNS0_4CopyIS7_dEEEEEvT_T0_DpT1_
    .private_segment_fixed_size: 0
    .sgpr_count:     22
    .sgpr_spill_count: 0
    .symbol:         _ZN2at6native12_GLOBAL__N_125multi_tensor_apply_kernelINS1_18TensorListMetadataILi2EEENS1_11CopyFunctorIN3c1011Float8_e5m2EdLi2ELi1ELi1EEEJNS0_4CopyIS7_dEEEEEvT_T0_DpT1_.kd
    .uniform_work_group_size: 1
    .uses_dynamic_stack: false
    .vgpr_count:     45
    .vgpr_spill_count: 0
    .wavefront_size: 32
    .workgroup_processor_mode: 1
  - .args:
      - .offset:         0
        .size:           3144
        .value_kind:     by_value
      - .offset:         3144
        .size:           1
        .value_kind:     by_value
      - .offset:         3145
        .size:           1
        .value_kind:     by_value
      - .offset:         3152
        .size:           4
        .value_kind:     hidden_block_count_x
      - .offset:         3156
        .size:           4
        .value_kind:     hidden_block_count_y
      - .offset:         3160
        .size:           4
        .value_kind:     hidden_block_count_z
      - .offset:         3164
        .size:           2
        .value_kind:     hidden_group_size_x
      - .offset:         3166
        .size:           2
        .value_kind:     hidden_group_size_y
      - .offset:         3168
        .size:           2
        .value_kind:     hidden_group_size_z
      - .offset:         3170
        .size:           2
        .value_kind:     hidden_remainder_x
      - .offset:         3172
        .size:           2
        .value_kind:     hidden_remainder_y
      - .offset:         3174
        .size:           2
        .value_kind:     hidden_remainder_z
      - .offset:         3192
        .size:           8
        .value_kind:     hidden_global_offset_x
      - .offset:         3200
        .size:           8
        .value_kind:     hidden_global_offset_y
      - .offset:         3208
        .size:           8
        .value_kind:     hidden_global_offset_z
      - .offset:         3216
        .size:           2
        .value_kind:     hidden_grid_dims
    .group_segment_fixed_size: 0
    .kernarg_segment_align: 8
    .kernarg_segment_size: 3408
    .language:       OpenCL C
    .language_version:
      - 2
      - 0
    .max_flat_workgroup_size: 512
    .name:           _ZN2at6native12_GLOBAL__N_125multi_tensor_apply_kernelINS1_18TensorListMetadataILi2EEENS1_11CopyFunctorIN3c1011Float8_e5m2EfLi2ELi1ELi1EEEJNS0_4CopyIS7_fEEEEEvT_T0_DpT1_
    .private_segment_fixed_size: 0
    .sgpr_count:     22
    .sgpr_spill_count: 0
    .symbol:         _ZN2at6native12_GLOBAL__N_125multi_tensor_apply_kernelINS1_18TensorListMetadataILi2EEENS1_11CopyFunctorIN3c1011Float8_e5m2EfLi2ELi1ELi1EEEJNS0_4CopyIS7_fEEEEEvT_T0_DpT1_.kd
    .uniform_work_group_size: 1
    .uses_dynamic_stack: false
    .vgpr_count:     37
    .vgpr_spill_count: 0
    .wavefront_size: 32
    .workgroup_processor_mode: 1
  - .args:
      - .offset:         0
        .size:           3144
        .value_kind:     by_value
      - .offset:         3144
        .size:           1
        .value_kind:     by_value
      - .offset:         3145
        .size:           1
        .value_kind:     by_value
      - .offset:         3152
        .size:           4
        .value_kind:     hidden_block_count_x
      - .offset:         3156
        .size:           4
        .value_kind:     hidden_block_count_y
      - .offset:         3160
        .size:           4
        .value_kind:     hidden_block_count_z
      - .offset:         3164
        .size:           2
        .value_kind:     hidden_group_size_x
      - .offset:         3166
        .size:           2
        .value_kind:     hidden_group_size_y
      - .offset:         3168
        .size:           2
        .value_kind:     hidden_group_size_z
      - .offset:         3170
        .size:           2
        .value_kind:     hidden_remainder_x
      - .offset:         3172
        .size:           2
        .value_kind:     hidden_remainder_y
      - .offset:         3174
        .size:           2
        .value_kind:     hidden_remainder_z
      - .offset:         3192
        .size:           8
        .value_kind:     hidden_global_offset_x
      - .offset:         3200
        .size:           8
        .value_kind:     hidden_global_offset_y
      - .offset:         3208
        .size:           8
        .value_kind:     hidden_global_offset_z
      - .offset:         3216
        .size:           2
        .value_kind:     hidden_grid_dims
    .group_segment_fixed_size: 0
    .kernarg_segment_align: 8
    .kernarg_segment_size: 3408
    .language:       OpenCL C
    .language_version:
      - 2
      - 0
    .max_flat_workgroup_size: 512
    .name:           _ZN2at6native12_GLOBAL__N_125multi_tensor_apply_kernelINS1_18TensorListMetadataILi2EEENS1_11CopyFunctorIN3c1011Float8_e5m2ENS6_7complexIdEELi2ELi1ELi1EEEJNS0_4CopyIS7_S9_EEEEEvT_T0_DpT1_
    .private_segment_fixed_size: 0
    .sgpr_count:     22
    .sgpr_spill_count: 0
    .symbol:         _ZN2at6native12_GLOBAL__N_125multi_tensor_apply_kernelINS1_18TensorListMetadataILi2EEENS1_11CopyFunctorIN3c1011Float8_e5m2ENS6_7complexIdEELi2ELi1ELi1EEEJNS0_4CopyIS7_S9_EEEEEvT_T0_DpT1_.kd
    .uniform_work_group_size: 1
    .uses_dynamic_stack: false
    .vgpr_count:     45
    .vgpr_spill_count: 0
    .wavefront_size: 32
    .workgroup_processor_mode: 1
  - .args:
      - .offset:         0
        .size:           3144
        .value_kind:     by_value
      - .offset:         3144
        .size:           1
        .value_kind:     by_value
      - .offset:         3145
        .size:           1
        .value_kind:     by_value
      - .offset:         3152
        .size:           4
        .value_kind:     hidden_block_count_x
      - .offset:         3156
        .size:           4
        .value_kind:     hidden_block_count_y
      - .offset:         3160
        .size:           4
        .value_kind:     hidden_block_count_z
      - .offset:         3164
        .size:           2
        .value_kind:     hidden_group_size_x
      - .offset:         3166
        .size:           2
        .value_kind:     hidden_group_size_y
      - .offset:         3168
        .size:           2
        .value_kind:     hidden_group_size_z
      - .offset:         3170
        .size:           2
        .value_kind:     hidden_remainder_x
      - .offset:         3172
        .size:           2
        .value_kind:     hidden_remainder_y
      - .offset:         3174
        .size:           2
        .value_kind:     hidden_remainder_z
      - .offset:         3192
        .size:           8
        .value_kind:     hidden_global_offset_x
      - .offset:         3200
        .size:           8
        .value_kind:     hidden_global_offset_y
      - .offset:         3208
        .size:           8
        .value_kind:     hidden_global_offset_z
      - .offset:         3216
        .size:           2
        .value_kind:     hidden_grid_dims
    .group_segment_fixed_size: 0
    .kernarg_segment_align: 8
    .kernarg_segment_size: 3408
    .language:       OpenCL C
    .language_version:
      - 2
      - 0
    .max_flat_workgroup_size: 512
    .name:           _ZN2at6native12_GLOBAL__N_125multi_tensor_apply_kernelINS1_18TensorListMetadataILi2EEENS1_11CopyFunctorIN3c1011Float8_e5m2ENS6_7complexIfEELi2ELi1ELi1EEEJNS0_4CopyIS7_S9_EEEEEvT_T0_DpT1_
    .private_segment_fixed_size: 0
    .sgpr_count:     22
    .sgpr_spill_count: 0
    .symbol:         _ZN2at6native12_GLOBAL__N_125multi_tensor_apply_kernelINS1_18TensorListMetadataILi2EEENS1_11CopyFunctorIN3c1011Float8_e5m2ENS6_7complexIfEELi2ELi1ELi1EEEJNS0_4CopyIS7_S9_EEEEEvT_T0_DpT1_.kd
    .uniform_work_group_size: 1
    .uses_dynamic_stack: false
    .vgpr_count:     37
    .vgpr_spill_count: 0
    .wavefront_size: 32
    .workgroup_processor_mode: 1
  - .args:
      - .offset:         0
        .size:           3144
        .value_kind:     by_value
      - .offset:         3144
        .size:           1
        .value_kind:     by_value
      - .offset:         3145
        .size:           1
        .value_kind:     by_value
      - .offset:         3152
        .size:           4
        .value_kind:     hidden_block_count_x
      - .offset:         3156
        .size:           4
        .value_kind:     hidden_block_count_y
      - .offset:         3160
        .size:           4
        .value_kind:     hidden_block_count_z
      - .offset:         3164
        .size:           2
        .value_kind:     hidden_group_size_x
      - .offset:         3166
        .size:           2
        .value_kind:     hidden_group_size_y
      - .offset:         3168
        .size:           2
        .value_kind:     hidden_group_size_z
      - .offset:         3170
        .size:           2
        .value_kind:     hidden_remainder_x
      - .offset:         3172
        .size:           2
        .value_kind:     hidden_remainder_y
      - .offset:         3174
        .size:           2
        .value_kind:     hidden_remainder_z
      - .offset:         3192
        .size:           8
        .value_kind:     hidden_global_offset_x
      - .offset:         3200
        .size:           8
        .value_kind:     hidden_global_offset_y
      - .offset:         3208
        .size:           8
        .value_kind:     hidden_global_offset_z
      - .offset:         3216
        .size:           2
        .value_kind:     hidden_grid_dims
    .group_segment_fixed_size: 0
    .kernarg_segment_align: 8
    .kernarg_segment_size: 3408
    .language:       OpenCL C
    .language_version:
      - 2
      - 0
    .max_flat_workgroup_size: 512
    .name:           _ZN2at6native12_GLOBAL__N_125multi_tensor_apply_kernelINS1_18TensorListMetadataILi2EEENS1_11CopyFunctorIN3c1011Float8_e5m2ENS6_4HalfELi2ELi1ELi1EEEJNS0_4CopyIS7_S8_EEEEEvT_T0_DpT1_
    .private_segment_fixed_size: 0
    .sgpr_count:     22
    .sgpr_spill_count: 0
    .symbol:         _ZN2at6native12_GLOBAL__N_125multi_tensor_apply_kernelINS1_18TensorListMetadataILi2EEENS1_11CopyFunctorIN3c1011Float8_e5m2ENS6_4HalfELi2ELi1ELi1EEEJNS0_4CopyIS7_S8_EEEEEvT_T0_DpT1_.kd
    .uniform_work_group_size: 1
    .uses_dynamic_stack: false
    .vgpr_count:     41
    .vgpr_spill_count: 0
    .wavefront_size: 32
    .workgroup_processor_mode: 1
  - .args:
      - .offset:         0
        .size:           3144
        .value_kind:     by_value
      - .offset:         3144
        .size:           1
        .value_kind:     by_value
      - .offset:         3145
        .size:           1
        .value_kind:     by_value
      - .offset:         3152
        .size:           4
        .value_kind:     hidden_block_count_x
      - .offset:         3156
        .size:           4
        .value_kind:     hidden_block_count_y
      - .offset:         3160
        .size:           4
        .value_kind:     hidden_block_count_z
      - .offset:         3164
        .size:           2
        .value_kind:     hidden_group_size_x
      - .offset:         3166
        .size:           2
        .value_kind:     hidden_group_size_y
      - .offset:         3168
        .size:           2
        .value_kind:     hidden_group_size_z
      - .offset:         3170
        .size:           2
        .value_kind:     hidden_remainder_x
      - .offset:         3172
        .size:           2
        .value_kind:     hidden_remainder_y
      - .offset:         3174
        .size:           2
        .value_kind:     hidden_remainder_z
      - .offset:         3192
        .size:           8
        .value_kind:     hidden_global_offset_x
      - .offset:         3200
        .size:           8
        .value_kind:     hidden_global_offset_y
      - .offset:         3208
        .size:           8
        .value_kind:     hidden_global_offset_z
      - .offset:         3216
        .size:           2
        .value_kind:     hidden_grid_dims
    .group_segment_fixed_size: 0
    .kernarg_segment_align: 8
    .kernarg_segment_size: 3408
    .language:       OpenCL C
    .language_version:
      - 2
      - 0
    .max_flat_workgroup_size: 512
    .name:           _ZN2at6native12_GLOBAL__N_125multi_tensor_apply_kernelINS1_18TensorListMetadataILi2EEENS1_11CopyFunctorIN3c1011Float8_e5m2ENS6_8BFloat16ELi2ELi1ELi1EEEJNS0_4CopyIS7_S8_EEEEEvT_T0_DpT1_
    .private_segment_fixed_size: 0
    .sgpr_count:     22
    .sgpr_spill_count: 0
    .symbol:         _ZN2at6native12_GLOBAL__N_125multi_tensor_apply_kernelINS1_18TensorListMetadataILi2EEENS1_11CopyFunctorIN3c1011Float8_e5m2ENS6_8BFloat16ELi2ELi1ELi1EEEJNS0_4CopyIS7_S8_EEEEEvT_T0_DpT1_.kd
    .uniform_work_group_size: 1
    .uses_dynamic_stack: false
    .vgpr_count:     42
    .vgpr_spill_count: 0
    .wavefront_size: 32
    .workgroup_processor_mode: 1
  - .args:
      - .offset:         0
        .size:           3144
        .value_kind:     by_value
      - .offset:         3144
        .size:           1
        .value_kind:     by_value
      - .offset:         3145
        .size:           1
        .value_kind:     by_value
      - .offset:         3152
        .size:           4
        .value_kind:     hidden_block_count_x
      - .offset:         3156
        .size:           4
        .value_kind:     hidden_block_count_y
      - .offset:         3160
        .size:           4
        .value_kind:     hidden_block_count_z
      - .offset:         3164
        .size:           2
        .value_kind:     hidden_group_size_x
      - .offset:         3166
        .size:           2
        .value_kind:     hidden_group_size_y
      - .offset:         3168
        .size:           2
        .value_kind:     hidden_group_size_z
      - .offset:         3170
        .size:           2
        .value_kind:     hidden_remainder_x
      - .offset:         3172
        .size:           2
        .value_kind:     hidden_remainder_y
      - .offset:         3174
        .size:           2
        .value_kind:     hidden_remainder_z
      - .offset:         3192
        .size:           8
        .value_kind:     hidden_global_offset_x
      - .offset:         3200
        .size:           8
        .value_kind:     hidden_global_offset_y
      - .offset:         3208
        .size:           8
        .value_kind:     hidden_global_offset_z
      - .offset:         3216
        .size:           2
        .value_kind:     hidden_grid_dims
    .group_segment_fixed_size: 0
    .kernarg_segment_align: 8
    .kernarg_segment_size: 3408
    .language:       OpenCL C
    .language_version:
      - 2
      - 0
    .max_flat_workgroup_size: 512
    .name:           _ZN2at6native12_GLOBAL__N_125multi_tensor_apply_kernelINS1_18TensorListMetadataILi2EEENS1_11CopyFunctorIN3c1011Float8_e5m2EbLi2ELi1ELi1EEEJNS0_4CopyIS7_bEEEEEvT_T0_DpT1_
    .private_segment_fixed_size: 0
    .sgpr_count:     24
    .sgpr_spill_count: 0
    .symbol:         _ZN2at6native12_GLOBAL__N_125multi_tensor_apply_kernelINS1_18TensorListMetadataILi2EEENS1_11CopyFunctorIN3c1011Float8_e5m2EbLi2ELi1ELi1EEEJNS0_4CopyIS7_bEEEEEvT_T0_DpT1_.kd
    .uniform_work_group_size: 1
    .uses_dynamic_stack: false
    .vgpr_count:     41
    .vgpr_spill_count: 0
    .wavefront_size: 32
    .workgroup_processor_mode: 1
  - .args:
      - .offset:         0
        .size:           3144
        .value_kind:     by_value
      - .offset:         3144
        .size:           1
        .value_kind:     by_value
      - .offset:         3145
        .size:           1
        .value_kind:     by_value
      - .offset:         3152
        .size:           4
        .value_kind:     hidden_block_count_x
      - .offset:         3156
        .size:           4
        .value_kind:     hidden_block_count_y
      - .offset:         3160
        .size:           4
        .value_kind:     hidden_block_count_z
      - .offset:         3164
        .size:           2
        .value_kind:     hidden_group_size_x
      - .offset:         3166
        .size:           2
        .value_kind:     hidden_group_size_y
      - .offset:         3168
        .size:           2
        .value_kind:     hidden_group_size_z
      - .offset:         3170
        .size:           2
        .value_kind:     hidden_remainder_x
      - .offset:         3172
        .size:           2
        .value_kind:     hidden_remainder_y
      - .offset:         3174
        .size:           2
        .value_kind:     hidden_remainder_z
      - .offset:         3192
        .size:           8
        .value_kind:     hidden_global_offset_x
      - .offset:         3200
        .size:           8
        .value_kind:     hidden_global_offset_y
      - .offset:         3208
        .size:           8
        .value_kind:     hidden_global_offset_z
      - .offset:         3216
        .size:           2
        .value_kind:     hidden_grid_dims
    .group_segment_fixed_size: 0
    .kernarg_segment_align: 8
    .kernarg_segment_size: 3408
    .language:       OpenCL C
    .language_version:
      - 2
      - 0
    .max_flat_workgroup_size: 512
    .name:           _ZN2at6native12_GLOBAL__N_125multi_tensor_apply_kernelINS1_18TensorListMetadataILi2EEENS1_11CopyFunctorIN3c1011Float8_e5m2ENS6_13Float8_e4m3fnELi2ELi1ELi1EEEJNS0_4CopyIS7_S8_EEEEEvT_T0_DpT1_
    .private_segment_fixed_size: 0
    .sgpr_count:     21
    .sgpr_spill_count: 0
    .symbol:         _ZN2at6native12_GLOBAL__N_125multi_tensor_apply_kernelINS1_18TensorListMetadataILi2EEENS1_11CopyFunctorIN3c1011Float8_e5m2ENS6_13Float8_e4m3fnELi2ELi1ELi1EEEJNS0_4CopyIS7_S8_EEEEEvT_T0_DpT1_.kd
    .uniform_work_group_size: 1
    .uses_dynamic_stack: false
    .vgpr_count:     47
    .vgpr_spill_count: 0
    .wavefront_size: 32
    .workgroup_processor_mode: 1
  - .args:
      - .offset:         0
        .size:           3144
        .value_kind:     by_value
      - .offset:         3144
        .size:           1
        .value_kind:     by_value
      - .offset:         3145
        .size:           1
        .value_kind:     by_value
      - .offset:         3152
        .size:           4
        .value_kind:     hidden_block_count_x
      - .offset:         3156
        .size:           4
        .value_kind:     hidden_block_count_y
      - .offset:         3160
        .size:           4
        .value_kind:     hidden_block_count_z
      - .offset:         3164
        .size:           2
        .value_kind:     hidden_group_size_x
      - .offset:         3166
        .size:           2
        .value_kind:     hidden_group_size_y
      - .offset:         3168
        .size:           2
        .value_kind:     hidden_group_size_z
      - .offset:         3170
        .size:           2
        .value_kind:     hidden_remainder_x
      - .offset:         3172
        .size:           2
        .value_kind:     hidden_remainder_y
      - .offset:         3174
        .size:           2
        .value_kind:     hidden_remainder_z
      - .offset:         3192
        .size:           8
        .value_kind:     hidden_global_offset_x
      - .offset:         3200
        .size:           8
        .value_kind:     hidden_global_offset_y
      - .offset:         3208
        .size:           8
        .value_kind:     hidden_global_offset_z
      - .offset:         3216
        .size:           2
        .value_kind:     hidden_grid_dims
    .group_segment_fixed_size: 0
    .kernarg_segment_align: 8
    .kernarg_segment_size: 3408
    .language:       OpenCL C
    .language_version:
      - 2
      - 0
    .max_flat_workgroup_size: 512
    .name:           _ZN2at6native12_GLOBAL__N_125multi_tensor_apply_kernelINS1_18TensorListMetadataILi2EEENS1_11CopyFunctorIN3c1011Float8_e5m2ENS6_15Float8_e4m3fnuzELi2ELi1ELi1EEEJNS0_4CopyIS7_S8_EEEEEvT_T0_DpT1_
    .private_segment_fixed_size: 0
    .sgpr_count:     23
    .sgpr_spill_count: 0
    .symbol:         _ZN2at6native12_GLOBAL__N_125multi_tensor_apply_kernelINS1_18TensorListMetadataILi2EEENS1_11CopyFunctorIN3c1011Float8_e5m2ENS6_15Float8_e4m3fnuzELi2ELi1ELi1EEEJNS0_4CopyIS7_S8_EEEEEvT_T0_DpT1_.kd
    .uniform_work_group_size: 1
    .uses_dynamic_stack: false
    .vgpr_count:     47
    .vgpr_spill_count: 0
    .wavefront_size: 32
    .workgroup_processor_mode: 1
  - .args:
      - .offset:         0
        .size:           3144
        .value_kind:     by_value
      - .offset:         3144
        .size:           1
        .value_kind:     by_value
      - .offset:         3145
        .size:           1
        .value_kind:     by_value
      - .offset:         3152
        .size:           4
        .value_kind:     hidden_block_count_x
      - .offset:         3156
        .size:           4
        .value_kind:     hidden_block_count_y
      - .offset:         3160
        .size:           4
        .value_kind:     hidden_block_count_z
      - .offset:         3164
        .size:           2
        .value_kind:     hidden_group_size_x
      - .offset:         3166
        .size:           2
        .value_kind:     hidden_group_size_y
      - .offset:         3168
        .size:           2
        .value_kind:     hidden_group_size_z
      - .offset:         3170
        .size:           2
        .value_kind:     hidden_remainder_x
      - .offset:         3172
        .size:           2
        .value_kind:     hidden_remainder_y
      - .offset:         3174
        .size:           2
        .value_kind:     hidden_remainder_z
      - .offset:         3192
        .size:           8
        .value_kind:     hidden_global_offset_x
      - .offset:         3200
        .size:           8
        .value_kind:     hidden_global_offset_y
      - .offset:         3208
        .size:           8
        .value_kind:     hidden_global_offset_z
      - .offset:         3216
        .size:           2
        .value_kind:     hidden_grid_dims
    .group_segment_fixed_size: 0
    .kernarg_segment_align: 8
    .kernarg_segment_size: 3408
    .language:       OpenCL C
    .language_version:
      - 2
      - 0
    .max_flat_workgroup_size: 512
    .name:           _ZN2at6native12_GLOBAL__N_125multi_tensor_apply_kernelINS1_18TensorListMetadataILi2EEENS1_14UnaryOpFunctorIN3c1011Float8_e5m2ELi2ELi1ELi1EEEJNS0_4CopyIS7_S7_EEEEEvT_T0_DpT1_
    .private_segment_fixed_size: 0
    .sgpr_count:     22
    .sgpr_spill_count: 0
    .symbol:         _ZN2at6native12_GLOBAL__N_125multi_tensor_apply_kernelINS1_18TensorListMetadataILi2EEENS1_14UnaryOpFunctorIN3c1011Float8_e5m2ELi2ELi1ELi1EEEJNS0_4CopyIS7_S7_EEEEEvT_T0_DpT1_.kd
    .uniform_work_group_size: 1
    .uses_dynamic_stack: false
    .vgpr_count:     34
    .vgpr_spill_count: 0
    .wavefront_size: 32
    .workgroup_processor_mode: 1
  - .args:
      - .offset:         0
        .size:           3144
        .value_kind:     by_value
      - .offset:         3144
        .size:           1
        .value_kind:     by_value
      - .offset:         3145
        .size:           1
        .value_kind:     by_value
      - .offset:         3152
        .size:           4
        .value_kind:     hidden_block_count_x
      - .offset:         3156
        .size:           4
        .value_kind:     hidden_block_count_y
      - .offset:         3160
        .size:           4
        .value_kind:     hidden_block_count_z
      - .offset:         3164
        .size:           2
        .value_kind:     hidden_group_size_x
      - .offset:         3166
        .size:           2
        .value_kind:     hidden_group_size_y
      - .offset:         3168
        .size:           2
        .value_kind:     hidden_group_size_z
      - .offset:         3170
        .size:           2
        .value_kind:     hidden_remainder_x
      - .offset:         3172
        .size:           2
        .value_kind:     hidden_remainder_y
      - .offset:         3174
        .size:           2
        .value_kind:     hidden_remainder_z
      - .offset:         3192
        .size:           8
        .value_kind:     hidden_global_offset_x
      - .offset:         3200
        .size:           8
        .value_kind:     hidden_global_offset_y
      - .offset:         3208
        .size:           8
        .value_kind:     hidden_global_offset_z
      - .offset:         3216
        .size:           2
        .value_kind:     hidden_grid_dims
    .group_segment_fixed_size: 0
    .kernarg_segment_align: 8
    .kernarg_segment_size: 3408
    .language:       OpenCL C
    .language_version:
      - 2
      - 0
    .max_flat_workgroup_size: 512
    .name:           _ZN2at6native12_GLOBAL__N_125multi_tensor_apply_kernelINS1_18TensorListMetadataILi2EEENS1_11CopyFunctorIN3c1011Float8_e5m2ENS6_15Float8_e5m2fnuzELi2ELi1ELi1EEEJNS0_4CopyIS7_S8_EEEEEvT_T0_DpT1_
    .private_segment_fixed_size: 0
    .sgpr_count:     23
    .sgpr_spill_count: 0
    .symbol:         _ZN2at6native12_GLOBAL__N_125multi_tensor_apply_kernelINS1_18TensorListMetadataILi2EEENS1_11CopyFunctorIN3c1011Float8_e5m2ENS6_15Float8_e5m2fnuzELi2ELi1ELi1EEEJNS0_4CopyIS7_S8_EEEEEvT_T0_DpT1_.kd
    .uniform_work_group_size: 1
    .uses_dynamic_stack: false
    .vgpr_count:     47
    .vgpr_spill_count: 0
    .wavefront_size: 32
    .workgroup_processor_mode: 1
  - .args:
      - .offset:         0
        .size:           3144
        .value_kind:     by_value
      - .offset:         3144
        .size:           1
        .value_kind:     by_value
      - .offset:         3145
        .size:           1
        .value_kind:     by_value
      - .offset:         3152
        .size:           4
        .value_kind:     hidden_block_count_x
      - .offset:         3156
        .size:           4
        .value_kind:     hidden_block_count_y
      - .offset:         3160
        .size:           4
        .value_kind:     hidden_block_count_z
      - .offset:         3164
        .size:           2
        .value_kind:     hidden_group_size_x
      - .offset:         3166
        .size:           2
        .value_kind:     hidden_group_size_y
      - .offset:         3168
        .size:           2
        .value_kind:     hidden_group_size_z
      - .offset:         3170
        .size:           2
        .value_kind:     hidden_remainder_x
      - .offset:         3172
        .size:           2
        .value_kind:     hidden_remainder_y
      - .offset:         3174
        .size:           2
        .value_kind:     hidden_remainder_z
      - .offset:         3192
        .size:           8
        .value_kind:     hidden_global_offset_x
      - .offset:         3200
        .size:           8
        .value_kind:     hidden_global_offset_y
      - .offset:         3208
        .size:           8
        .value_kind:     hidden_global_offset_z
      - .offset:         3216
        .size:           2
        .value_kind:     hidden_grid_dims
    .group_segment_fixed_size: 0
    .kernarg_segment_align: 8
    .kernarg_segment_size: 3408
    .language:       OpenCL C
    .language_version:
      - 2
      - 0
    .max_flat_workgroup_size: 512
    .name:           _ZN2at6native12_GLOBAL__N_125multi_tensor_apply_kernelINS1_18TensorListMetadataILi2EEENS1_11CopyFunctorIN3c1015Float8_e5m2fnuzEhLi2ELi1ELi1EEEJNS0_4CopyIS7_hEEEEEvT_T0_DpT1_
    .private_segment_fixed_size: 0
    .sgpr_count:     21
    .sgpr_spill_count: 0
    .symbol:         _ZN2at6native12_GLOBAL__N_125multi_tensor_apply_kernelINS1_18TensorListMetadataILi2EEENS1_11CopyFunctorIN3c1015Float8_e5m2fnuzEhLi2ELi1ELi1EEEJNS0_4CopyIS7_hEEEEEvT_T0_DpT1_.kd
    .uniform_work_group_size: 1
    .uses_dynamic_stack: false
    .vgpr_count:     41
    .vgpr_spill_count: 0
    .wavefront_size: 32
    .workgroup_processor_mode: 1
  - .args:
      - .offset:         0
        .size:           3144
        .value_kind:     by_value
      - .offset:         3144
        .size:           1
        .value_kind:     by_value
      - .offset:         3145
        .size:           1
        .value_kind:     by_value
      - .offset:         3152
        .size:           4
        .value_kind:     hidden_block_count_x
      - .offset:         3156
        .size:           4
        .value_kind:     hidden_block_count_y
      - .offset:         3160
        .size:           4
        .value_kind:     hidden_block_count_z
      - .offset:         3164
        .size:           2
        .value_kind:     hidden_group_size_x
      - .offset:         3166
        .size:           2
        .value_kind:     hidden_group_size_y
      - .offset:         3168
        .size:           2
        .value_kind:     hidden_group_size_z
      - .offset:         3170
        .size:           2
        .value_kind:     hidden_remainder_x
      - .offset:         3172
        .size:           2
        .value_kind:     hidden_remainder_y
      - .offset:         3174
        .size:           2
        .value_kind:     hidden_remainder_z
      - .offset:         3192
        .size:           8
        .value_kind:     hidden_global_offset_x
      - .offset:         3200
        .size:           8
        .value_kind:     hidden_global_offset_y
      - .offset:         3208
        .size:           8
        .value_kind:     hidden_global_offset_z
      - .offset:         3216
        .size:           2
        .value_kind:     hidden_grid_dims
    .group_segment_fixed_size: 0
    .kernarg_segment_align: 8
    .kernarg_segment_size: 3408
    .language:       OpenCL C
    .language_version:
      - 2
      - 0
    .max_flat_workgroup_size: 512
    .name:           _ZN2at6native12_GLOBAL__N_125multi_tensor_apply_kernelINS1_18TensorListMetadataILi2EEENS1_11CopyFunctorIN3c1015Float8_e5m2fnuzEaLi2ELi1ELi1EEEJNS0_4CopyIS7_aEEEEEvT_T0_DpT1_
    .private_segment_fixed_size: 0
    .sgpr_count:     24
    .sgpr_spill_count: 0
    .symbol:         _ZN2at6native12_GLOBAL__N_125multi_tensor_apply_kernelINS1_18TensorListMetadataILi2EEENS1_11CopyFunctorIN3c1015Float8_e5m2fnuzEaLi2ELi1ELi1EEEJNS0_4CopyIS7_aEEEEEvT_T0_DpT1_.kd
    .uniform_work_group_size: 1
    .uses_dynamic_stack: false
    .vgpr_count:     41
    .vgpr_spill_count: 0
    .wavefront_size: 32
    .workgroup_processor_mode: 1
  - .args:
      - .offset:         0
        .size:           3144
        .value_kind:     by_value
      - .offset:         3144
        .size:           1
        .value_kind:     by_value
      - .offset:         3145
        .size:           1
        .value_kind:     by_value
      - .offset:         3152
        .size:           4
        .value_kind:     hidden_block_count_x
      - .offset:         3156
        .size:           4
        .value_kind:     hidden_block_count_y
      - .offset:         3160
        .size:           4
        .value_kind:     hidden_block_count_z
      - .offset:         3164
        .size:           2
        .value_kind:     hidden_group_size_x
      - .offset:         3166
        .size:           2
        .value_kind:     hidden_group_size_y
      - .offset:         3168
        .size:           2
        .value_kind:     hidden_group_size_z
      - .offset:         3170
        .size:           2
        .value_kind:     hidden_remainder_x
      - .offset:         3172
        .size:           2
        .value_kind:     hidden_remainder_y
      - .offset:         3174
        .size:           2
        .value_kind:     hidden_remainder_z
      - .offset:         3192
        .size:           8
        .value_kind:     hidden_global_offset_x
      - .offset:         3200
        .size:           8
        .value_kind:     hidden_global_offset_y
      - .offset:         3208
        .size:           8
        .value_kind:     hidden_global_offset_z
      - .offset:         3216
        .size:           2
        .value_kind:     hidden_grid_dims
    .group_segment_fixed_size: 0
    .kernarg_segment_align: 8
    .kernarg_segment_size: 3408
    .language:       OpenCL C
    .language_version:
      - 2
      - 0
    .max_flat_workgroup_size: 512
    .name:           _ZN2at6native12_GLOBAL__N_125multi_tensor_apply_kernelINS1_18TensorListMetadataILi2EEENS1_11CopyFunctorIN3c1015Float8_e5m2fnuzElLi2ELi1ELi1EEEJNS0_4CopyIS7_lEEEEEvT_T0_DpT1_
    .private_segment_fixed_size: 0
    .sgpr_count:     25
    .sgpr_spill_count: 0
    .symbol:         _ZN2at6native12_GLOBAL__N_125multi_tensor_apply_kernelINS1_18TensorListMetadataILi2EEENS1_11CopyFunctorIN3c1015Float8_e5m2fnuzElLi2ELi1ELi1EEEJNS0_4CopyIS7_lEEEEEvT_T0_DpT1_.kd
    .uniform_work_group_size: 1
    .uses_dynamic_stack: false
    .vgpr_count:     42
    .vgpr_spill_count: 0
    .wavefront_size: 32
    .workgroup_processor_mode: 1
  - .args:
      - .offset:         0
        .size:           3144
        .value_kind:     by_value
      - .offset:         3144
        .size:           1
        .value_kind:     by_value
      - .offset:         3145
        .size:           1
        .value_kind:     by_value
      - .offset:         3152
        .size:           4
        .value_kind:     hidden_block_count_x
      - .offset:         3156
        .size:           4
        .value_kind:     hidden_block_count_y
      - .offset:         3160
        .size:           4
        .value_kind:     hidden_block_count_z
      - .offset:         3164
        .size:           2
        .value_kind:     hidden_group_size_x
      - .offset:         3166
        .size:           2
        .value_kind:     hidden_group_size_y
      - .offset:         3168
        .size:           2
        .value_kind:     hidden_group_size_z
      - .offset:         3170
        .size:           2
        .value_kind:     hidden_remainder_x
      - .offset:         3172
        .size:           2
        .value_kind:     hidden_remainder_y
      - .offset:         3174
        .size:           2
        .value_kind:     hidden_remainder_z
      - .offset:         3192
        .size:           8
        .value_kind:     hidden_global_offset_x
      - .offset:         3200
        .size:           8
        .value_kind:     hidden_global_offset_y
      - .offset:         3208
        .size:           8
        .value_kind:     hidden_global_offset_z
      - .offset:         3216
        .size:           2
        .value_kind:     hidden_grid_dims
    .group_segment_fixed_size: 0
    .kernarg_segment_align: 8
    .kernarg_segment_size: 3408
    .language:       OpenCL C
    .language_version:
      - 2
      - 0
    .max_flat_workgroup_size: 512
    .name:           _ZN2at6native12_GLOBAL__N_125multi_tensor_apply_kernelINS1_18TensorListMetadataILi2EEENS1_11CopyFunctorIN3c1015Float8_e5m2fnuzEsLi2ELi1ELi1EEEJNS0_4CopyIS7_sEEEEEvT_T0_DpT1_
    .private_segment_fixed_size: 0
    .sgpr_count:     25
    .sgpr_spill_count: 0
    .symbol:         _ZN2at6native12_GLOBAL__N_125multi_tensor_apply_kernelINS1_18TensorListMetadataILi2EEENS1_11CopyFunctorIN3c1015Float8_e5m2fnuzEsLi2ELi1ELi1EEEJNS0_4CopyIS7_sEEEEEvT_T0_DpT1_.kd
    .uniform_work_group_size: 1
    .uses_dynamic_stack: false
    .vgpr_count:     35
    .vgpr_spill_count: 0
    .wavefront_size: 32
    .workgroup_processor_mode: 1
  - .args:
      - .offset:         0
        .size:           3144
        .value_kind:     by_value
      - .offset:         3144
        .size:           1
        .value_kind:     by_value
      - .offset:         3145
        .size:           1
        .value_kind:     by_value
      - .offset:         3152
        .size:           4
        .value_kind:     hidden_block_count_x
      - .offset:         3156
        .size:           4
        .value_kind:     hidden_block_count_y
      - .offset:         3160
        .size:           4
        .value_kind:     hidden_block_count_z
      - .offset:         3164
        .size:           2
        .value_kind:     hidden_group_size_x
      - .offset:         3166
        .size:           2
        .value_kind:     hidden_group_size_y
      - .offset:         3168
        .size:           2
        .value_kind:     hidden_group_size_z
      - .offset:         3170
        .size:           2
        .value_kind:     hidden_remainder_x
      - .offset:         3172
        .size:           2
        .value_kind:     hidden_remainder_y
      - .offset:         3174
        .size:           2
        .value_kind:     hidden_remainder_z
      - .offset:         3192
        .size:           8
        .value_kind:     hidden_global_offset_x
      - .offset:         3200
        .size:           8
        .value_kind:     hidden_global_offset_y
      - .offset:         3208
        .size:           8
        .value_kind:     hidden_global_offset_z
      - .offset:         3216
        .size:           2
        .value_kind:     hidden_grid_dims
    .group_segment_fixed_size: 0
    .kernarg_segment_align: 8
    .kernarg_segment_size: 3408
    .language:       OpenCL C
    .language_version:
      - 2
      - 0
    .max_flat_workgroup_size: 512
    .name:           _ZN2at6native12_GLOBAL__N_125multi_tensor_apply_kernelINS1_18TensorListMetadataILi2EEENS1_11CopyFunctorIN3c1015Float8_e5m2fnuzEiLi2ELi1ELi1EEEJNS0_4CopyIS7_iEEEEEvT_T0_DpT1_
    .private_segment_fixed_size: 0
    .sgpr_count:     25
    .sgpr_spill_count: 0
    .symbol:         _ZN2at6native12_GLOBAL__N_125multi_tensor_apply_kernelINS1_18TensorListMetadataILi2EEENS1_11CopyFunctorIN3c1015Float8_e5m2fnuzEiLi2ELi1ELi1EEEJNS0_4CopyIS7_iEEEEEvT_T0_DpT1_.kd
    .uniform_work_group_size: 1
    .uses_dynamic_stack: false
    .vgpr_count:     37
    .vgpr_spill_count: 0
    .wavefront_size: 32
    .workgroup_processor_mode: 1
  - .args:
      - .offset:         0
        .size:           3144
        .value_kind:     by_value
      - .offset:         3144
        .size:           1
        .value_kind:     by_value
      - .offset:         3145
        .size:           1
        .value_kind:     by_value
      - .offset:         3152
        .size:           4
        .value_kind:     hidden_block_count_x
      - .offset:         3156
        .size:           4
        .value_kind:     hidden_block_count_y
      - .offset:         3160
        .size:           4
        .value_kind:     hidden_block_count_z
      - .offset:         3164
        .size:           2
        .value_kind:     hidden_group_size_x
      - .offset:         3166
        .size:           2
        .value_kind:     hidden_group_size_y
      - .offset:         3168
        .size:           2
        .value_kind:     hidden_group_size_z
      - .offset:         3170
        .size:           2
        .value_kind:     hidden_remainder_x
      - .offset:         3172
        .size:           2
        .value_kind:     hidden_remainder_y
      - .offset:         3174
        .size:           2
        .value_kind:     hidden_remainder_z
      - .offset:         3192
        .size:           8
        .value_kind:     hidden_global_offset_x
      - .offset:         3200
        .size:           8
        .value_kind:     hidden_global_offset_y
      - .offset:         3208
        .size:           8
        .value_kind:     hidden_global_offset_z
      - .offset:         3216
        .size:           2
        .value_kind:     hidden_grid_dims
    .group_segment_fixed_size: 0
    .kernarg_segment_align: 8
    .kernarg_segment_size: 3408
    .language:       OpenCL C
    .language_version:
      - 2
      - 0
    .max_flat_workgroup_size: 512
    .name:           _ZN2at6native12_GLOBAL__N_125multi_tensor_apply_kernelINS1_18TensorListMetadataILi2EEENS1_11CopyFunctorIN3c1015Float8_e5m2fnuzEdLi2ELi1ELi1EEEJNS0_4CopyIS7_dEEEEEvT_T0_DpT1_
    .private_segment_fixed_size: 0
    .sgpr_count:     25
    .sgpr_spill_count: 0
    .symbol:         _ZN2at6native12_GLOBAL__N_125multi_tensor_apply_kernelINS1_18TensorListMetadataILi2EEENS1_11CopyFunctorIN3c1015Float8_e5m2fnuzEdLi2ELi1ELi1EEEJNS0_4CopyIS7_dEEEEEvT_T0_DpT1_.kd
    .uniform_work_group_size: 1
    .uses_dynamic_stack: false
    .vgpr_count:     41
    .vgpr_spill_count: 0
    .wavefront_size: 32
    .workgroup_processor_mode: 1
  - .args:
      - .offset:         0
        .size:           3144
        .value_kind:     by_value
      - .offset:         3144
        .size:           1
        .value_kind:     by_value
      - .offset:         3145
        .size:           1
        .value_kind:     by_value
      - .offset:         3152
        .size:           4
        .value_kind:     hidden_block_count_x
      - .offset:         3156
        .size:           4
        .value_kind:     hidden_block_count_y
      - .offset:         3160
        .size:           4
        .value_kind:     hidden_block_count_z
      - .offset:         3164
        .size:           2
        .value_kind:     hidden_group_size_x
      - .offset:         3166
        .size:           2
        .value_kind:     hidden_group_size_y
      - .offset:         3168
        .size:           2
        .value_kind:     hidden_group_size_z
      - .offset:         3170
        .size:           2
        .value_kind:     hidden_remainder_x
      - .offset:         3172
        .size:           2
        .value_kind:     hidden_remainder_y
      - .offset:         3174
        .size:           2
        .value_kind:     hidden_remainder_z
      - .offset:         3192
        .size:           8
        .value_kind:     hidden_global_offset_x
      - .offset:         3200
        .size:           8
        .value_kind:     hidden_global_offset_y
      - .offset:         3208
        .size:           8
        .value_kind:     hidden_global_offset_z
      - .offset:         3216
        .size:           2
        .value_kind:     hidden_grid_dims
    .group_segment_fixed_size: 0
    .kernarg_segment_align: 8
    .kernarg_segment_size: 3408
    .language:       OpenCL C
    .language_version:
      - 2
      - 0
    .max_flat_workgroup_size: 512
    .name:           _ZN2at6native12_GLOBAL__N_125multi_tensor_apply_kernelINS1_18TensorListMetadataILi2EEENS1_11CopyFunctorIN3c1015Float8_e5m2fnuzEfLi2ELi1ELi1EEEJNS0_4CopyIS7_fEEEEEvT_T0_DpT1_
    .private_segment_fixed_size: 0
    .sgpr_count:     25
    .sgpr_spill_count: 0
    .symbol:         _ZN2at6native12_GLOBAL__N_125multi_tensor_apply_kernelINS1_18TensorListMetadataILi2EEENS1_11CopyFunctorIN3c1015Float8_e5m2fnuzEfLi2ELi1ELi1EEEJNS0_4CopyIS7_fEEEEEvT_T0_DpT1_.kd
    .uniform_work_group_size: 1
    .uses_dynamic_stack: false
    .vgpr_count:     36
    .vgpr_spill_count: 0
    .wavefront_size: 32
    .workgroup_processor_mode: 1
  - .args:
      - .offset:         0
        .size:           3144
        .value_kind:     by_value
      - .offset:         3144
        .size:           1
        .value_kind:     by_value
      - .offset:         3145
        .size:           1
        .value_kind:     by_value
      - .offset:         3152
        .size:           4
        .value_kind:     hidden_block_count_x
      - .offset:         3156
        .size:           4
        .value_kind:     hidden_block_count_y
      - .offset:         3160
        .size:           4
        .value_kind:     hidden_block_count_z
      - .offset:         3164
        .size:           2
        .value_kind:     hidden_group_size_x
      - .offset:         3166
        .size:           2
        .value_kind:     hidden_group_size_y
      - .offset:         3168
        .size:           2
        .value_kind:     hidden_group_size_z
      - .offset:         3170
        .size:           2
        .value_kind:     hidden_remainder_x
      - .offset:         3172
        .size:           2
        .value_kind:     hidden_remainder_y
      - .offset:         3174
        .size:           2
        .value_kind:     hidden_remainder_z
      - .offset:         3192
        .size:           8
        .value_kind:     hidden_global_offset_x
      - .offset:         3200
        .size:           8
        .value_kind:     hidden_global_offset_y
      - .offset:         3208
        .size:           8
        .value_kind:     hidden_global_offset_z
      - .offset:         3216
        .size:           2
        .value_kind:     hidden_grid_dims
    .group_segment_fixed_size: 0
    .kernarg_segment_align: 8
    .kernarg_segment_size: 3408
    .language:       OpenCL C
    .language_version:
      - 2
      - 0
    .max_flat_workgroup_size: 512
    .name:           _ZN2at6native12_GLOBAL__N_125multi_tensor_apply_kernelINS1_18TensorListMetadataILi2EEENS1_11CopyFunctorIN3c1015Float8_e5m2fnuzENS6_7complexIdEELi2ELi1ELi1EEEJNS0_4CopyIS7_S9_EEEEEvT_T0_DpT1_
    .private_segment_fixed_size: 0
    .sgpr_count:     25
    .sgpr_spill_count: 0
    .symbol:         _ZN2at6native12_GLOBAL__N_125multi_tensor_apply_kernelINS1_18TensorListMetadataILi2EEENS1_11CopyFunctorIN3c1015Float8_e5m2fnuzENS6_7complexIdEELi2ELi1ELi1EEEJNS0_4CopyIS7_S9_EEEEEvT_T0_DpT1_.kd
    .uniform_work_group_size: 1
    .uses_dynamic_stack: false
    .vgpr_count:     41
    .vgpr_spill_count: 0
    .wavefront_size: 32
    .workgroup_processor_mode: 1
  - .args:
      - .offset:         0
        .size:           3144
        .value_kind:     by_value
      - .offset:         3144
        .size:           1
        .value_kind:     by_value
      - .offset:         3145
        .size:           1
        .value_kind:     by_value
      - .offset:         3152
        .size:           4
        .value_kind:     hidden_block_count_x
      - .offset:         3156
        .size:           4
        .value_kind:     hidden_block_count_y
      - .offset:         3160
        .size:           4
        .value_kind:     hidden_block_count_z
      - .offset:         3164
        .size:           2
        .value_kind:     hidden_group_size_x
      - .offset:         3166
        .size:           2
        .value_kind:     hidden_group_size_y
      - .offset:         3168
        .size:           2
        .value_kind:     hidden_group_size_z
      - .offset:         3170
        .size:           2
        .value_kind:     hidden_remainder_x
      - .offset:         3172
        .size:           2
        .value_kind:     hidden_remainder_y
      - .offset:         3174
        .size:           2
        .value_kind:     hidden_remainder_z
      - .offset:         3192
        .size:           8
        .value_kind:     hidden_global_offset_x
      - .offset:         3200
        .size:           8
        .value_kind:     hidden_global_offset_y
      - .offset:         3208
        .size:           8
        .value_kind:     hidden_global_offset_z
      - .offset:         3216
        .size:           2
        .value_kind:     hidden_grid_dims
    .group_segment_fixed_size: 0
    .kernarg_segment_align: 8
    .kernarg_segment_size: 3408
    .language:       OpenCL C
    .language_version:
      - 2
      - 0
    .max_flat_workgroup_size: 512
    .name:           _ZN2at6native12_GLOBAL__N_125multi_tensor_apply_kernelINS1_18TensorListMetadataILi2EEENS1_11CopyFunctorIN3c1015Float8_e5m2fnuzENS6_7complexIfEELi2ELi1ELi1EEEJNS0_4CopyIS7_S9_EEEEEvT_T0_DpT1_
    .private_segment_fixed_size: 0
    .sgpr_count:     25
    .sgpr_spill_count: 0
    .symbol:         _ZN2at6native12_GLOBAL__N_125multi_tensor_apply_kernelINS1_18TensorListMetadataILi2EEENS1_11CopyFunctorIN3c1015Float8_e5m2fnuzENS6_7complexIfEELi2ELi1ELi1EEEJNS0_4CopyIS7_S9_EEEEEvT_T0_DpT1_.kd
    .uniform_work_group_size: 1
    .uses_dynamic_stack: false
    .vgpr_count:     36
    .vgpr_spill_count: 0
    .wavefront_size: 32
    .workgroup_processor_mode: 1
  - .args:
      - .offset:         0
        .size:           3144
        .value_kind:     by_value
      - .offset:         3144
        .size:           1
        .value_kind:     by_value
      - .offset:         3145
        .size:           1
        .value_kind:     by_value
      - .offset:         3152
        .size:           4
        .value_kind:     hidden_block_count_x
      - .offset:         3156
        .size:           4
        .value_kind:     hidden_block_count_y
      - .offset:         3160
        .size:           4
        .value_kind:     hidden_block_count_z
      - .offset:         3164
        .size:           2
        .value_kind:     hidden_group_size_x
      - .offset:         3166
        .size:           2
        .value_kind:     hidden_group_size_y
      - .offset:         3168
        .size:           2
        .value_kind:     hidden_group_size_z
      - .offset:         3170
        .size:           2
        .value_kind:     hidden_remainder_x
      - .offset:         3172
        .size:           2
        .value_kind:     hidden_remainder_y
      - .offset:         3174
        .size:           2
        .value_kind:     hidden_remainder_z
      - .offset:         3192
        .size:           8
        .value_kind:     hidden_global_offset_x
      - .offset:         3200
        .size:           8
        .value_kind:     hidden_global_offset_y
      - .offset:         3208
        .size:           8
        .value_kind:     hidden_global_offset_z
      - .offset:         3216
        .size:           2
        .value_kind:     hidden_grid_dims
    .group_segment_fixed_size: 0
    .kernarg_segment_align: 8
    .kernarg_segment_size: 3408
    .language:       OpenCL C
    .language_version:
      - 2
      - 0
    .max_flat_workgroup_size: 512
    .name:           _ZN2at6native12_GLOBAL__N_125multi_tensor_apply_kernelINS1_18TensorListMetadataILi2EEENS1_11CopyFunctorIN3c1015Float8_e5m2fnuzENS6_4HalfELi2ELi1ELi1EEEJNS0_4CopyIS7_S8_EEEEEvT_T0_DpT1_
    .private_segment_fixed_size: 0
    .sgpr_count:     25
    .sgpr_spill_count: 0
    .symbol:         _ZN2at6native12_GLOBAL__N_125multi_tensor_apply_kernelINS1_18TensorListMetadataILi2EEENS1_11CopyFunctorIN3c1015Float8_e5m2fnuzENS6_4HalfELi2ELi1ELi1EEEJNS0_4CopyIS7_S8_EEEEEvT_T0_DpT1_.kd
    .uniform_work_group_size: 1
    .uses_dynamic_stack: false
    .vgpr_count:     37
    .vgpr_spill_count: 0
    .wavefront_size: 32
    .workgroup_processor_mode: 1
  - .args:
      - .offset:         0
        .size:           3144
        .value_kind:     by_value
      - .offset:         3144
        .size:           1
        .value_kind:     by_value
      - .offset:         3145
        .size:           1
        .value_kind:     by_value
      - .offset:         3152
        .size:           4
        .value_kind:     hidden_block_count_x
      - .offset:         3156
        .size:           4
        .value_kind:     hidden_block_count_y
      - .offset:         3160
        .size:           4
        .value_kind:     hidden_block_count_z
      - .offset:         3164
        .size:           2
        .value_kind:     hidden_group_size_x
      - .offset:         3166
        .size:           2
        .value_kind:     hidden_group_size_y
      - .offset:         3168
        .size:           2
        .value_kind:     hidden_group_size_z
      - .offset:         3170
        .size:           2
        .value_kind:     hidden_remainder_x
      - .offset:         3172
        .size:           2
        .value_kind:     hidden_remainder_y
      - .offset:         3174
        .size:           2
        .value_kind:     hidden_remainder_z
      - .offset:         3192
        .size:           8
        .value_kind:     hidden_global_offset_x
      - .offset:         3200
        .size:           8
        .value_kind:     hidden_global_offset_y
      - .offset:         3208
        .size:           8
        .value_kind:     hidden_global_offset_z
      - .offset:         3216
        .size:           2
        .value_kind:     hidden_grid_dims
    .group_segment_fixed_size: 0
    .kernarg_segment_align: 8
    .kernarg_segment_size: 3408
    .language:       OpenCL C
    .language_version:
      - 2
      - 0
    .max_flat_workgroup_size: 512
    .name:           _ZN2at6native12_GLOBAL__N_125multi_tensor_apply_kernelINS1_18TensorListMetadataILi2EEENS1_11CopyFunctorIN3c1015Float8_e5m2fnuzENS6_8BFloat16ELi2ELi1ELi1EEEJNS0_4CopyIS7_S8_EEEEEvT_T0_DpT1_
    .private_segment_fixed_size: 0
    .sgpr_count:     25
    .sgpr_spill_count: 0
    .symbol:         _ZN2at6native12_GLOBAL__N_125multi_tensor_apply_kernelINS1_18TensorListMetadataILi2EEENS1_11CopyFunctorIN3c1015Float8_e5m2fnuzENS6_8BFloat16ELi2ELi1ELi1EEEJNS0_4CopyIS7_S8_EEEEEvT_T0_DpT1_.kd
    .uniform_work_group_size: 1
    .uses_dynamic_stack: false
    .vgpr_count:     38
    .vgpr_spill_count: 0
    .wavefront_size: 32
    .workgroup_processor_mode: 1
  - .args:
      - .offset:         0
        .size:           3144
        .value_kind:     by_value
      - .offset:         3144
        .size:           1
        .value_kind:     by_value
      - .offset:         3145
        .size:           1
        .value_kind:     by_value
      - .offset:         3152
        .size:           4
        .value_kind:     hidden_block_count_x
      - .offset:         3156
        .size:           4
        .value_kind:     hidden_block_count_y
      - .offset:         3160
        .size:           4
        .value_kind:     hidden_block_count_z
      - .offset:         3164
        .size:           2
        .value_kind:     hidden_group_size_x
      - .offset:         3166
        .size:           2
        .value_kind:     hidden_group_size_y
      - .offset:         3168
        .size:           2
        .value_kind:     hidden_group_size_z
      - .offset:         3170
        .size:           2
        .value_kind:     hidden_remainder_x
      - .offset:         3172
        .size:           2
        .value_kind:     hidden_remainder_y
      - .offset:         3174
        .size:           2
        .value_kind:     hidden_remainder_z
      - .offset:         3192
        .size:           8
        .value_kind:     hidden_global_offset_x
      - .offset:         3200
        .size:           8
        .value_kind:     hidden_global_offset_y
      - .offset:         3208
        .size:           8
        .value_kind:     hidden_global_offset_z
      - .offset:         3216
        .size:           2
        .value_kind:     hidden_grid_dims
    .group_segment_fixed_size: 0
    .kernarg_segment_align: 8
    .kernarg_segment_size: 3408
    .language:       OpenCL C
    .language_version:
      - 2
      - 0
    .max_flat_workgroup_size: 512
    .name:           _ZN2at6native12_GLOBAL__N_125multi_tensor_apply_kernelINS1_18TensorListMetadataILi2EEENS1_11CopyFunctorIN3c1015Float8_e5m2fnuzEbLi2ELi1ELi1EEEJNS0_4CopyIS7_bEEEEEvT_T0_DpT1_
    .private_segment_fixed_size: 0
    .sgpr_count:     24
    .sgpr_spill_count: 0
    .symbol:         _ZN2at6native12_GLOBAL__N_125multi_tensor_apply_kernelINS1_18TensorListMetadataILi2EEENS1_11CopyFunctorIN3c1015Float8_e5m2fnuzEbLi2ELi1ELi1EEEJNS0_4CopyIS7_bEEEEEvT_T0_DpT1_.kd
    .uniform_work_group_size: 1
    .uses_dynamic_stack: false
    .vgpr_count:     41
    .vgpr_spill_count: 0
    .wavefront_size: 32
    .workgroup_processor_mode: 1
  - .args:
      - .offset:         0
        .size:           3144
        .value_kind:     by_value
      - .offset:         3144
        .size:           1
        .value_kind:     by_value
      - .offset:         3145
        .size:           1
        .value_kind:     by_value
      - .offset:         3152
        .size:           4
        .value_kind:     hidden_block_count_x
      - .offset:         3156
        .size:           4
        .value_kind:     hidden_block_count_y
      - .offset:         3160
        .size:           4
        .value_kind:     hidden_block_count_z
      - .offset:         3164
        .size:           2
        .value_kind:     hidden_group_size_x
      - .offset:         3166
        .size:           2
        .value_kind:     hidden_group_size_y
      - .offset:         3168
        .size:           2
        .value_kind:     hidden_group_size_z
      - .offset:         3170
        .size:           2
        .value_kind:     hidden_remainder_x
      - .offset:         3172
        .size:           2
        .value_kind:     hidden_remainder_y
      - .offset:         3174
        .size:           2
        .value_kind:     hidden_remainder_z
      - .offset:         3192
        .size:           8
        .value_kind:     hidden_global_offset_x
      - .offset:         3200
        .size:           8
        .value_kind:     hidden_global_offset_y
      - .offset:         3208
        .size:           8
        .value_kind:     hidden_global_offset_z
      - .offset:         3216
        .size:           2
        .value_kind:     hidden_grid_dims
    .group_segment_fixed_size: 0
    .kernarg_segment_align: 8
    .kernarg_segment_size: 3408
    .language:       OpenCL C
    .language_version:
      - 2
      - 0
    .max_flat_workgroup_size: 512
    .name:           _ZN2at6native12_GLOBAL__N_125multi_tensor_apply_kernelINS1_18TensorListMetadataILi2EEENS1_11CopyFunctorIN3c1015Float8_e5m2fnuzENS6_13Float8_e4m3fnELi2ELi1ELi1EEEJNS0_4CopyIS7_S8_EEEEEvT_T0_DpT1_
    .private_segment_fixed_size: 0
    .sgpr_count:     24
    .sgpr_spill_count: 0
    .symbol:         _ZN2at6native12_GLOBAL__N_125multi_tensor_apply_kernelINS1_18TensorListMetadataILi2EEENS1_11CopyFunctorIN3c1015Float8_e5m2fnuzENS6_13Float8_e4m3fnELi2ELi1ELi1EEEJNS0_4CopyIS7_S8_EEEEEvT_T0_DpT1_.kd
    .uniform_work_group_size: 1
    .uses_dynamic_stack: false
    .vgpr_count:     44
    .vgpr_spill_count: 0
    .wavefront_size: 32
    .workgroup_processor_mode: 1
  - .args:
      - .offset:         0
        .size:           3144
        .value_kind:     by_value
      - .offset:         3144
        .size:           1
        .value_kind:     by_value
      - .offset:         3145
        .size:           1
        .value_kind:     by_value
      - .offset:         3152
        .size:           4
        .value_kind:     hidden_block_count_x
      - .offset:         3156
        .size:           4
        .value_kind:     hidden_block_count_y
      - .offset:         3160
        .size:           4
        .value_kind:     hidden_block_count_z
      - .offset:         3164
        .size:           2
        .value_kind:     hidden_group_size_x
      - .offset:         3166
        .size:           2
        .value_kind:     hidden_group_size_y
      - .offset:         3168
        .size:           2
        .value_kind:     hidden_group_size_z
      - .offset:         3170
        .size:           2
        .value_kind:     hidden_remainder_x
      - .offset:         3172
        .size:           2
        .value_kind:     hidden_remainder_y
      - .offset:         3174
        .size:           2
        .value_kind:     hidden_remainder_z
      - .offset:         3192
        .size:           8
        .value_kind:     hidden_global_offset_x
      - .offset:         3200
        .size:           8
        .value_kind:     hidden_global_offset_y
      - .offset:         3208
        .size:           8
        .value_kind:     hidden_global_offset_z
      - .offset:         3216
        .size:           2
        .value_kind:     hidden_grid_dims
    .group_segment_fixed_size: 0
    .kernarg_segment_align: 8
    .kernarg_segment_size: 3408
    .language:       OpenCL C
    .language_version:
      - 2
      - 0
    .max_flat_workgroup_size: 512
    .name:           _ZN2at6native12_GLOBAL__N_125multi_tensor_apply_kernelINS1_18TensorListMetadataILi2EEENS1_11CopyFunctorIN3c1015Float8_e5m2fnuzENS6_15Float8_e4m3fnuzELi2ELi1ELi1EEEJNS0_4CopyIS7_S8_EEEEEvT_T0_DpT1_
    .private_segment_fixed_size: 0
    .sgpr_count:     24
    .sgpr_spill_count: 0
    .symbol:         _ZN2at6native12_GLOBAL__N_125multi_tensor_apply_kernelINS1_18TensorListMetadataILi2EEENS1_11CopyFunctorIN3c1015Float8_e5m2fnuzENS6_15Float8_e4m3fnuzELi2ELi1ELi1EEEJNS0_4CopyIS7_S8_EEEEEvT_T0_DpT1_.kd
    .uniform_work_group_size: 1
    .uses_dynamic_stack: false
    .vgpr_count:     43
    .vgpr_spill_count: 0
    .wavefront_size: 32
    .workgroup_processor_mode: 1
  - .args:
      - .offset:         0
        .size:           3144
        .value_kind:     by_value
      - .offset:         3144
        .size:           1
        .value_kind:     by_value
      - .offset:         3145
        .size:           1
        .value_kind:     by_value
      - .offset:         3152
        .size:           4
        .value_kind:     hidden_block_count_x
      - .offset:         3156
        .size:           4
        .value_kind:     hidden_block_count_y
      - .offset:         3160
        .size:           4
        .value_kind:     hidden_block_count_z
      - .offset:         3164
        .size:           2
        .value_kind:     hidden_group_size_x
      - .offset:         3166
        .size:           2
        .value_kind:     hidden_group_size_y
      - .offset:         3168
        .size:           2
        .value_kind:     hidden_group_size_z
      - .offset:         3170
        .size:           2
        .value_kind:     hidden_remainder_x
      - .offset:         3172
        .size:           2
        .value_kind:     hidden_remainder_y
      - .offset:         3174
        .size:           2
        .value_kind:     hidden_remainder_z
      - .offset:         3192
        .size:           8
        .value_kind:     hidden_global_offset_x
      - .offset:         3200
        .size:           8
        .value_kind:     hidden_global_offset_y
      - .offset:         3208
        .size:           8
        .value_kind:     hidden_global_offset_z
      - .offset:         3216
        .size:           2
        .value_kind:     hidden_grid_dims
    .group_segment_fixed_size: 0
    .kernarg_segment_align: 8
    .kernarg_segment_size: 3408
    .language:       OpenCL C
    .language_version:
      - 2
      - 0
    .max_flat_workgroup_size: 512
    .name:           _ZN2at6native12_GLOBAL__N_125multi_tensor_apply_kernelINS1_18TensorListMetadataILi2EEENS1_11CopyFunctorIN3c1015Float8_e5m2fnuzENS6_11Float8_e5m2ELi2ELi1ELi1EEEJNS0_4CopyIS7_S8_EEEEEvT_T0_DpT1_
    .private_segment_fixed_size: 0
    .sgpr_count:     25
    .sgpr_spill_count: 0
    .symbol:         _ZN2at6native12_GLOBAL__N_125multi_tensor_apply_kernelINS1_18TensorListMetadataILi2EEENS1_11CopyFunctorIN3c1015Float8_e5m2fnuzENS6_11Float8_e5m2ELi2ELi1ELi1EEEJNS0_4CopyIS7_S8_EEEEEvT_T0_DpT1_.kd
    .uniform_work_group_size: 1
    .uses_dynamic_stack: false
    .vgpr_count:     43
    .vgpr_spill_count: 0
    .wavefront_size: 32
    .workgroup_processor_mode: 1
  - .args:
      - .offset:         0
        .size:           3144
        .value_kind:     by_value
      - .offset:         3144
        .size:           1
        .value_kind:     by_value
      - .offset:         3145
        .size:           1
        .value_kind:     by_value
      - .offset:         3152
        .size:           4
        .value_kind:     hidden_block_count_x
      - .offset:         3156
        .size:           4
        .value_kind:     hidden_block_count_y
      - .offset:         3160
        .size:           4
        .value_kind:     hidden_block_count_z
      - .offset:         3164
        .size:           2
        .value_kind:     hidden_group_size_x
      - .offset:         3166
        .size:           2
        .value_kind:     hidden_group_size_y
      - .offset:         3168
        .size:           2
        .value_kind:     hidden_group_size_z
      - .offset:         3170
        .size:           2
        .value_kind:     hidden_remainder_x
      - .offset:         3172
        .size:           2
        .value_kind:     hidden_remainder_y
      - .offset:         3174
        .size:           2
        .value_kind:     hidden_remainder_z
      - .offset:         3192
        .size:           8
        .value_kind:     hidden_global_offset_x
      - .offset:         3200
        .size:           8
        .value_kind:     hidden_global_offset_y
      - .offset:         3208
        .size:           8
        .value_kind:     hidden_global_offset_z
      - .offset:         3216
        .size:           2
        .value_kind:     hidden_grid_dims
    .group_segment_fixed_size: 0
    .kernarg_segment_align: 8
    .kernarg_segment_size: 3408
    .language:       OpenCL C
    .language_version:
      - 2
      - 0
    .max_flat_workgroup_size: 512
    .name:           _ZN2at6native12_GLOBAL__N_125multi_tensor_apply_kernelINS1_18TensorListMetadataILi2EEENS1_14UnaryOpFunctorIN3c1015Float8_e5m2fnuzELi2ELi1ELi1EEEJNS0_4CopyIS7_S7_EEEEEvT_T0_DpT1_
    .private_segment_fixed_size: 0
    .sgpr_count:     24
    .sgpr_spill_count: 0
    .symbol:         _ZN2at6native12_GLOBAL__N_125multi_tensor_apply_kernelINS1_18TensorListMetadataILi2EEENS1_14UnaryOpFunctorIN3c1015Float8_e5m2fnuzELi2ELi1ELi1EEEJNS0_4CopyIS7_S7_EEEEEvT_T0_DpT1_.kd
    .uniform_work_group_size: 1
    .uses_dynamic_stack: false
    .vgpr_count:     31
    .vgpr_spill_count: 0
    .wavefront_size: 32
    .workgroup_processor_mode: 1
amdhsa.target:   amdgcn-amd-amdhsa--gfx1100
amdhsa.version:
  - 1
  - 2
...

	.end_amdgpu_metadata
